;; amdgpu-corpus repo=pytorch/pytorch kind=compiled arch=gfx942 opt=O3
	.text
	.amdgcn_target "amdgcn-amd-amdhsa--gfx942"
	.amdhsa_code_object_version 6
	.p2align	2                               ; -- Begin function _ZN2at6native25elementwise_kernel_helperILb0EZZZNS0_12_GLOBAL__N_121bessel_y0_kernel_cudaERNS_18TensorIteratorBaseEENKUlvE_clEvENKUlvE_clEvEUldE_NS0_6memory8policies11unroll_baseILi256ESt5arrayIPcLm2EE23TrivialOffsetCalculatorILi1EjESF_NS8_15LoadWithoutCastENS8_16StoreWithoutCastELi16ELi1EEEEEvT0_T1_
	.type	_ZN2at6native25elementwise_kernel_helperILb0EZZZNS0_12_GLOBAL__N_121bessel_y0_kernel_cudaERNS_18TensorIteratorBaseEENKUlvE_clEvENKUlvE_clEvEUldE_NS0_6memory8policies11unroll_baseILi256ESt5arrayIPcLm2EE23TrivialOffsetCalculatorILi1EjESF_NS8_15LoadWithoutCastENS8_16StoreWithoutCastELi16ELi1EEEEEvT0_T1_,@function
_ZN2at6native25elementwise_kernel_helperILb0EZZZNS0_12_GLOBAL__N_121bessel_y0_kernel_cudaERNS_18TensorIteratorBaseEENKUlvE_clEvENKUlvE_clEvEUldE_NS0_6memory8policies11unroll_baseILi256ESt5arrayIPcLm2EE23TrivialOffsetCalculatorILi1EjESF_NS8_15LoadWithoutCastENS8_16StoreWithoutCastELi16ELi1EEEEEvT0_T1_: ; @_ZN2at6native25elementwise_kernel_helperILb0EZZZNS0_12_GLOBAL__N_121bessel_y0_kernel_cudaERNS_18TensorIteratorBaseEENKUlvE_clEvENKUlvE_clEvEUldE_NS0_6memory8policies11unroll_baseILi256ESt5arrayIPcLm2EE23TrivialOffsetCalculatorILi1EjESF_NS8_15LoadWithoutCastENS8_16StoreWithoutCastELi16ELi1EEEEEvT0_T1_
; %bb.0:
	s_waitcnt vmcnt(0) expcnt(0) lgkmcnt(0)
	s_or_saveexec_b64 s[0:1], -1
	scratch_store_dword off, v40, s32       ; 4-byte Folded Spill
	s_mov_b64 exec, s[0:1]
	v_writelane_b32 v40, s34, 0
	v_writelane_b32 v40, s35, 1
	v_writelane_b32 v40, s30, 2
	s_nop 1
	v_writelane_b32 v40, s31, 3
	v_and_b32_e32 v5, 0x3ff, v31
	s_lshl_b32 s20, s12, 12
	v_mov_b64_e32 v[16:17], 0
	v_cmp_lt_i32_e64 s[0:1], v5, v4
	v_or_b32_e32 v6, s20, v5
	v_mov_b64_e32 v[12:13], v[16:17]
	v_mov_b32_e32 v7, v5
	s_and_saveexec_b64 s[2:3], s[0:1]
	s_cbranch_execz .LBB0_2
; %bb.1:
	v_mov_b32_e32 v7, 0
	v_lshl_add_u64 v[8:9], v[6:7], 3, v[2:3]
	flat_load_dwordx2 v[12:13], v[8:9]
	v_add_u32_e32 v7, 0x100, v5
.LBB0_2:
	s_or_b64 exec, exec, s[2:3]
	v_cmp_lt_i32_e32 vcc, v7, v4
	s_and_saveexec_b64 s[2:3], vcc
	s_cbranch_execz .LBB0_4
; %bb.3:
	v_add_u32_e32 v8, s20, v7
	v_mov_b32_e32 v9, 0
	v_lshl_add_u64 v[8:9], v[8:9], 3, v[2:3]
	flat_load_dwordx2 v[16:17], v[8:9]
	v_add_u32_e32 v7, 0x100, v7
.LBB0_4:
	s_or_b64 exec, exec, s[2:3]
	v_mov_b64_e32 v[24:25], 0
	v_cmp_lt_i32_e32 vcc, v7, v4
	v_mov_b64_e32 v[20:21], v[24:25]
	s_and_saveexec_b64 s[2:3], vcc
	s_cbranch_execz .LBB0_6
; %bb.5:
	v_add_u32_e32 v8, s20, v7
	v_mov_b32_e32 v9, 0
	v_lshl_add_u64 v[8:9], v[8:9], 3, v[2:3]
	flat_load_dwordx2 v[20:21], v[8:9]
	v_add_u32_e32 v7, 0x100, v7
.LBB0_6:
	s_or_b64 exec, exec, s[2:3]
	v_cmp_lt_i32_e32 vcc, v7, v4
	s_and_saveexec_b64 s[2:3], vcc
	s_cbranch_execz .LBB0_8
; %bb.7:
	v_add_u32_e32 v8, s20, v7
	v_mov_b32_e32 v9, 0
	v_lshl_add_u64 v[8:9], v[8:9], 3, v[2:3]
	flat_load_dwordx2 v[24:25], v[8:9]
	v_add_u32_e32 v7, 0x100, v7
.LBB0_8:
	s_or_b64 exec, exec, s[2:3]
	v_mov_b64_e32 v[32:33], 0
	v_cmp_lt_i32_e32 vcc, v7, v4
	v_mov_b64_e32 v[28:29], v[32:33]
	s_and_saveexec_b64 s[2:3], vcc
	s_cbranch_execz .LBB0_10
; %bb.9:
	v_add_u32_e32 v8, s20, v7
	v_mov_b32_e32 v9, 0
	v_lshl_add_u64 v[8:9], v[8:9], 3, v[2:3]
	flat_load_dwordx2 v[28:29], v[8:9]
	v_add_u32_e32 v7, 0x100, v7
.LBB0_10:
	;; [unrolled: 24-line block ×6, first 2 shown]
	s_or_b64 exec, exec, s[2:3]
	v_cmp_lt_i32_e32 vcc, v7, v4
	s_and_saveexec_b64 s[2:3], vcc
	s_cbranch_execz .LBB0_28
; %bb.27:
	v_add_u32_e32 v8, s20, v7
	v_mov_b32_e32 v9, 0
	v_lshl_add_u64 v[8:9], v[8:9], 3, v[2:3]
	flat_load_dwordx2 v[14:15], v[8:9]
	v_add_u32_e32 v7, 0x100, v7
.LBB0_28:
	s_or_b64 exec, exec, s[2:3]
	v_mov_b64_e32 v[8:9], 0
	v_cmp_lt_i32_e32 vcc, v7, v4
	v_mov_b64_e32 v[10:11], v[8:9]
	s_and_saveexec_b64 s[2:3], vcc
	s_cbranch_execz .LBB0_31
; %bb.29:
	v_add_u32_e32 v10, s20, v7
	v_mov_b32_e32 v11, 0
	v_lshl_add_u64 v[10:11], v[10:11], 3, v[2:3]
	flat_load_dwordx2 v[10:11], v[10:11]
	v_add_u32_e32 v7, 0x100, v7
	s_or_b64 exec, exec, s[2:3]
	v_cmp_lt_i32_e32 vcc, v7, v4
	s_and_saveexec_b64 s[2:3], vcc
	s_cbranch_execnz .LBB0_32
.LBB0_30:
	s_or_b64 exec, exec, s[2:3]
                                        ; implicit-def: $vgpr2_vgpr3
	s_and_saveexec_b64 s[4:5], s[0:1]
	s_cbranch_execnz .LBB0_33
	s_branch .LBB0_54
.LBB0_31:
	s_or_b64 exec, exec, s[2:3]
	v_cmp_lt_i32_e32 vcc, v7, v4
	s_and_saveexec_b64 s[2:3], vcc
	s_cbranch_execz .LBB0_30
.LBB0_32:
	v_add_u32_e32 v8, s20, v7
	v_mov_b32_e32 v9, 0
	v_lshl_add_u64 v[2:3], v[8:9], 3, v[2:3]
	flat_load_dwordx2 v[8:9], v[2:3]
	s_or_b64 exec, exec, s[2:3]
                                        ; implicit-def: $vgpr2_vgpr3
	s_and_saveexec_b64 s[4:5], s[0:1]
	s_cbranch_execz .LBB0_54
.LBB0_33:
	s_mov_b32 s2, 0
	s_mov_b32 s3, 0x40140000
	s_waitcnt vmcnt(0) lgkmcnt(0)
	v_cmp_ge_f64_e32 vcc, s[2:3], v[12:13]
                                        ; implicit-def: $vgpr2_vgpr3
	s_and_saveexec_b64 s[2:3], vcc
	s_xor_b64 s[2:3], exec, s[2:3]
	s_cbranch_execz .LBB0_43
; %bb.34:
	v_mov_b32_e32 v2, 0
	v_cmp_neq_f64_e32 vcc, 0, v[12:13]
	v_mov_b32_e32 v3, 0xfff00000
	s_and_saveexec_b64 s[6:7], vcc
	s_cbranch_execz .LBB0_42
; %bb.35:
	v_mov_b32_e32 v2, 0
	v_cmp_ngt_f64_e32 vcc, 0, v[12:13]
	v_mov_b32_e32 v3, 0x7ff80000
	s_and_saveexec_b64 s[8:9], vcc
	s_cbranch_execz .LBB0_41
; %bb.36:
	s_mov_b32 s10, 0x88e368f1
	v_mul_f64 v[2:3], v[12:13], v[12:13]
	s_mov_b32 s11, 0x3ee4f8b5
	v_mul_f64 v[50:51], v[2:3], 0
	v_cmp_ngt_f64_e32 vcc, s[10:11], v[12:13]
                                        ; implicit-def: $vgpr48_vgpr49
	s_and_saveexec_b64 s[10:11], vcc
	s_xor_b64 s[10:11], exec, s[10:11]
	s_cbranch_execz .LBB0_38
; %bb.37:
	s_mov_b32 s12, 0xad1c8325
	s_mov_b32 s13, 0xc1f1dc53
	v_add_f64 v[48:49], v[50:51], s[12:13]
	v_mov_b32_e32 v52, 0xc772990d
	v_mov_b32_e32 v53, 0x427c7751
	s_mov_b32 s12, 0xa696b78c
	v_fmac_f64_e32 v[52:53], v[2:3], v[48:49]
	v_mov_b32_e32 v48, 0xe0d900f7
	v_mov_b32_e32 v49, 0xc2ec5614
	s_mov_b32 s13, 0x407f3902
	v_fmac_f64_e32 v[48:49], v[2:3], v[52:53]
	v_add_f64 v[52:53], v[50:51], s[12:13]
	v_mov_b32_e32 v54, 0x36a21a67
	v_mov_b32_e32 v55, 0x410536cb
	v_fmac_f64_e32 v[54:55], v[2:3], v[52:53]
	v_mov_b32_e32 v52, 0x2eac0634
	v_mov_b32_e32 v53, 0x41871934
	v_fmac_f64_e32 v[52:53], v[2:3], v[54:55]
	;; [unrolled: 3-line block ×6, first 2 shown]
	v_mov_b32_e32 v54, 0xc7b662cc
	v_mov_b32_e32 v55, 0x43b7be34
	s_mov_b32 s12, 0x80462bbb
	v_fmac_f64_e32 v[54:55], v[2:3], v[52:53]
	v_mov_b32_e32 v52, 0x69ff5fb4
	v_mov_b32_e32 v53, 0x43413ef8
	s_mov_b32 s13, 0xc01721fb
	v_fmac_f64_e32 v[52:53], v[2:3], v[48:49]
	v_add_f64 v[48:49], v[2:3], s[12:13]
	s_mov_b32 s12, 0xa621dd6f
	s_mov_b32 s13, 0xc03e78a4
	v_add_f64 v[64:65], v[2:3], s[12:13]
	v_mul_f64 v[48:49], v[48:49], v[64:65]
	v_mul_f64 v[48:49], v[48:49], v[52:53]
	v_div_scale_f64 v[52:53], s[12:13], v[54:55], v[54:55], v[48:49]
	v_rcp_f64_e32 v[64:65], v[52:53]
	s_nop 0
	v_fma_f64 v[66:67], -v[52:53], v[64:65], 1.0
	v_fmac_f64_e32 v[64:65], v[64:65], v[66:67]
	v_fma_f64 v[66:67], -v[52:53], v[64:65], 1.0
	v_fmac_f64_e32 v[64:65], v[64:65], v[66:67]
	v_div_scale_f64 v[66:67], vcc, v[48:49], v[54:55], v[48:49]
	v_mul_f64 v[68:69], v[66:67], v[64:65]
	v_fma_f64 v[52:53], -v[52:53], v[68:69], v[66:67]
	s_nop 1
	v_div_fmas_f64 v[52:53], v[52:53], v[64:65], v[68:69]
	v_div_fixup_f64 v[48:49], v[52:53], v[54:55], v[48:49]
.LBB0_38:
	s_andn2_saveexec_b64 s[10:11], s[10:11]
; %bb.39:
	s_mov_b32 s12, 0
	s_mov_b32 s13, 0xbfd00000
	v_fma_f64 v[48:49], v[2:3], s[12:13], 1.0
; %bb.40:
	s_or_b64 exec, exec, s[10:11]
	s_mov_b32 s10, 0xe896898f
	s_mov_b32 s11, 0x40ce7437
	v_add_f64 v[52:53], v[50:51], s[10:11]
	v_mov_b32_e32 v54, 0x32e48896
	v_mov_b32_e32 v55, 0xc16bf81f
	v_fmac_f64_e32 v[54:55], v[2:3], v[52:53]
	v_mov_b32_e32 v52, 0xf0284cdd
	v_mov_b32_e32 v53, 0x41f43f78
	v_fmac_f64_e32 v[52:53], v[2:3], v[54:55]
	;; [unrolled: 3-line block ×4, first 2 shown]
	v_mov_b32_e32 v54, 0xd1d8cc02
	v_mov_b32_e32 v55, 0xc328a121
	s_mov_b32 s10, 0x576dfcb6
	v_fmac_f64_e32 v[54:55], v[2:3], v[52:53]
	v_mov_b32_e32 v52, 0x660b4003
	v_mov_b32_e32 v53, 0x4363a94b
	s_mov_b32 s11, 0x40904522
	v_fmac_f64_e32 v[52:53], v[2:3], v[54:55]
	v_add_f64 v[50:51], v[50:51], s[10:11]
	v_mov_b32_e32 v54, 0xa907bc0c
	v_mov_b32_e32 v55, 0x41231b76
	v_fmac_f64_e32 v[54:55], v[2:3], v[50:51]
	v_mov_b32_e32 v50, 0x5164d101
	v_mov_b32_e32 v51, 0x41b00763
	v_fmac_f64_e32 v[50:51], v[2:3], v[54:55]
	;; [unrolled: 3-line block ×7, first 2 shown]
	v_div_scale_f64 v[2:3], s[10:11], v[50:51], v[50:51], v[54:55]
	v_rcp_f64_e32 v[52:53], v[2:3]
	s_mov_b32 s10, 0x55555555
	v_frexp_exp_i32_f64_e32 v7, v[12:13]
	v_frexp_mant_f64_e32 v[12:13], v[12:13]
	v_fma_f64 v[64:65], -v[2:3], v[52:53], 1.0
	v_fmac_f64_e32 v[52:53], v[52:53], v[64:65]
	v_fma_f64 v[64:65], -v[2:3], v[52:53], 1.0
	v_fmac_f64_e32 v[52:53], v[52:53], v[64:65]
	v_div_scale_f64 v[64:65], vcc, v[54:55], v[50:51], v[54:55]
	v_mul_f64 v[66:67], v[64:65], v[52:53]
	v_fma_f64 v[2:3], -v[2:3], v[66:67], v[64:65]
	s_mov_b32 s11, 0x3fe55555
	s_nop 0
	v_div_fmas_f64 v[2:3], v[2:3], v[52:53], v[66:67]
	v_div_fixup_f64 v[2:3], v[2:3], v[50:51], v[54:55]
	v_mov_b32_e32 v50, 0x3ff00000
	v_cmp_gt_f64_e32 vcc, s[10:11], v[12:13]
	s_mov_b32 s10, 0xbf559e2b
	s_mov_b32 s11, 0x3fc3ab76
	v_cndmask_b32_e64 v51, v50, 2.0, vcc
	v_mov_b32_e32 v50, 0
	v_mul_f64 v[12:13], v[12:13], v[50:51]
	v_add_f64 v[50:51], v[12:13], 1.0
	v_rcp_f64_e32 v[52:53], v[50:51]
	v_add_f64 v[64:65], v[50:51], -1.0
	v_add_f64 v[54:55], v[12:13], -1.0
	v_add_f64 v[12:13], v[12:13], -v[64:65]
	v_fma_f64 v[64:65], -v[50:51], v[52:53], 1.0
	v_fmac_f64_e32 v[52:53], v[64:65], v[52:53]
	v_fma_f64 v[64:65], -v[50:51], v[52:53], 1.0
	v_fmac_f64_e32 v[52:53], v[64:65], v[52:53]
	v_mul_f64 v[64:65], v[54:55], v[52:53]
	v_mul_f64 v[66:67], v[50:51], v[64:65]
	v_fma_f64 v[50:51], v[64:65], v[50:51], -v[66:67]
	v_fmac_f64_e32 v[50:51], v[64:65], v[12:13]
	v_add_f64 v[12:13], v[66:67], v[50:51]
	v_add_f64 v[68:69], v[54:55], -v[12:13]
	v_add_f64 v[66:67], v[12:13], -v[66:67]
	;; [unrolled: 1-line block ×5, first 2 shown]
	v_add_f64 v[12:13], v[50:51], v[12:13]
	v_add_f64 v[12:13], v[68:69], v[12:13]
	v_mul_f64 v[12:13], v[52:53], v[12:13]
	v_add_f64 v[50:51], v[64:65], v[12:13]
	v_add_f64 v[52:53], v[50:51], -v[64:65]
	v_add_f64 v[12:13], v[12:13], -v[52:53]
	v_mul_f64 v[52:53], v[50:51], v[50:51]
	v_mov_b32_e32 v54, 0x6b47b09a
	v_mov_b32_e32 v55, 0x3fc38538
	v_fmac_f64_e32 v[54:55], s[10:11], v[52:53]
	v_mov_b32_e32 v64, 0xd7f4df2e
	v_mov_b32_e32 v65, 0x3fc7474d
	v_fmac_f64_e32 v[64:65], v[52:53], v[54:55]
	;; [unrolled: 3-line block ×6, first 2 shown]
	v_ldexp_f64 v[54:55], v[50:51], 1
	v_mul_f64 v[50:51], v[50:51], v[52:53]
	v_mul_f64 v[50:51], v[50:51], v[64:65]
	v_add_f64 v[52:53], v[54:55], v[50:51]
	v_add_f64 v[54:55], v[52:53], -v[54:55]
	v_ldexp_f64 v[12:13], v[12:13], 1
	v_add_f64 v[50:51], v[50:51], -v[54:55]
	v_add_f64 v[12:13], v[12:13], v[50:51]
	v_add_f64 v[50:51], v[52:53], v[12:13]
	v_subbrev_co_u32_e32 v7, vcc, 0, v7, vcc
	v_add_f64 v[52:53], v[50:51], -v[52:53]
	s_mov_b32 s10, 0xfefa39ef
	v_add_f64 v[12:13], v[12:13], -v[52:53]
	v_cvt_f64_i32_e32 v[52:53], v7
	s_mov_b32 s11, 0x3fe62e42
	v_mul_f64 v[54:55], v[52:53], s[10:11]
	v_fma_f64 v[64:65], v[52:53], s[10:11], -v[54:55]
	s_mov_b32 s10, 0x3b39803f
	s_mov_b32 s11, 0x3c7abc9e
	v_fmac_f64_e32 v[64:65], s[10:11], v[52:53]
	v_add_f64 v[52:53], v[54:55], v[64:65]
	v_add_f64 v[54:55], v[52:53], -v[54:55]
	v_add_f64 v[54:55], v[64:65], -v[54:55]
	v_add_f64 v[64:65], v[52:53], v[50:51]
	v_add_f64 v[66:67], v[64:65], -v[52:53]
	v_add_f64 v[68:69], v[64:65], -v[66:67]
	;; [unrolled: 1-line block ×4, first 2 shown]
	v_add_f64 v[50:51], v[50:51], v[52:53]
	v_add_f64 v[52:53], v[54:55], v[12:13]
	v_add_f64 v[66:67], v[52:53], -v[54:55]
	v_add_f64 v[68:69], v[52:53], -v[66:67]
	v_add_f64 v[50:51], v[52:53], v[50:51]
	v_add_f64 v[54:55], v[54:55], -v[68:69]
	v_add_f64 v[12:13], v[12:13], -v[66:67]
	v_add_f64 v[52:53], v[64:65], v[50:51]
	v_add_f64 v[12:13], v[12:13], v[54:55]
	v_add_f64 v[54:55], v[52:53], -v[64:65]
	v_add_f64 v[50:51], v[50:51], -v[54:55]
	v_add_f64 v[12:13], v[12:13], v[50:51]
	s_mov_b32 s10, 0x6dc9c883
	v_add_f64 v[12:13], v[52:53], v[12:13]
	s_mov_b32 s11, 0x3fe45f30
	v_mul_f64 v[12:13], v[12:13], s[10:11]
	v_fmac_f64_e32 v[2:3], v[12:13], v[48:49]
.LBB0_41:
	s_or_b64 exec, exec, s[8:9]
.LBB0_42:
	s_or_b64 exec, exec, s[6:7]
                                        ; implicit-def: $vgpr12_vgpr13
.LBB0_43:
	s_andn2_saveexec_b64 s[6:7], s[2:3]
	s_cbranch_execz .LBB0_53
; %bb.44:
	s_mov_b32 s11, 0xbfe921fb
	s_mov_b32 s10, 0x54442d18
	;; [unrolled: 1-line block ×3, first 2 shown]
	v_add_f64 v[2:3], v[12:13], s[10:11]
	s_mov_b32 s3, 0x41d00000
	v_cmp_nlt_f64_e64 s[8:9], |v[2:3]|, s[2:3]
	v_trig_preop_f64 v[68:69], |v[2:3]|, 0
	v_trig_preop_f64 v[66:67], |v[2:3]|, 1
	;; [unrolled: 1-line block ×3, first 2 shown]
                                        ; implicit-def: $vgpr7
                                        ; implicit-def: $vgpr48_vgpr49
                                        ; implicit-def: $vgpr50_vgpr51
	s_and_saveexec_b64 s[2:3], s[8:9]
	s_xor_b64 s[12:13], exec, s[2:3]
	s_cbranch_execz .LBB0_46
; %bb.45:
	s_mov_b32 s2, 0
	s_mov_b32 s3, 0x7b000000
	s_movk_i32 s11, 0xff80
	v_and_b32_e32 v7, 0x7fffffff, v3
	v_ldexp_f64 v[48:49], |v[2:3]|, s11
	v_cmp_ge_f64_e64 vcc, |v[2:3]|, s[2:3]
	s_mov_b32 s2, 0
	s_mov_b32 s3, 0x7ff00000
	v_cndmask_b32_e32 v49, v7, v49, vcc
	v_cndmask_b32_e32 v48, v2, v48, vcc
	v_mul_f64 v[52:53], v[68:69], v[48:49]
	v_mul_f64 v[50:51], v[66:67], v[48:49]
	v_fma_f64 v[54:55], v[68:69], v[48:49], -v[52:53]
	v_add_f64 v[70:71], v[50:51], v[54:55]
	v_add_f64 v[80:81], v[52:53], v[70:71]
	v_ldexp_f64 v[82:83], v[80:81], -2
	v_fract_f64_e32 v[84:85], v[82:83]
	v_cmp_neq_f64_e64 vcc, |v[82:83]|, s[2:3]
	v_add_f64 v[52:53], v[80:81], -v[52:53]
	v_add_f64 v[52:53], v[70:71], -v[52:53]
	v_cndmask_b32_e32 v83, 0, v85, vcc
	v_cndmask_b32_e32 v82, 0, v84, vcc
	v_add_f64 v[84:85], v[70:71], -v[50:51]
	v_add_f64 v[54:55], v[54:55], -v[84:85]
	;; [unrolled: 1-line block ×4, first 2 shown]
	v_add_f64 v[54:55], v[54:55], v[84:85]
	v_fma_f64 v[50:51], v[66:67], v[48:49], -v[50:51]
	v_mul_f64 v[84:85], v[64:65], v[48:49]
	v_add_f64 v[96:97], v[84:85], v[50:51]
	v_add_f64 v[98:99], v[96:97], v[54:55]
	v_add_f64 v[80:81], v[98:99], -v[96:97]
	v_add_f64 v[54:55], v[54:55], -v[80:81]
	;; [unrolled: 1-line block ×4, first 2 shown]
	v_add_f64 v[54:55], v[54:55], v[80:81]
	v_add_f64 v[80:81], v[96:97], -v[84:85]
	v_add_f64 v[50:51], v[50:51], -v[80:81]
	;; [unrolled: 1-line block ×4, first 2 shown]
	v_add_f64 v[70:71], v[52:53], v[98:99]
	v_add_f64 v[50:51], v[50:51], v[80:81]
	v_add_f64 v[52:53], v[70:71], -v[52:53]
	v_add_f64 v[50:51], v[50:51], v[54:55]
	v_fma_f64 v[48:49], v[64:65], v[48:49], -v[84:85]
	v_add_f64 v[52:53], v[98:99], -v[52:53]
	v_add_f64 v[48:49], v[48:49], v[50:51]
	v_ldexp_f64 v[50:51], v[82:83], 2
	v_add_f64 v[48:49], v[52:53], v[48:49]
	v_add_f64 v[52:53], v[70:71], v[50:51]
	v_mov_b32_e32 v7, 0x40100000
	v_cmp_gt_f64_e32 vcc, 0, v[52:53]
	v_mov_b32_e32 v86, 0
	s_mov_b32 s11, 0x3ff921fb
	v_cndmask_b32_e32 v87, 0, v7, vcc
	v_add_f64 v[50:51], v[50:51], v[86:87]
	v_add_f64 v[52:53], v[70:71], v[50:51]
	v_cvt_i32_f64_e32 v7, v[52:53]
	v_cvt_f64_i32_e32 v[52:53], v7
	v_add_f64 v[50:51], v[50:51], -v[52:53]
	v_add_f64 v[52:53], v[70:71], v[50:51]
	v_add_f64 v[50:51], v[52:53], -v[50:51]
	v_add_f64 v[50:51], v[70:71], -v[50:51]
	v_add_f64 v[48:49], v[48:49], v[50:51]
	v_cmp_le_f64_e32 vcc, 0.5, v[52:53]
	v_mov_b32_e32 v50, 0x3ff00000
	s_nop 0
	v_cndmask_b32_e32 v87, 0, v50, vcc
	v_add_f64 v[50:51], v[52:53], -v[86:87]
	v_add_f64 v[52:53], v[50:51], v[48:49]
	v_addc_co_u32_e64 v7, s[2:3], 0, v7, vcc
	v_add_f64 v[50:51], v[52:53], -v[50:51]
	v_add_f64 v[48:49], v[48:49], -v[50:51]
	v_mul_f64 v[50:51], v[52:53], s[10:11]
	s_mov_b32 s2, 0x33145c07
	v_fma_f64 v[54:55], v[52:53], s[10:11], -v[50:51]
	s_mov_b32 s3, 0x3c91a626
	v_fmac_f64_e32 v[54:55], s[2:3], v[52:53]
	v_fmac_f64_e32 v[54:55], s[10:11], v[48:49]
	v_add_f64 v[48:49], v[50:51], v[54:55]
	v_add_f64 v[50:51], v[48:49], -v[50:51]
	v_add_f64 v[50:51], v[54:55], -v[50:51]
	s_andn2_saveexec_b64 s[2:3], s[12:13]
	s_cbranch_execz .LBB0_48
	s_branch .LBB0_47
.LBB0_46:
	s_andn2_saveexec_b64 s[2:3], s[12:13]
	s_cbranch_execz .LBB0_48
.LBB0_47:
	s_mov_b32 s10, 0x6dc9c883
	s_mov_b32 s11, 0x3fe45f30
	v_mul_f64 v[48:49], |v[2:3]|, s[10:11]
	s_mov_b32 s10, 0x54442d18
	v_rndne_f64_e32 v[52:53], v[48:49]
	s_mov_b32 s11, 0xbff921fb
	v_fma_f64 v[48:49], v[52:53], s[10:11], |v[2:3]|
	s_mov_b32 s11, 0xbc91a626
	s_mov_b32 s10, 0x33145c00
	v_mul_f64 v[54:55], v[52:53], s[10:11]
	v_add_f64 v[80:81], v[48:49], v[54:55]
	v_fma_f64 v[50:51], s[10:11], v[52:53], v[48:49]
	s_mov_b32 s11, 0x3c91a626
	v_add_f64 v[48:49], v[48:49], -v[80:81]
	v_fma_f64 v[70:71], s[10:11], v[52:53], v[54:55]
	v_add_f64 v[48:49], v[48:49], v[54:55]
	v_add_f64 v[54:55], v[80:81], -v[50:51]
	v_add_f64 v[48:49], v[54:55], v[48:49]
	s_mov_b32 s10, 0x252049c0
	v_add_f64 v[54:55], v[48:49], -v[70:71]
	s_mov_b32 s11, 0xb97b839a
	v_fmac_f64_e32 v[54:55], s[10:11], v[52:53]
	v_add_f64 v[48:49], v[50:51], v[54:55]
	v_add_f64 v[50:51], v[48:49], -v[50:51]
	v_add_f64 v[50:51], v[54:55], -v[50:51]
	v_cvt_i32_f64_e32 v7, v[52:53]
.LBB0_48:
	s_or_b64 exec, exec, s[2:3]
                                        ; implicit-def: $vgpr70
                                        ; implicit-def: $vgpr52_vgpr53
                                        ; implicit-def: $vgpr54_vgpr55
	s_and_saveexec_b64 s[2:3], s[8:9]
	s_xor_b64 s[8:9], exec, s[2:3]
	s_cbranch_execz .LBB0_50
; %bb.49:
	s_mov_b32 s2, 0
	s_mov_b32 s3, 0x7b000000
	s_movk_i32 s10, 0xff80
	v_and_b32_e32 v54, 0x7fffffff, v3
	v_ldexp_f64 v[52:53], |v[2:3]|, s10
	v_cmp_ge_f64_e64 vcc, |v[2:3]|, s[2:3]
	s_mov_b32 s2, 0
	s_mov_b32 s3, 0x7ff00000
	v_cndmask_b32_e32 v53, v54, v53, vcc
	v_cndmask_b32_e32 v52, v2, v52, vcc
	v_mul_f64 v[70:71], v[68:69], v[52:53]
	v_mul_f64 v[54:55], v[66:67], v[52:53]
	v_fma_f64 v[68:69], v[68:69], v[52:53], -v[70:71]
	v_add_f64 v[80:81], v[54:55], v[68:69]
	v_add_f64 v[82:83], v[70:71], v[80:81]
	v_ldexp_f64 v[84:85], v[82:83], -2
	v_fract_f64_e32 v[86:87], v[84:85]
	v_cmp_neq_f64_e64 vcc, |v[84:85]|, s[2:3]
	v_add_f64 v[70:71], v[82:83], -v[70:71]
	v_add_f64 v[70:71], v[80:81], -v[70:71]
	v_cndmask_b32_e32 v85, 0, v87, vcc
	v_cndmask_b32_e32 v84, 0, v86, vcc
	v_add_f64 v[86:87], v[80:81], -v[54:55]
	v_add_f64 v[68:69], v[68:69], -v[86:87]
	;; [unrolled: 1-line block ×4, first 2 shown]
	v_fma_f64 v[54:55], v[66:67], v[52:53], -v[54:55]
	v_mul_f64 v[66:67], v[64:65], v[52:53]
	v_add_f64 v[68:69], v[68:69], v[86:87]
	v_add_f64 v[86:87], v[66:67], v[54:55]
	v_add_f64 v[98:99], v[86:87], v[68:69]
	v_add_f64 v[82:83], v[98:99], -v[86:87]
	v_add_f64 v[68:69], v[68:69], -v[82:83]
	v_add_f64 v[82:83], v[98:99], -v[82:83]
	v_add_f64 v[82:83], v[86:87], -v[82:83]
	v_add_f64 v[68:69], v[68:69], v[82:83]
	v_add_f64 v[82:83], v[86:87], -v[66:67]
	v_add_f64 v[54:55], v[54:55], -v[82:83]
	;; [unrolled: 1-line block ×4, first 2 shown]
	v_add_f64 v[54:55], v[54:55], v[82:83]
	v_add_f64 v[54:55], v[54:55], v[68:69]
	v_fma_f64 v[52:53], v[64:65], v[52:53], -v[66:67]
	v_add_f64 v[80:81], v[70:71], v[98:99]
	v_add_f64 v[52:53], v[52:53], v[54:55]
	v_ldexp_f64 v[54:55], v[84:85], 2
	v_add_f64 v[64:65], v[80:81], v[54:55]
	v_mov_b32_e32 v66, 0x40100000
	v_cmp_gt_f64_e32 vcc, 0, v[64:65]
	v_mov_b32_e32 v96, 0
	v_add_f64 v[70:71], v[80:81], -v[70:71]
	v_cndmask_b32_e32 v97, 0, v66, vcc
	v_add_f64 v[54:55], v[54:55], v[96:97]
	v_add_f64 v[64:65], v[80:81], v[54:55]
	v_cvt_i32_f64_e32 v66, v[64:65]
	v_cvt_f64_i32_e32 v[64:65], v66
	v_add_f64 v[54:55], v[54:55], -v[64:65]
	v_add_f64 v[64:65], v[80:81], v[54:55]
	v_add_f64 v[70:71], v[98:99], -v[70:71]
	v_add_f64 v[54:55], v[64:65], -v[54:55]
	v_add_f64 v[52:53], v[70:71], v[52:53]
	v_add_f64 v[54:55], v[80:81], -v[54:55]
	v_add_f64 v[52:53], v[52:53], v[54:55]
	v_cmp_le_f64_e32 vcc, 0.5, v[64:65]
	v_mov_b32_e32 v54, 0x3ff00000
	s_mov_b32 s10, 0x33145c07
	v_cndmask_b32_e32 v97, 0, v54, vcc
	v_addc_co_u32_e64 v70, s[2:3], 0, v66, vcc
	v_add_f64 v[54:55], v[64:65], -v[96:97]
	v_add_f64 v[64:65], v[54:55], v[52:53]
	s_mov_b32 s2, 0x54442d18
	v_add_f64 v[54:55], v[64:65], -v[54:55]
	s_mov_b32 s3, 0x3ff921fb
	v_add_f64 v[52:53], v[52:53], -v[54:55]
	v_mul_f64 v[54:55], v[64:65], s[2:3]
	v_fma_f64 v[66:67], v[64:65], s[2:3], -v[54:55]
	s_mov_b32 s11, 0x3c91a626
	v_fmac_f64_e32 v[66:67], s[10:11], v[64:65]
	v_fmac_f64_e32 v[66:67], s[2:3], v[52:53]
	v_add_f64 v[52:53], v[54:55], v[66:67]
	v_add_f64 v[54:55], v[52:53], -v[54:55]
	v_add_f64 v[54:55], v[66:67], -v[54:55]
	s_andn2_saveexec_b64 s[2:3], s[8:9]
	s_cbranch_execnz .LBB0_51
	s_branch .LBB0_52
.LBB0_50:
	s_andn2_saveexec_b64 s[2:3], s[8:9]
	s_cbranch_execz .LBB0_52
.LBB0_51:
	s_mov_b32 s8, 0x6dc9c883
	s_mov_b32 s9, 0x3fe45f30
	v_mul_f64 v[52:53], |v[2:3]|, s[8:9]
	s_mov_b32 s8, 0x54442d18
	v_rndne_f64_e32 v[64:65], v[52:53]
	s_mov_b32 s9, 0xbff921fb
	v_fma_f64 v[52:53], v[64:65], s[8:9], |v[2:3]|
	s_mov_b32 s9, 0xbc91a626
	s_mov_b32 s8, 0x33145c00
	v_mul_f64 v[66:67], v[64:65], s[8:9]
	v_add_f64 v[70:71], v[52:53], v[66:67]
	v_fma_f64 v[54:55], s[8:9], v[64:65], v[52:53]
	s_mov_b32 s9, 0x3c91a626
	v_add_f64 v[52:53], v[52:53], -v[70:71]
	v_fma_f64 v[68:69], s[8:9], v[64:65], v[66:67]
	v_add_f64 v[52:53], v[52:53], v[66:67]
	v_add_f64 v[66:67], v[70:71], -v[54:55]
	v_add_f64 v[52:53], v[66:67], v[52:53]
	s_mov_b32 s8, 0x252049c0
	v_add_f64 v[66:67], v[52:53], -v[68:69]
	s_mov_b32 s9, 0xb97b839a
	v_fmac_f64_e32 v[66:67], s[8:9], v[64:65]
	v_add_f64 v[52:53], v[54:55], v[66:67]
	v_add_f64 v[54:55], v[52:53], -v[54:55]
	v_add_f64 v[54:55], v[66:67], -v[54:55]
	v_cvt_i32_f64_e32 v70, v[64:65]
.LBB0_52:
	s_or_b64 exec, exec, s[2:3]
	s_mov_b32 s2, 0
	v_mul_f64 v[64:65], v[12:13], v[12:13]
	s_mov_b32 s3, 0x40390000
	v_div_scale_f64 v[66:67], s[8:9], v[64:65], v[64:65], s[2:3]
	v_rcp_f64_e32 v[68:69], v[66:67]
	v_mov_b32_e32 v84, 0xb1759c7f
	v_mov_b32_e32 v85, 0x408ac370
	;; [unrolled: 1-line block ×3, first 2 shown]
	v_fma_f64 v[80:81], -v[66:67], v[68:69], 1.0
	v_fmac_f64_e32 v[68:69], v[68:69], v[80:81]
	v_fma_f64 v[80:81], -v[66:67], v[68:69], 1.0
	v_fmac_f64_e32 v[68:69], v[68:69], v[80:81]
	v_div_scale_f64 v[80:81], vcc, s[2:3], v[64:65], s[2:3]
	v_mul_f64 v[82:83], v[80:81], v[68:69]
	v_fma_f64 v[66:67], -v[66:67], v[82:83], v[80:81]
	v_mov_b32_e32 v80, 0xab5454e3
	s_nop 0
	v_div_fmas_f64 v[66:67], v[66:67], v[68:69], v[82:83]
	v_div_fixup_f64 v[64:65], v[66:67], v[64:65], s[2:3]
	v_mov_b32_e32 v66, 0x983b6b27
	v_mov_b32_e32 v67, 0x3f4a1d30
	v_fmac_f64_e32 v[66:67], 0, v[64:65]
	v_mov_b32_e32 v68, 0xb35dd1cf
	v_mov_b32_e32 v69, 0x3fb534b0
	v_fmac_f64_e32 v[68:69], v[64:65], v[66:67]
	;; [unrolled: 3-line block ×7, first 2 shown]
	v_mov_b32_e32 v81, 0x3fb5ebc5
	v_fmac_f64_e32 v[80:81], v[64:65], v[66:67]
	v_mov_b32_e32 v66, 0xc9b3069f
	v_mov_b32_e32 v67, 0x3ff40e72
	v_fmac_f64_e32 v[66:67], v[64:65], v[80:81]
	v_mov_b32_e32 v80, 0xe68162bb
	;; [unrolled: 3-line block ×4, first 2 shown]
	v_mov_b32_e32 v81, 0x40153965
	v_fmac_f64_e32 v[80:81], v[64:65], v[66:67]
	v_fma_f64 v[66:67], v[64:65], v[80:81], 1.0
	v_mov_b32_e32 v80, 0x38a5384a
	v_mov_b32_e32 v81, 0xbf874742
	v_fmac_f64_e32 v[80:81], 0, v[64:65]
	v_mov_b32_e32 v82, 0x3a321174
	v_mov_b32_e32 v83, 0xbff4853b
	v_fmac_f64_e32 v[82:83], v[64:65], v[80:81]
	v_mov_b32_e32 v80, 0xf50e2c0c
	v_mov_b32_e32 v81, 0xc0338dcf
	v_fmac_f64_e32 v[80:81], v[64:65], v[82:83]
	v_mov_b32_e32 v82, 0x5a6de8c4
	v_mov_b32_e32 v83, 0xc0574d2f
	v_fmac_f64_e32 v[82:83], v[64:65], v[80:81]
	v_mov_b32_e32 v80, 0x20cae8ea
	v_mov_b32_e32 v81, 0xc06635cc
	v_fmac_f64_e32 v[80:81], v[64:65], v[82:83]
	v_mov_b32_e32 v82, 0xec17392d
	v_mov_b32_e32 v83, 0xc062627a
	v_fmac_f64_e32 v[82:83], v[64:65], v[80:81]
	v_mov_b32_e32 v80, 0x55b218cd
	v_mov_b32_e32 v81, 0xc049b48c
	v_fmac_f64_e32 v[80:81], v[64:65], v[82:83]
	v_mov_b32_e32 v82, 0xd1b9a1dd
	v_mov_b32_e32 v83, 0xc0183358
	v_fmac_f64_e32 v[82:83], v[64:65], v[80:81]
	v_mov_b32_e32 v80, 0x413c25ac
	v_mov_b32_e32 v81, 0x40501457
	v_fmac_f64_e32 v[80:81], 0, v[64:65]
	v_fmac_f64_e32 v[84:85], v[64:65], v[80:81]
	v_mov_b32_e32 v80, 0xbd748cb5
	v_mov_b32_e32 v81, 0x40ae54cd
	v_fmac_f64_e32 v[80:81], v[64:65], v[84:85]
	v_mov_b32_e32 v84, 0xbdefd63e
	v_mov_b32_e32 v85, 0x40bc4877
	;; [unrolled: 3-line block ×4, first 2 shown]
	v_fma_f64 v[68:69], v[64:65], v[68:69], 1.0
	v_fmac_f64_e32 v[84:85], v[64:65], v[80:81]
	v_div_scale_f64 v[80:81], s[2:3], v[66:67], v[66:67], v[68:69]
	v_rcp_f64_e32 v[86:87], v[80:81]
	v_mov_b32_e32 v97, 0x406e402f
	v_fmac_f64_e32 v[96:97], v[64:65], v[84:85]
	s_mov_b32 s2, 0x9037ab78
	v_fma_f64 v[64:65], -v[80:81], v[86:87], 1.0
	v_fmac_f64_e32 v[86:87], v[86:87], v[64:65]
	v_fma_f64 v[64:65], -v[80:81], v[86:87], 1.0
	v_fmac_f64_e32 v[86:87], v[86:87], v[64:65]
	v_div_scale_f64 v[64:65], vcc, v[68:69], v[66:67], v[68:69]
	v_mul_f64 v[84:85], v[64:65], v[86:87]
	v_fma_f64 v[64:65], -v[80:81], v[84:85], v[64:65]
	s_mov_b32 s3, 0x3e21eeb6
	s_nop 0
	v_div_fmas_f64 v[64:65], v[64:65], v[86:87], v[84:85]
	s_mov_b32 s8, 0x46cc5e42
	v_div_fixup_f64 v[64:65], v[64:65], v[66:67], v[68:69]
	v_mul_f64 v[66:67], v[48:49], v[48:49]
	s_mov_b32 s9, 0xbda907db
	v_mov_b64_e32 v[86:87], s[2:3]
	s_mov_b32 s10, 0xa17f65f6
	v_mul_f64 v[68:69], v[66:67], 0.5
	v_fma_f64 v[98:99], s[8:9], v[66:67], v[86:87]
	s_mov_b32 s11, 0xbe927e4f
	s_mov_b32 s12, 0x19f4ec90
	v_add_f64 v[80:81], -v[68:69], 1.0
	v_fma_f64 v[98:99], v[66:67], v[98:99], s[10:11]
	s_mov_b32 s13, 0x3efa01a0
	s_mov_b32 s14, 0x16c16967
	v_add_f64 v[84:85], -v[80:81], 1.0
	v_fma_f64 v[98:99], v[66:67], v[98:99], s[12:13]
	s_mov_b32 s15, 0xbf56c16c
	s_mov_b32 s16, 0x55555555
	v_add_f64 v[68:69], v[84:85], -v[68:69]
	v_fma_f64 v[98:99], v[66:67], v[98:99], s[14:15]
	s_mov_b32 s17, 0x3fa55555
	v_mul_f64 v[84:85], v[66:67], v[66:67]
	v_fma_f64 v[98:99], v[66:67], v[98:99], s[16:17]
	v_fma_f64 v[68:69], v[48:49], -v[50:51], v[68:69]
	s_mov_b32 s2, 0xb42fdfa7
	v_fmac_f64_e32 v[68:69], v[84:85], v[98:99]
	s_mov_b32 s3, 0xbe5ae600
	s_mov_b32 s18, 0xf9a43bb8
	v_add_f64 v[68:69], v[80:81], v[68:69]
	s_mov_b32 s19, 0x3de5e0b2
	v_mov_b64_e32 v[80:81], s[2:3]
	s_mov_b32 s22, 0x796cde01
	v_fma_f64 v[84:85], s[18:19], v[66:67], v[80:81]
	s_mov_b32 s23, 0x3ec71de3
	s_mov_b32 s24, 0x19e83e5c
	v_fma_f64 v[84:85], v[66:67], v[84:85], s[22:23]
	s_mov_b32 s25, 0xbf2a01a0
	;; [unrolled: 3-line block ×3, first 2 shown]
	v_fma_f64 v[84:85], v[66:67], v[84:85], s[26:27]
	v_mul_f64 v[98:99], v[48:49], -v[66:67]
	v_mul_f64 v[100:101], v[50:51], 0.5
	v_fmac_f64_e32 v[100:101], v[98:99], v[84:85]
	v_fma_f64 v[50:51], v[66:67], v[100:101], -v[50:51]
	s_mov_b32 s29, 0xbfc55555
	s_mov_b32 s28, s16
	v_fmac_f64_e32 v[50:51], s[28:29], v[98:99]
	v_add_f64 v[48:49], v[48:49], -v[50:51]
	v_and_b32_e32 v50, 1, v7
	v_lshlrev_b32_e32 v7, 30, v7
	v_cmp_eq_u32_e32 vcc, 0, v50
	v_xor_b32_e32 v7, v7, v3
	s_mov_b32 s30, 0
	v_cndmask_b32_e32 v66, v68, v48, vcc
	v_cndmask_b32_e32 v48, v69, v49, vcc
	v_and_b32_e32 v7, 0x80000000, v7
	s_mov_b32 s31, 0x40140000
	v_xor_b32_e32 v7, v48, v7
	v_div_scale_f64 v[48:49], s[2:3], v[12:13], v[12:13], s[30:31]
	v_rcp_f64_e32 v[50:51], v[48:49]
	s_movk_i32 s21, 0x1f8
	v_cmp_class_f64_e64 s[2:3], v[2:3], s21
	v_mov_b32_e32 v71, 0x7ff80000
	s_nop 0
	v_cndmask_b32_e64 v2, 0, v66, s[2:3]
	v_fma_f64 v[66:67], -v[48:49], v[50:51], 1.0
	v_fmac_f64_e32 v[50:51], v[50:51], v[66:67]
	v_fma_f64 v[66:67], -v[48:49], v[50:51], 1.0
	v_fmac_f64_e32 v[50:51], v[50:51], v[66:67]
	v_div_scale_f64 v[66:67], vcc, s[30:31], v[12:13], s[30:31]
	v_mul_f64 v[68:69], v[66:67], v[50:51]
	v_fma_f64 v[48:49], -v[48:49], v[68:69], v[66:67]
	v_div_scale_f64 v[66:67], s[34:35], v[96:97], v[96:97], v[82:83]
	v_rcp_f64_e32 v[84:85], v[66:67]
	v_div_fmas_f64 v[48:49], v[48:49], v[50:51], v[68:69]
	v_div_fixup_f64 v[48:49], v[48:49], v[12:13], s[30:31]
	v_cndmask_b32_e64 v3, v71, v7, s[2:3]
	v_fma_f64 v[50:51], -v[66:67], v[84:85], 1.0
	v_fmac_f64_e32 v[84:85], v[84:85], v[50:51]
	v_fma_f64 v[50:51], -v[66:67], v[84:85], 1.0
	v_fmac_f64_e32 v[84:85], v[84:85], v[50:51]
	v_div_scale_f64 v[50:51], vcc, v[82:83], v[96:97], v[82:83]
	v_mul_f64 v[68:69], v[50:51], v[84:85]
	v_fma_f64 v[50:51], -v[66:67], v[68:69], v[50:51]
	s_nop 1
	v_div_fmas_f64 v[50:51], v[50:51], v[84:85], v[68:69]
	v_div_fixup_f64 v[50:51], v[50:51], v[96:97], v[82:83]
	v_mul_f64 v[48:49], v[48:49], v[50:51]
	v_mul_f64 v[50:51], v[52:53], v[52:53]
	v_mul_f64 v[66:67], v[50:51], 0.5
	v_fmac_f64_e32 v[86:87], s[8:9], v[50:51]
	v_add_f64 v[68:69], -v[66:67], 1.0
	v_fma_f64 v[84:85], v[50:51], v[86:87], s[10:11]
	v_add_f64 v[82:83], -v[68:69], 1.0
	v_fma_f64 v[84:85], v[50:51], v[84:85], s[12:13]
	v_add_f64 v[66:67], v[82:83], -v[66:67]
	v_fma_f64 v[84:85], v[50:51], v[84:85], s[14:15]
	v_mul_f64 v[82:83], v[50:51], v[50:51]
	v_fma_f64 v[84:85], v[50:51], v[84:85], s[16:17]
	v_fma_f64 v[66:67], v[52:53], -v[54:55], v[66:67]
	v_fmac_f64_e32 v[66:67], v[82:83], v[84:85]
	v_fmac_f64_e32 v[80:81], s[18:19], v[50:51]
	v_add_f64 v[66:67], v[68:69], v[66:67]
	v_fma_f64 v[68:69], v[50:51], v[80:81], s[22:23]
	v_fma_f64 v[68:69], v[50:51], v[68:69], s[24:25]
	;; [unrolled: 1-line block ×3, first 2 shown]
	v_mul_f64 v[80:81], v[52:53], -v[50:51]
	v_mul_f64 v[82:83], v[54:55], 0.5
	v_fmac_f64_e32 v[82:83], v[80:81], v[68:69]
	v_fma_f64 v[50:51], v[50:51], v[82:83], -v[54:55]
	v_fmac_f64_e32 v[50:51], s[28:29], v[80:81]
	v_add_f64 v[50:51], v[52:53], -v[50:51]
	v_xor_b32_e32 v7, 0x80000000, v51
	v_and_b32_e32 v51, 1, v70
	v_cmp_eq_u32_e32 vcc, 0, v51
	v_lshlrev_b32_e32 v51, 30, v70
	v_and_b32_e32 v51, 0x80000000, v51
	v_cndmask_b32_e32 v7, v7, v67, vcc
	v_cndmask_b32_e32 v50, v50, v66, vcc
	v_xor_b32_e32 v7, v7, v51
	v_cndmask_b32_e64 v50, 0, v50, s[2:3]
	v_cndmask_b32_e64 v51, v71, v7, s[2:3]
	s_mov_b32 s2, 0
	s_brev_b32 s3, 8
	v_mul_f64 v[48:49], v[48:49], v[50:51]
	v_cmp_gt_f64_e32 vcc, s[2:3], v[12:13]
	v_fmac_f64_e32 v[48:49], v[64:65], v[2:3]
	v_mov_b32_e32 v7, 0xffffff80
	v_cndmask_b32_e64 v2, 0, 1, vcc
	v_lshlrev_b32_e32 v2, 8, v2
	v_ldexp_f64 v[2:3], v[12:13], v2
	v_rsq_f64_e32 v[12:13], v[2:3]
	v_cndmask_b32_e32 v7, 0, v7, vcc
	s_mov_b32 s2, 0x33d43651
	s_mov_b32 s3, 0x3fe98845
	v_mul_f64 v[50:51], v[2:3], v[12:13]
	v_mul_f64 v[12:13], v[12:13], 0.5
	v_fma_f64 v[52:53], -v[12:13], v[50:51], 0.5
	v_fmac_f64_e32 v[50:51], v[50:51], v[52:53]
	v_fma_f64 v[54:55], -v[50:51], v[50:51], v[2:3]
	v_fmac_f64_e32 v[12:13], v[12:13], v[52:53]
	v_fmac_f64_e32 v[50:51], v[54:55], v[12:13]
	v_fma_f64 v[52:53], -v[50:51], v[50:51], v[2:3]
	v_fmac_f64_e32 v[50:51], v[52:53], v[12:13]
	v_ldexp_f64 v[12:13], v[50:51], v7
	v_mov_b32_e32 v7, 0x260
	v_cmp_class_f64_e32 vcc, v[2:3], v7
	v_mul_f64 v[48:49], v[48:49], s[2:3]
	s_nop 0
	v_cndmask_b32_e32 v3, v13, v3, vcc
	v_cndmask_b32_e32 v2, v12, v2, vcc
	v_div_scale_f64 v[12:13], s[2:3], v[2:3], v[2:3], v[48:49]
	v_rcp_f64_e32 v[50:51], v[12:13]
	s_nop 0
	v_fma_f64 v[52:53], -v[12:13], v[50:51], 1.0
	v_fmac_f64_e32 v[50:51], v[50:51], v[52:53]
	v_fma_f64 v[52:53], -v[12:13], v[50:51], 1.0
	v_fmac_f64_e32 v[50:51], v[50:51], v[52:53]
	v_div_scale_f64 v[52:53], vcc, v[48:49], v[2:3], v[48:49]
	v_mul_f64 v[54:55], v[52:53], v[50:51]
	v_fma_f64 v[12:13], -v[12:13], v[54:55], v[52:53]
	s_nop 1
	v_div_fmas_f64 v[12:13], v[12:13], v[50:51], v[54:55]
	v_div_fixup_f64 v[2:3], v[12:13], v[2:3], v[48:49]
.LBB0_53:
	s_or_b64 exec, exec, s[6:7]
.LBB0_54:
	s_or_b64 exec, exec, s[4:5]
	v_add_u32_e32 v70, 0x100, v5
	v_cmp_lt_i32_e32 vcc, v70, v4
                                        ; implicit-def: $vgpr12_vgpr13
	s_and_saveexec_b64 s[4:5], vcc
	s_cbranch_execz .LBB0_76
; %bb.55:
	s_mov_b32 s2, 0
	s_mov_b32 s3, 0x40140000
	s_waitcnt vmcnt(0) lgkmcnt(0)
	v_cmp_ge_f64_e32 vcc, s[2:3], v[16:17]
                                        ; implicit-def: $vgpr12_vgpr13
	s_and_saveexec_b64 s[2:3], vcc
	s_xor_b64 s[2:3], exec, s[2:3]
	s_cbranch_execz .LBB0_65
; %bb.56:
	v_mov_b32_e32 v12, 0
	v_cmp_neq_f64_e32 vcc, 0, v[16:17]
	v_mov_b32_e32 v13, 0xfff00000
	s_and_saveexec_b64 s[6:7], vcc
	s_cbranch_execz .LBB0_64
; %bb.57:
	v_mov_b32_e32 v12, 0
	v_cmp_ngt_f64_e32 vcc, 0, v[16:17]
	v_mov_b32_e32 v13, 0x7ff80000
	s_and_saveexec_b64 s[8:9], vcc
	s_cbranch_execz .LBB0_63
; %bb.58:
	s_mov_b32 s10, 0x88e368f1
	v_mul_f64 v[12:13], v[16:17], v[16:17]
	s_mov_b32 s11, 0x3ee4f8b5
	v_mul_f64 v[50:51], v[12:13], 0
	v_cmp_ngt_f64_e32 vcc, s[10:11], v[16:17]
                                        ; implicit-def: $vgpr48_vgpr49
	s_and_saveexec_b64 s[10:11], vcc
	s_xor_b64 s[10:11], exec, s[10:11]
	s_cbranch_execz .LBB0_60
; %bb.59:
	s_mov_b32 s12, 0xad1c8325
	s_mov_b32 s13, 0xc1f1dc53
	v_add_f64 v[48:49], v[50:51], s[12:13]
	v_mov_b32_e32 v52, 0xc772990d
	v_mov_b32_e32 v53, 0x427c7751
	s_mov_b32 s12, 0xa696b78c
	v_fmac_f64_e32 v[52:53], v[12:13], v[48:49]
	v_mov_b32_e32 v48, 0xe0d900f7
	v_mov_b32_e32 v49, 0xc2ec5614
	s_mov_b32 s13, 0x407f3902
	v_fmac_f64_e32 v[48:49], v[12:13], v[52:53]
	v_add_f64 v[52:53], v[50:51], s[12:13]
	v_mov_b32_e32 v54, 0x36a21a67
	v_mov_b32_e32 v55, 0x410536cb
	v_fmac_f64_e32 v[54:55], v[12:13], v[52:53]
	v_mov_b32_e32 v52, 0x2eac0634
	v_mov_b32_e32 v53, 0x41871934
	v_fmac_f64_e32 v[52:53], v[12:13], v[54:55]
	;; [unrolled: 3-line block ×6, first 2 shown]
	v_mov_b32_e32 v54, 0xc7b662cc
	v_mov_b32_e32 v55, 0x43b7be34
	s_mov_b32 s12, 0x80462bbb
	v_fmac_f64_e32 v[54:55], v[12:13], v[52:53]
	v_mov_b32_e32 v52, 0x69ff5fb4
	v_mov_b32_e32 v53, 0x43413ef8
	s_mov_b32 s13, 0xc01721fb
	v_fmac_f64_e32 v[52:53], v[12:13], v[48:49]
	v_add_f64 v[48:49], v[12:13], s[12:13]
	s_mov_b32 s12, 0xa621dd6f
	s_mov_b32 s13, 0xc03e78a4
	v_add_f64 v[64:65], v[12:13], s[12:13]
	v_mul_f64 v[48:49], v[48:49], v[64:65]
	v_mul_f64 v[48:49], v[48:49], v[52:53]
	v_div_scale_f64 v[52:53], s[12:13], v[54:55], v[54:55], v[48:49]
	v_rcp_f64_e32 v[64:65], v[52:53]
	s_nop 0
	v_fma_f64 v[66:67], -v[52:53], v[64:65], 1.0
	v_fmac_f64_e32 v[64:65], v[64:65], v[66:67]
	v_fma_f64 v[66:67], -v[52:53], v[64:65], 1.0
	v_fmac_f64_e32 v[64:65], v[64:65], v[66:67]
	v_div_scale_f64 v[66:67], vcc, v[48:49], v[54:55], v[48:49]
	v_mul_f64 v[68:69], v[66:67], v[64:65]
	v_fma_f64 v[52:53], -v[52:53], v[68:69], v[66:67]
	s_nop 1
	v_div_fmas_f64 v[52:53], v[52:53], v[64:65], v[68:69]
	v_div_fixup_f64 v[48:49], v[52:53], v[54:55], v[48:49]
.LBB0_60:
	s_andn2_saveexec_b64 s[10:11], s[10:11]
; %bb.61:
	s_mov_b32 s12, 0
	s_mov_b32 s13, 0xbfd00000
	v_fma_f64 v[48:49], v[12:13], s[12:13], 1.0
; %bb.62:
	s_or_b64 exec, exec, s[10:11]
	s_mov_b32 s10, 0xe896898f
	s_mov_b32 s11, 0x40ce7437
	v_add_f64 v[52:53], v[50:51], s[10:11]
	v_mov_b32_e32 v54, 0x32e48896
	v_mov_b32_e32 v55, 0xc16bf81f
	v_fmac_f64_e32 v[54:55], v[12:13], v[52:53]
	v_mov_b32_e32 v52, 0xf0284cdd
	v_mov_b32_e32 v53, 0x41f43f78
	v_fmac_f64_e32 v[52:53], v[12:13], v[54:55]
	;; [unrolled: 3-line block ×4, first 2 shown]
	v_mov_b32_e32 v54, 0xd1d8cc02
	v_mov_b32_e32 v55, 0xc328a121
	s_mov_b32 s10, 0x576dfcb6
	v_fmac_f64_e32 v[54:55], v[12:13], v[52:53]
	v_mov_b32_e32 v52, 0x660b4003
	v_mov_b32_e32 v53, 0x4363a94b
	s_mov_b32 s11, 0x40904522
	v_fmac_f64_e32 v[52:53], v[12:13], v[54:55]
	v_add_f64 v[50:51], v[50:51], s[10:11]
	v_mov_b32_e32 v54, 0xa907bc0c
	v_mov_b32_e32 v55, 0x41231b76
	v_fmac_f64_e32 v[54:55], v[12:13], v[50:51]
	v_mov_b32_e32 v50, 0x5164d101
	v_mov_b32_e32 v51, 0x41b00763
	v_fmac_f64_e32 v[50:51], v[12:13], v[54:55]
	;; [unrolled: 3-line block ×7, first 2 shown]
	v_div_scale_f64 v[12:13], s[10:11], v[50:51], v[50:51], v[54:55]
	v_rcp_f64_e32 v[52:53], v[12:13]
	s_mov_b32 s10, 0x55555555
	v_frexp_exp_i32_f64_e32 v7, v[16:17]
	v_frexp_mant_f64_e32 v[16:17], v[16:17]
	v_fma_f64 v[64:65], -v[12:13], v[52:53], 1.0
	v_fmac_f64_e32 v[52:53], v[52:53], v[64:65]
	v_fma_f64 v[64:65], -v[12:13], v[52:53], 1.0
	v_fmac_f64_e32 v[52:53], v[52:53], v[64:65]
	v_div_scale_f64 v[64:65], vcc, v[54:55], v[50:51], v[54:55]
	v_mul_f64 v[66:67], v[64:65], v[52:53]
	v_fma_f64 v[12:13], -v[12:13], v[66:67], v[64:65]
	s_mov_b32 s11, 0x3fe55555
	s_nop 0
	v_div_fmas_f64 v[12:13], v[12:13], v[52:53], v[66:67]
	v_div_fixup_f64 v[12:13], v[12:13], v[50:51], v[54:55]
	v_mov_b32_e32 v50, 0x3ff00000
	v_cmp_gt_f64_e32 vcc, s[10:11], v[16:17]
	s_mov_b32 s10, 0xbf559e2b
	s_mov_b32 s11, 0x3fc3ab76
	v_cndmask_b32_e64 v51, v50, 2.0, vcc
	v_mov_b32_e32 v50, 0
	v_mul_f64 v[16:17], v[16:17], v[50:51]
	v_add_f64 v[50:51], v[16:17], 1.0
	v_rcp_f64_e32 v[52:53], v[50:51]
	v_add_f64 v[64:65], v[50:51], -1.0
	v_add_f64 v[54:55], v[16:17], -1.0
	v_add_f64 v[16:17], v[16:17], -v[64:65]
	v_fma_f64 v[64:65], -v[50:51], v[52:53], 1.0
	v_fmac_f64_e32 v[52:53], v[64:65], v[52:53]
	v_fma_f64 v[64:65], -v[50:51], v[52:53], 1.0
	v_fmac_f64_e32 v[52:53], v[64:65], v[52:53]
	v_mul_f64 v[64:65], v[54:55], v[52:53]
	v_mul_f64 v[66:67], v[50:51], v[64:65]
	v_fma_f64 v[50:51], v[64:65], v[50:51], -v[66:67]
	v_fmac_f64_e32 v[50:51], v[64:65], v[16:17]
	v_add_f64 v[16:17], v[66:67], v[50:51]
	v_add_f64 v[68:69], v[54:55], -v[16:17]
	v_add_f64 v[66:67], v[16:17], -v[66:67]
	;; [unrolled: 1-line block ×5, first 2 shown]
	v_add_f64 v[16:17], v[50:51], v[16:17]
	v_add_f64 v[16:17], v[68:69], v[16:17]
	v_mul_f64 v[16:17], v[52:53], v[16:17]
	v_add_f64 v[50:51], v[64:65], v[16:17]
	v_add_f64 v[52:53], v[50:51], -v[64:65]
	v_add_f64 v[16:17], v[16:17], -v[52:53]
	v_mul_f64 v[52:53], v[50:51], v[50:51]
	v_mov_b32_e32 v54, 0x6b47b09a
	v_mov_b32_e32 v55, 0x3fc38538
	v_fmac_f64_e32 v[54:55], s[10:11], v[52:53]
	v_mov_b32_e32 v64, 0xd7f4df2e
	v_mov_b32_e32 v65, 0x3fc7474d
	v_fmac_f64_e32 v[64:65], v[52:53], v[54:55]
	;; [unrolled: 3-line block ×6, first 2 shown]
	v_ldexp_f64 v[54:55], v[50:51], 1
	v_mul_f64 v[50:51], v[50:51], v[52:53]
	v_mul_f64 v[50:51], v[50:51], v[64:65]
	v_add_f64 v[52:53], v[54:55], v[50:51]
	v_add_f64 v[54:55], v[52:53], -v[54:55]
	v_ldexp_f64 v[16:17], v[16:17], 1
	v_add_f64 v[50:51], v[50:51], -v[54:55]
	v_add_f64 v[16:17], v[16:17], v[50:51]
	v_add_f64 v[50:51], v[52:53], v[16:17]
	v_subbrev_co_u32_e32 v7, vcc, 0, v7, vcc
	v_add_f64 v[52:53], v[50:51], -v[52:53]
	s_mov_b32 s10, 0xfefa39ef
	v_add_f64 v[16:17], v[16:17], -v[52:53]
	v_cvt_f64_i32_e32 v[52:53], v7
	s_mov_b32 s11, 0x3fe62e42
	v_mul_f64 v[54:55], v[52:53], s[10:11]
	v_fma_f64 v[64:65], v[52:53], s[10:11], -v[54:55]
	s_mov_b32 s10, 0x3b39803f
	s_mov_b32 s11, 0x3c7abc9e
	v_fmac_f64_e32 v[64:65], s[10:11], v[52:53]
	v_add_f64 v[52:53], v[54:55], v[64:65]
	v_add_f64 v[54:55], v[52:53], -v[54:55]
	v_add_f64 v[54:55], v[64:65], -v[54:55]
	v_add_f64 v[64:65], v[52:53], v[50:51]
	v_add_f64 v[66:67], v[64:65], -v[52:53]
	v_add_f64 v[68:69], v[64:65], -v[66:67]
	v_add_f64 v[52:53], v[52:53], -v[68:69]
	v_add_f64 v[50:51], v[50:51], -v[66:67]
	v_add_f64 v[50:51], v[50:51], v[52:53]
	v_add_f64 v[52:53], v[54:55], v[16:17]
	v_add_f64 v[66:67], v[52:53], -v[54:55]
	v_add_f64 v[68:69], v[52:53], -v[66:67]
	v_add_f64 v[50:51], v[52:53], v[50:51]
	v_add_f64 v[54:55], v[54:55], -v[68:69]
	v_add_f64 v[16:17], v[16:17], -v[66:67]
	v_add_f64 v[52:53], v[64:65], v[50:51]
	v_add_f64 v[16:17], v[16:17], v[54:55]
	v_add_f64 v[54:55], v[52:53], -v[64:65]
	v_add_f64 v[50:51], v[50:51], -v[54:55]
	v_add_f64 v[16:17], v[16:17], v[50:51]
	s_mov_b32 s10, 0x6dc9c883
	v_add_f64 v[16:17], v[52:53], v[16:17]
	s_mov_b32 s11, 0x3fe45f30
	v_mul_f64 v[16:17], v[16:17], s[10:11]
	v_fmac_f64_e32 v[12:13], v[16:17], v[48:49]
.LBB0_63:
	s_or_b64 exec, exec, s[8:9]
.LBB0_64:
	s_or_b64 exec, exec, s[6:7]
                                        ; implicit-def: $vgpr16_vgpr17
.LBB0_65:
	s_andn2_saveexec_b64 s[6:7], s[2:3]
	s_cbranch_execz .LBB0_75
; %bb.66:
	s_mov_b32 s11, 0xbfe921fb
	s_mov_b32 s10, 0x54442d18
	;; [unrolled: 1-line block ×3, first 2 shown]
	v_add_f64 v[12:13], v[16:17], s[10:11]
	s_mov_b32 s3, 0x41d00000
	v_cmp_nlt_f64_e64 s[8:9], |v[12:13]|, s[2:3]
	v_trig_preop_f64 v[68:69], |v[12:13]|, 0
	v_trig_preop_f64 v[66:67], |v[12:13]|, 1
	;; [unrolled: 1-line block ×3, first 2 shown]
                                        ; implicit-def: $vgpr7
                                        ; implicit-def: $vgpr48_vgpr49
                                        ; implicit-def: $vgpr50_vgpr51
	s_and_saveexec_b64 s[2:3], s[8:9]
	s_xor_b64 s[12:13], exec, s[2:3]
	s_cbranch_execz .LBB0_68
; %bb.67:
	s_mov_b32 s2, 0
	s_mov_b32 s3, 0x7b000000
	s_movk_i32 s11, 0xff80
	v_and_b32_e32 v7, 0x7fffffff, v13
	v_ldexp_f64 v[48:49], |v[12:13]|, s11
	v_cmp_ge_f64_e64 vcc, |v[12:13]|, s[2:3]
	s_mov_b32 s2, 0
	s_mov_b32 s3, 0x7ff00000
	v_cndmask_b32_e32 v49, v7, v49, vcc
	v_cndmask_b32_e32 v48, v12, v48, vcc
	v_mul_f64 v[52:53], v[68:69], v[48:49]
	v_mul_f64 v[50:51], v[66:67], v[48:49]
	v_fma_f64 v[54:55], v[68:69], v[48:49], -v[52:53]
	v_add_f64 v[80:81], v[50:51], v[54:55]
	v_add_f64 v[82:83], v[52:53], v[80:81]
	v_ldexp_f64 v[84:85], v[82:83], -2
	v_fract_f64_e32 v[86:87], v[84:85]
	v_cmp_neq_f64_e64 vcc, |v[84:85]|, s[2:3]
	v_add_f64 v[52:53], v[82:83], -v[52:53]
	v_add_f64 v[52:53], v[80:81], -v[52:53]
	v_cndmask_b32_e32 v85, 0, v87, vcc
	v_cndmask_b32_e32 v84, 0, v86, vcc
	v_add_f64 v[86:87], v[80:81], -v[50:51]
	v_add_f64 v[54:55], v[54:55], -v[86:87]
	;; [unrolled: 1-line block ×4, first 2 shown]
	v_add_f64 v[54:55], v[54:55], v[86:87]
	v_fma_f64 v[50:51], v[66:67], v[48:49], -v[50:51]
	v_mul_f64 v[86:87], v[64:65], v[48:49]
	v_add_f64 v[98:99], v[86:87], v[50:51]
	v_add_f64 v[100:101], v[98:99], v[54:55]
	v_add_f64 v[82:83], v[100:101], -v[98:99]
	v_add_f64 v[54:55], v[54:55], -v[82:83]
	;; [unrolled: 1-line block ×4, first 2 shown]
	v_add_f64 v[54:55], v[54:55], v[82:83]
	v_add_f64 v[82:83], v[98:99], -v[86:87]
	v_add_f64 v[50:51], v[50:51], -v[82:83]
	;; [unrolled: 1-line block ×4, first 2 shown]
	v_add_f64 v[80:81], v[52:53], v[100:101]
	v_add_f64 v[50:51], v[50:51], v[82:83]
	v_add_f64 v[52:53], v[80:81], -v[52:53]
	v_add_f64 v[50:51], v[50:51], v[54:55]
	v_fma_f64 v[48:49], v[64:65], v[48:49], -v[86:87]
	v_add_f64 v[52:53], v[100:101], -v[52:53]
	v_add_f64 v[48:49], v[48:49], v[50:51]
	v_ldexp_f64 v[50:51], v[84:85], 2
	v_add_f64 v[48:49], v[52:53], v[48:49]
	v_add_f64 v[52:53], v[80:81], v[50:51]
	v_mov_b32_e32 v7, 0x40100000
	v_cmp_gt_f64_e32 vcc, 0, v[52:53]
	v_mov_b32_e32 v96, 0
	s_mov_b32 s11, 0x3ff921fb
	v_cndmask_b32_e32 v97, 0, v7, vcc
	v_add_f64 v[50:51], v[50:51], v[96:97]
	v_add_f64 v[52:53], v[80:81], v[50:51]
	v_cvt_i32_f64_e32 v7, v[52:53]
	v_cvt_f64_i32_e32 v[52:53], v7
	v_add_f64 v[50:51], v[50:51], -v[52:53]
	v_add_f64 v[52:53], v[80:81], v[50:51]
	v_add_f64 v[50:51], v[52:53], -v[50:51]
	v_add_f64 v[50:51], v[80:81], -v[50:51]
	v_add_f64 v[48:49], v[48:49], v[50:51]
	v_cmp_le_f64_e32 vcc, 0.5, v[52:53]
	v_mov_b32_e32 v50, 0x3ff00000
	s_nop 0
	v_cndmask_b32_e32 v97, 0, v50, vcc
	v_add_f64 v[50:51], v[52:53], -v[96:97]
	v_add_f64 v[52:53], v[50:51], v[48:49]
	v_addc_co_u32_e64 v7, s[2:3], 0, v7, vcc
	v_add_f64 v[50:51], v[52:53], -v[50:51]
	v_add_f64 v[48:49], v[48:49], -v[50:51]
	v_mul_f64 v[50:51], v[52:53], s[10:11]
	s_mov_b32 s2, 0x33145c07
	v_fma_f64 v[54:55], v[52:53], s[10:11], -v[50:51]
	s_mov_b32 s3, 0x3c91a626
	v_fmac_f64_e32 v[54:55], s[2:3], v[52:53]
	v_fmac_f64_e32 v[54:55], s[10:11], v[48:49]
	v_add_f64 v[48:49], v[50:51], v[54:55]
	v_add_f64 v[50:51], v[48:49], -v[50:51]
	v_add_f64 v[50:51], v[54:55], -v[50:51]
	s_andn2_saveexec_b64 s[2:3], s[12:13]
	s_cbranch_execz .LBB0_70
	s_branch .LBB0_69
.LBB0_68:
	s_andn2_saveexec_b64 s[2:3], s[12:13]
	s_cbranch_execz .LBB0_70
.LBB0_69:
	s_mov_b32 s10, 0x6dc9c883
	s_mov_b32 s11, 0x3fe45f30
	v_mul_f64 v[48:49], |v[12:13]|, s[10:11]
	s_mov_b32 s10, 0x54442d18
	v_rndne_f64_e32 v[52:53], v[48:49]
	s_mov_b32 s11, 0xbff921fb
	v_fma_f64 v[48:49], v[52:53], s[10:11], |v[12:13]|
	s_mov_b32 s11, 0xbc91a626
	s_mov_b32 s10, 0x33145c00
	v_mul_f64 v[54:55], v[52:53], s[10:11]
	v_add_f64 v[82:83], v[48:49], v[54:55]
	v_fma_f64 v[50:51], s[10:11], v[52:53], v[48:49]
	s_mov_b32 s11, 0x3c91a626
	v_add_f64 v[48:49], v[48:49], -v[82:83]
	v_fma_f64 v[80:81], s[10:11], v[52:53], v[54:55]
	v_add_f64 v[48:49], v[48:49], v[54:55]
	v_add_f64 v[54:55], v[82:83], -v[50:51]
	v_add_f64 v[48:49], v[54:55], v[48:49]
	s_mov_b32 s10, 0x252049c0
	v_add_f64 v[54:55], v[48:49], -v[80:81]
	s_mov_b32 s11, 0xb97b839a
	v_fmac_f64_e32 v[54:55], s[10:11], v[52:53]
	v_add_f64 v[48:49], v[50:51], v[54:55]
	v_add_f64 v[50:51], v[48:49], -v[50:51]
	v_add_f64 v[50:51], v[54:55], -v[50:51]
	v_cvt_i32_f64_e32 v7, v[52:53]
.LBB0_70:
	s_or_b64 exec, exec, s[2:3]
                                        ; implicit-def: $vgpr71
                                        ; implicit-def: $vgpr52_vgpr53
                                        ; implicit-def: $vgpr54_vgpr55
	s_and_saveexec_b64 s[2:3], s[8:9]
	s_xor_b64 s[8:9], exec, s[2:3]
	s_cbranch_execz .LBB0_72
; %bb.71:
	s_mov_b32 s2, 0
	s_mov_b32 s3, 0x7b000000
	s_movk_i32 s10, 0xff80
	v_and_b32_e32 v54, 0x7fffffff, v13
	v_ldexp_f64 v[52:53], |v[12:13]|, s10
	v_cmp_ge_f64_e64 vcc, |v[12:13]|, s[2:3]
	s_mov_b32 s2, 0
	s_mov_b32 s3, 0x7ff00000
	v_cndmask_b32_e32 v53, v54, v53, vcc
	v_cndmask_b32_e32 v52, v12, v52, vcc
	v_mul_f64 v[80:81], v[68:69], v[52:53]
	v_mul_f64 v[54:55], v[66:67], v[52:53]
	v_fma_f64 v[68:69], v[68:69], v[52:53], -v[80:81]
	v_add_f64 v[82:83], v[54:55], v[68:69]
	v_add_f64 v[84:85], v[80:81], v[82:83]
	v_ldexp_f64 v[86:87], v[84:85], -2
	v_fract_f64_e32 v[96:97], v[86:87]
	v_cmp_neq_f64_e64 vcc, |v[86:87]|, s[2:3]
	v_add_f64 v[80:81], v[84:85], -v[80:81]
	v_add_f64 v[80:81], v[82:83], -v[80:81]
	v_cndmask_b32_e32 v87, 0, v97, vcc
	v_cndmask_b32_e32 v86, 0, v96, vcc
	v_add_f64 v[96:97], v[82:83], -v[54:55]
	v_add_f64 v[68:69], v[68:69], -v[96:97]
	;; [unrolled: 1-line block ×4, first 2 shown]
	v_fma_f64 v[54:55], v[66:67], v[52:53], -v[54:55]
	v_mul_f64 v[66:67], v[64:65], v[52:53]
	v_add_f64 v[68:69], v[68:69], v[96:97]
	v_add_f64 v[96:97], v[66:67], v[54:55]
	;; [unrolled: 1-line block ×3, first 2 shown]
	v_add_f64 v[84:85], v[100:101], -v[96:97]
	v_add_f64 v[68:69], v[68:69], -v[84:85]
	v_add_f64 v[84:85], v[100:101], -v[84:85]
	v_add_f64 v[84:85], v[96:97], -v[84:85]
	v_add_f64 v[68:69], v[68:69], v[84:85]
	v_add_f64 v[84:85], v[96:97], -v[66:67]
	v_add_f64 v[54:55], v[54:55], -v[84:85]
	;; [unrolled: 1-line block ×4, first 2 shown]
	v_add_f64 v[54:55], v[54:55], v[84:85]
	v_add_f64 v[54:55], v[54:55], v[68:69]
	v_fma_f64 v[52:53], v[64:65], v[52:53], -v[66:67]
	v_add_f64 v[82:83], v[80:81], v[100:101]
	v_add_f64 v[52:53], v[52:53], v[54:55]
	v_ldexp_f64 v[54:55], v[86:87], 2
	v_add_f64 v[64:65], v[82:83], v[54:55]
	v_mov_b32_e32 v66, 0x40100000
	v_cmp_gt_f64_e32 vcc, 0, v[64:65]
	v_mov_b32_e32 v98, 0
	v_add_f64 v[80:81], v[82:83], -v[80:81]
	v_cndmask_b32_e32 v99, 0, v66, vcc
	v_add_f64 v[54:55], v[54:55], v[98:99]
	v_add_f64 v[64:65], v[82:83], v[54:55]
	v_cvt_i32_f64_e32 v66, v[64:65]
	v_cvt_f64_i32_e32 v[64:65], v66
	v_add_f64 v[54:55], v[54:55], -v[64:65]
	v_add_f64 v[64:65], v[82:83], v[54:55]
	v_add_f64 v[80:81], v[100:101], -v[80:81]
	v_add_f64 v[54:55], v[64:65], -v[54:55]
	v_add_f64 v[52:53], v[80:81], v[52:53]
	v_add_f64 v[54:55], v[82:83], -v[54:55]
	v_add_f64 v[52:53], v[52:53], v[54:55]
	v_cmp_le_f64_e32 vcc, 0.5, v[64:65]
	v_mov_b32_e32 v54, 0x3ff00000
	s_mov_b32 s10, 0x33145c07
	v_cndmask_b32_e32 v99, 0, v54, vcc
	v_addc_co_u32_e64 v71, s[2:3], 0, v66, vcc
	v_add_f64 v[54:55], v[64:65], -v[98:99]
	v_add_f64 v[64:65], v[54:55], v[52:53]
	s_mov_b32 s2, 0x54442d18
	v_add_f64 v[54:55], v[64:65], -v[54:55]
	s_mov_b32 s3, 0x3ff921fb
	v_add_f64 v[52:53], v[52:53], -v[54:55]
	v_mul_f64 v[54:55], v[64:65], s[2:3]
	v_fma_f64 v[66:67], v[64:65], s[2:3], -v[54:55]
	s_mov_b32 s11, 0x3c91a626
	v_fmac_f64_e32 v[66:67], s[10:11], v[64:65]
	v_fmac_f64_e32 v[66:67], s[2:3], v[52:53]
	v_add_f64 v[52:53], v[54:55], v[66:67]
	v_add_f64 v[54:55], v[52:53], -v[54:55]
	v_add_f64 v[54:55], v[66:67], -v[54:55]
	s_andn2_saveexec_b64 s[2:3], s[8:9]
	s_cbranch_execnz .LBB0_73
	s_branch .LBB0_74
.LBB0_72:
	s_andn2_saveexec_b64 s[2:3], s[8:9]
	s_cbranch_execz .LBB0_74
.LBB0_73:
	s_mov_b32 s8, 0x6dc9c883
	s_mov_b32 s9, 0x3fe45f30
	v_mul_f64 v[52:53], |v[12:13]|, s[8:9]
	s_mov_b32 s8, 0x54442d18
	v_rndne_f64_e32 v[64:65], v[52:53]
	s_mov_b32 s9, 0xbff921fb
	v_fma_f64 v[52:53], v[64:65], s[8:9], |v[12:13]|
	s_mov_b32 s9, 0xbc91a626
	s_mov_b32 s8, 0x33145c00
	v_mul_f64 v[66:67], v[64:65], s[8:9]
	v_add_f64 v[80:81], v[52:53], v[66:67]
	v_fma_f64 v[54:55], s[8:9], v[64:65], v[52:53]
	s_mov_b32 s9, 0x3c91a626
	v_add_f64 v[52:53], v[52:53], -v[80:81]
	v_fma_f64 v[68:69], s[8:9], v[64:65], v[66:67]
	v_add_f64 v[52:53], v[52:53], v[66:67]
	v_add_f64 v[66:67], v[80:81], -v[54:55]
	v_add_f64 v[52:53], v[66:67], v[52:53]
	s_mov_b32 s8, 0x252049c0
	v_add_f64 v[66:67], v[52:53], -v[68:69]
	s_mov_b32 s9, 0xb97b839a
	v_fmac_f64_e32 v[66:67], s[8:9], v[64:65]
	v_add_f64 v[52:53], v[54:55], v[66:67]
	v_add_f64 v[54:55], v[52:53], -v[54:55]
	v_add_f64 v[54:55], v[66:67], -v[54:55]
	v_cvt_i32_f64_e32 v71, v[64:65]
.LBB0_74:
	s_or_b64 exec, exec, s[2:3]
	s_mov_b32 s2, 0
	v_mul_f64 v[64:65], v[16:17], v[16:17]
	s_mov_b32 s3, 0x40390000
	v_div_scale_f64 v[66:67], s[8:9], v[64:65], v[64:65], s[2:3]
	v_rcp_f64_e32 v[68:69], v[66:67]
	v_mov_b32_e32 v84, 0xb1759c7f
	v_mov_b32_e32 v85, 0x408ac370
	;; [unrolled: 1-line block ×3, first 2 shown]
	v_fma_f64 v[80:81], -v[66:67], v[68:69], 1.0
	v_fmac_f64_e32 v[68:69], v[68:69], v[80:81]
	v_fma_f64 v[80:81], -v[66:67], v[68:69], 1.0
	v_fmac_f64_e32 v[68:69], v[68:69], v[80:81]
	v_div_scale_f64 v[80:81], vcc, s[2:3], v[64:65], s[2:3]
	v_mul_f64 v[82:83], v[80:81], v[68:69]
	v_fma_f64 v[66:67], -v[66:67], v[82:83], v[80:81]
	v_mov_b32_e32 v80, 0xab5454e3
	s_nop 0
	v_div_fmas_f64 v[66:67], v[66:67], v[68:69], v[82:83]
	v_div_fixup_f64 v[64:65], v[66:67], v[64:65], s[2:3]
	v_mov_b32_e32 v66, 0x983b6b27
	v_mov_b32_e32 v67, 0x3f4a1d30
	v_fmac_f64_e32 v[66:67], 0, v[64:65]
	v_mov_b32_e32 v68, 0xb35dd1cf
	v_mov_b32_e32 v69, 0x3fb534b0
	v_fmac_f64_e32 v[68:69], v[64:65], v[66:67]
	v_mov_b32_e32 v66, 0x4e680b98
	v_mov_b32_e32 v67, 0x3ff3d521
	v_fmac_f64_e32 v[66:67], v[64:65], v[68:69]
	v_mov_b32_e32 v68, 0xe97a0956
	v_mov_b32_e32 v69, 0x4015c9fb
	v_fmac_f64_e32 v[68:69], v[64:65], v[66:67]
	v_mov_b32_e32 v66, 0x69409888
	v_mov_b32_e32 v67, 0x40217e8c
	v_fmac_f64_e32 v[66:67], v[64:65], v[68:69]
	v_mov_b32_e32 v68, 0xa59425a1
	v_mov_b32_e32 v69, 0x40153684
	v_fmac_f64_e32 v[68:69], v[64:65], v[66:67]
	v_mov_b32_e32 v66, 0xce039737
	v_mov_b32_e32 v67, 0x3f4e4a80
	v_fmac_f64_e32 v[66:67], 0, v[64:65]
	v_mov_b32_e32 v81, 0x3fb5ebc5
	v_fmac_f64_e32 v[80:81], v[64:65], v[66:67]
	v_mov_b32_e32 v66, 0xc9b3069f
	v_mov_b32_e32 v67, 0x3ff40e72
	v_fmac_f64_e32 v[66:67], v[64:65], v[80:81]
	v_mov_b32_e32 v80, 0xe68162bb
	v_mov_b32_e32 v81, 0x4015e247
	v_fmac_f64_e32 v[80:81], v[64:65], v[66:67]
	v_mov_b32_e32 v66, 0xea1b21a1
	v_mov_b32_e32 v67, 0x40218618
	v_fmac_f64_e32 v[66:67], v[64:65], v[80:81]
	v_mov_b32_e32 v80, 0xed423a19
	v_mov_b32_e32 v81, 0x40153965
	v_fmac_f64_e32 v[80:81], v[64:65], v[66:67]
	v_fma_f64 v[66:67], v[64:65], v[80:81], 1.0
	v_mov_b32_e32 v80, 0x38a5384a
	v_mov_b32_e32 v81, 0xbf874742
	v_fmac_f64_e32 v[80:81], 0, v[64:65]
	v_mov_b32_e32 v82, 0x3a321174
	v_mov_b32_e32 v83, 0xbff4853b
	v_fmac_f64_e32 v[82:83], v[64:65], v[80:81]
	;; [unrolled: 3-line block ×9, first 2 shown]
	v_fmac_f64_e32 v[84:85], v[64:65], v[80:81]
	v_mov_b32_e32 v80, 0xbd748cb5
	v_mov_b32_e32 v81, 0x40ae54cd
	v_fmac_f64_e32 v[80:81], v[64:65], v[84:85]
	v_mov_b32_e32 v84, 0xbdefd63e
	v_mov_b32_e32 v85, 0x40bc4877
	;; [unrolled: 3-line block ×4, first 2 shown]
	v_fma_f64 v[68:69], v[64:65], v[68:69], 1.0
	v_fmac_f64_e32 v[84:85], v[64:65], v[80:81]
	v_div_scale_f64 v[80:81], s[2:3], v[66:67], v[66:67], v[68:69]
	v_rcp_f64_e32 v[86:87], v[80:81]
	v_mov_b32_e32 v97, 0x406e402f
	v_fmac_f64_e32 v[96:97], v[64:65], v[84:85]
	s_mov_b32 s2, 0x9037ab78
	v_fma_f64 v[64:65], -v[80:81], v[86:87], 1.0
	v_fmac_f64_e32 v[86:87], v[86:87], v[64:65]
	v_fma_f64 v[64:65], -v[80:81], v[86:87], 1.0
	v_fmac_f64_e32 v[86:87], v[86:87], v[64:65]
	v_div_scale_f64 v[64:65], vcc, v[68:69], v[66:67], v[68:69]
	v_mul_f64 v[84:85], v[64:65], v[86:87]
	v_fma_f64 v[64:65], -v[80:81], v[84:85], v[64:65]
	s_mov_b32 s3, 0x3e21eeb6
	s_nop 0
	v_div_fmas_f64 v[64:65], v[64:65], v[86:87], v[84:85]
	s_mov_b32 s8, 0x46cc5e42
	v_div_fixup_f64 v[64:65], v[64:65], v[66:67], v[68:69]
	v_mul_f64 v[66:67], v[48:49], v[48:49]
	s_mov_b32 s9, 0xbda907db
	v_mov_b64_e32 v[86:87], s[2:3]
	s_mov_b32 s10, 0xa17f65f6
	v_mul_f64 v[68:69], v[66:67], 0.5
	v_fma_f64 v[98:99], s[8:9], v[66:67], v[86:87]
	s_mov_b32 s11, 0xbe927e4f
	s_mov_b32 s12, 0x19f4ec90
	v_add_f64 v[80:81], -v[68:69], 1.0
	v_fma_f64 v[98:99], v[66:67], v[98:99], s[10:11]
	s_mov_b32 s13, 0x3efa01a0
	s_mov_b32 s14, 0x16c16967
	v_add_f64 v[84:85], -v[80:81], 1.0
	v_fma_f64 v[98:99], v[66:67], v[98:99], s[12:13]
	s_mov_b32 s15, 0xbf56c16c
	s_mov_b32 s16, 0x55555555
	v_add_f64 v[68:69], v[84:85], -v[68:69]
	v_fma_f64 v[98:99], v[66:67], v[98:99], s[14:15]
	s_mov_b32 s17, 0x3fa55555
	v_mul_f64 v[84:85], v[66:67], v[66:67]
	v_fma_f64 v[98:99], v[66:67], v[98:99], s[16:17]
	v_fma_f64 v[68:69], v[48:49], -v[50:51], v[68:69]
	s_mov_b32 s2, 0xb42fdfa7
	v_fmac_f64_e32 v[68:69], v[84:85], v[98:99]
	s_mov_b32 s3, 0xbe5ae600
	s_mov_b32 s18, 0xf9a43bb8
	v_add_f64 v[68:69], v[80:81], v[68:69]
	s_mov_b32 s19, 0x3de5e0b2
	v_mov_b64_e32 v[80:81], s[2:3]
	s_mov_b32 s22, 0x796cde01
	v_fma_f64 v[84:85], s[18:19], v[66:67], v[80:81]
	s_mov_b32 s23, 0x3ec71de3
	s_mov_b32 s24, 0x19e83e5c
	v_fma_f64 v[84:85], v[66:67], v[84:85], s[22:23]
	s_mov_b32 s25, 0xbf2a01a0
	;; [unrolled: 3-line block ×3, first 2 shown]
	v_fma_f64 v[84:85], v[66:67], v[84:85], s[26:27]
	v_mul_f64 v[98:99], v[48:49], -v[66:67]
	v_mul_f64 v[100:101], v[50:51], 0.5
	v_fmac_f64_e32 v[100:101], v[98:99], v[84:85]
	v_fma_f64 v[50:51], v[66:67], v[100:101], -v[50:51]
	s_mov_b32 s29, 0xbfc55555
	s_mov_b32 s28, s16
	v_fmac_f64_e32 v[50:51], s[28:29], v[98:99]
	v_add_f64 v[48:49], v[48:49], -v[50:51]
	v_and_b32_e32 v50, 1, v7
	v_lshlrev_b32_e32 v7, 30, v7
	v_cmp_eq_u32_e32 vcc, 0, v50
	v_xor_b32_e32 v7, v7, v13
	s_mov_b32 s30, 0
	v_cndmask_b32_e32 v66, v68, v48, vcc
	v_cndmask_b32_e32 v48, v69, v49, vcc
	v_and_b32_e32 v7, 0x80000000, v7
	s_mov_b32 s31, 0x40140000
	v_xor_b32_e32 v7, v48, v7
	v_div_scale_f64 v[48:49], s[2:3], v[16:17], v[16:17], s[30:31]
	v_rcp_f64_e32 v[50:51], v[48:49]
	s_movk_i32 s21, 0x1f8
	v_cmp_class_f64_e64 s[2:3], v[12:13], s21
	v_mov_b32_e32 v98, 0x7ff80000
	s_nop 0
	v_cndmask_b32_e64 v12, 0, v66, s[2:3]
	v_fma_f64 v[66:67], -v[48:49], v[50:51], 1.0
	v_fmac_f64_e32 v[50:51], v[50:51], v[66:67]
	v_fma_f64 v[66:67], -v[48:49], v[50:51], 1.0
	v_fmac_f64_e32 v[50:51], v[50:51], v[66:67]
	v_div_scale_f64 v[66:67], vcc, s[30:31], v[16:17], s[30:31]
	v_mul_f64 v[68:69], v[66:67], v[50:51]
	v_fma_f64 v[48:49], -v[48:49], v[68:69], v[66:67]
	v_div_scale_f64 v[66:67], s[34:35], v[96:97], v[96:97], v[82:83]
	v_rcp_f64_e32 v[84:85], v[66:67]
	v_div_fmas_f64 v[48:49], v[48:49], v[50:51], v[68:69]
	v_div_fixup_f64 v[48:49], v[48:49], v[16:17], s[30:31]
	v_cndmask_b32_e64 v13, v98, v7, s[2:3]
	v_fma_f64 v[50:51], -v[66:67], v[84:85], 1.0
	v_fmac_f64_e32 v[84:85], v[84:85], v[50:51]
	v_fma_f64 v[50:51], -v[66:67], v[84:85], 1.0
	v_fmac_f64_e32 v[84:85], v[84:85], v[50:51]
	v_div_scale_f64 v[50:51], vcc, v[82:83], v[96:97], v[82:83]
	v_mul_f64 v[68:69], v[50:51], v[84:85]
	v_fma_f64 v[50:51], -v[66:67], v[68:69], v[50:51]
	s_nop 1
	v_div_fmas_f64 v[50:51], v[50:51], v[84:85], v[68:69]
	v_div_fixup_f64 v[50:51], v[50:51], v[96:97], v[82:83]
	v_mul_f64 v[48:49], v[48:49], v[50:51]
	v_mul_f64 v[50:51], v[52:53], v[52:53]
	v_mul_f64 v[66:67], v[50:51], 0.5
	v_fmac_f64_e32 v[86:87], s[8:9], v[50:51]
	v_add_f64 v[68:69], -v[66:67], 1.0
	v_fma_f64 v[84:85], v[50:51], v[86:87], s[10:11]
	v_add_f64 v[82:83], -v[68:69], 1.0
	v_fma_f64 v[84:85], v[50:51], v[84:85], s[12:13]
	v_add_f64 v[66:67], v[82:83], -v[66:67]
	v_fma_f64 v[84:85], v[50:51], v[84:85], s[14:15]
	v_mul_f64 v[82:83], v[50:51], v[50:51]
	v_fma_f64 v[84:85], v[50:51], v[84:85], s[16:17]
	v_fma_f64 v[66:67], v[52:53], -v[54:55], v[66:67]
	v_fmac_f64_e32 v[66:67], v[82:83], v[84:85]
	v_fmac_f64_e32 v[80:81], s[18:19], v[50:51]
	v_add_f64 v[66:67], v[68:69], v[66:67]
	v_fma_f64 v[68:69], v[50:51], v[80:81], s[22:23]
	v_fma_f64 v[68:69], v[50:51], v[68:69], s[24:25]
	;; [unrolled: 1-line block ×3, first 2 shown]
	v_mul_f64 v[80:81], v[52:53], -v[50:51]
	v_mul_f64 v[82:83], v[54:55], 0.5
	v_fmac_f64_e32 v[82:83], v[80:81], v[68:69]
	v_fma_f64 v[50:51], v[50:51], v[82:83], -v[54:55]
	v_fmac_f64_e32 v[50:51], s[28:29], v[80:81]
	v_add_f64 v[50:51], v[52:53], -v[50:51]
	v_xor_b32_e32 v7, 0x80000000, v51
	v_and_b32_e32 v51, 1, v71
	v_cmp_eq_u32_e32 vcc, 0, v51
	v_lshlrev_b32_e32 v51, 30, v71
	v_and_b32_e32 v51, 0x80000000, v51
	v_cndmask_b32_e32 v7, v7, v67, vcc
	v_cndmask_b32_e32 v50, v50, v66, vcc
	v_xor_b32_e32 v7, v7, v51
	v_cndmask_b32_e64 v50, 0, v50, s[2:3]
	v_cndmask_b32_e64 v51, v98, v7, s[2:3]
	s_mov_b32 s2, 0
	s_brev_b32 s3, 8
	v_cmp_gt_f64_e32 vcc, s[2:3], v[16:17]
	v_mul_f64 v[48:49], v[48:49], v[50:51]
	v_fmac_f64_e32 v[48:49], v[64:65], v[12:13]
	v_cndmask_b32_e64 v7, 0, 1, vcc
	v_lshlrev_b32_e32 v7, 8, v7
	v_ldexp_f64 v[12:13], v[16:17], v7
	v_rsq_f64_e32 v[16:17], v[12:13]
	v_mov_b32_e32 v7, 0xffffff80
	v_cndmask_b32_e32 v7, 0, v7, vcc
	s_mov_b32 s2, 0x33d43651
	v_mul_f64 v[50:51], v[12:13], v[16:17]
	v_mul_f64 v[16:17], v[16:17], 0.5
	v_fma_f64 v[52:53], -v[16:17], v[50:51], 0.5
	v_fmac_f64_e32 v[50:51], v[50:51], v[52:53]
	v_fma_f64 v[54:55], -v[50:51], v[50:51], v[12:13]
	v_fmac_f64_e32 v[16:17], v[16:17], v[52:53]
	v_fmac_f64_e32 v[50:51], v[54:55], v[16:17]
	v_fma_f64 v[52:53], -v[50:51], v[50:51], v[12:13]
	v_fmac_f64_e32 v[50:51], v[52:53], v[16:17]
	v_ldexp_f64 v[16:17], v[50:51], v7
	v_mov_b32_e32 v7, 0x260
	s_mov_b32 s3, 0x3fe98845
	v_cmp_class_f64_e32 vcc, v[12:13], v7
	v_mul_f64 v[48:49], v[48:49], s[2:3]
	s_nop 0
	v_cndmask_b32_e32 v13, v17, v13, vcc
	v_cndmask_b32_e32 v12, v16, v12, vcc
	v_div_scale_f64 v[16:17], s[2:3], v[12:13], v[12:13], v[48:49]
	v_rcp_f64_e32 v[50:51], v[16:17]
	s_nop 0
	v_fma_f64 v[52:53], -v[16:17], v[50:51], 1.0
	v_fmac_f64_e32 v[50:51], v[50:51], v[52:53]
	v_fma_f64 v[52:53], -v[16:17], v[50:51], 1.0
	v_fmac_f64_e32 v[50:51], v[50:51], v[52:53]
	v_div_scale_f64 v[52:53], vcc, v[48:49], v[12:13], v[48:49]
	v_mul_f64 v[54:55], v[52:53], v[50:51]
	v_fma_f64 v[16:17], -v[16:17], v[54:55], v[52:53]
	s_nop 1
	v_div_fmas_f64 v[16:17], v[16:17], v[50:51], v[54:55]
	v_div_fixup_f64 v[12:13], v[16:17], v[12:13], v[48:49]
.LBB0_75:
	s_or_b64 exec, exec, s[6:7]
.LBB0_76:
	s_or_b64 exec, exec, s[4:5]
	v_add_u32_e32 v7, 0x200, v5
	v_cmp_lt_i32_e32 vcc, v7, v4
                                        ; implicit-def: $vgpr16_vgpr17
	s_and_saveexec_b64 s[4:5], vcc
	s_cbranch_execz .LBB0_98
; %bb.77:
	s_mov_b32 s2, 0
	s_mov_b32 s3, 0x40140000
	s_waitcnt vmcnt(0) lgkmcnt(0)
	v_cmp_ge_f64_e32 vcc, s[2:3], v[20:21]
                                        ; implicit-def: $vgpr16_vgpr17
	s_and_saveexec_b64 s[2:3], vcc
	s_xor_b64 s[2:3], exec, s[2:3]
	s_cbranch_execz .LBB0_87
; %bb.78:
	v_mov_b32_e32 v16, 0
	v_cmp_neq_f64_e32 vcc, 0, v[20:21]
	v_mov_b32_e32 v17, 0xfff00000
	s_and_saveexec_b64 s[6:7], vcc
	s_cbranch_execz .LBB0_86
; %bb.79:
	v_mov_b32_e32 v16, 0
	v_cmp_ngt_f64_e32 vcc, 0, v[20:21]
	v_mov_b32_e32 v17, 0x7ff80000
	s_and_saveexec_b64 s[8:9], vcc
	s_cbranch_execz .LBB0_85
; %bb.80:
	s_mov_b32 s10, 0x88e368f1
	v_mul_f64 v[16:17], v[20:21], v[20:21]
	s_mov_b32 s11, 0x3ee4f8b5
	v_mul_f64 v[50:51], v[16:17], 0
	v_cmp_ngt_f64_e32 vcc, s[10:11], v[20:21]
                                        ; implicit-def: $vgpr48_vgpr49
	s_and_saveexec_b64 s[10:11], vcc
	s_xor_b64 s[10:11], exec, s[10:11]
	s_cbranch_execz .LBB0_82
; %bb.81:
	s_mov_b32 s12, 0xad1c8325
	s_mov_b32 s13, 0xc1f1dc53
	v_add_f64 v[48:49], v[50:51], s[12:13]
	v_mov_b32_e32 v52, 0xc772990d
	v_mov_b32_e32 v53, 0x427c7751
	s_mov_b32 s12, 0xa696b78c
	v_fmac_f64_e32 v[52:53], v[16:17], v[48:49]
	v_mov_b32_e32 v48, 0xe0d900f7
	v_mov_b32_e32 v49, 0xc2ec5614
	s_mov_b32 s13, 0x407f3902
	v_fmac_f64_e32 v[48:49], v[16:17], v[52:53]
	v_add_f64 v[52:53], v[50:51], s[12:13]
	v_mov_b32_e32 v54, 0x36a21a67
	v_mov_b32_e32 v55, 0x410536cb
	v_fmac_f64_e32 v[54:55], v[16:17], v[52:53]
	v_mov_b32_e32 v52, 0x2eac0634
	v_mov_b32_e32 v53, 0x41871934
	v_fmac_f64_e32 v[52:53], v[16:17], v[54:55]
	;; [unrolled: 3-line block ×6, first 2 shown]
	v_mov_b32_e32 v54, 0xc7b662cc
	v_mov_b32_e32 v55, 0x43b7be34
	s_mov_b32 s12, 0x80462bbb
	v_fmac_f64_e32 v[54:55], v[16:17], v[52:53]
	v_mov_b32_e32 v52, 0x69ff5fb4
	v_mov_b32_e32 v53, 0x43413ef8
	s_mov_b32 s13, 0xc01721fb
	v_fmac_f64_e32 v[52:53], v[16:17], v[48:49]
	v_add_f64 v[48:49], v[16:17], s[12:13]
	s_mov_b32 s12, 0xa621dd6f
	s_mov_b32 s13, 0xc03e78a4
	v_add_f64 v[64:65], v[16:17], s[12:13]
	v_mul_f64 v[48:49], v[48:49], v[64:65]
	v_mul_f64 v[48:49], v[48:49], v[52:53]
	v_div_scale_f64 v[52:53], s[12:13], v[54:55], v[54:55], v[48:49]
	v_rcp_f64_e32 v[64:65], v[52:53]
	s_nop 0
	v_fma_f64 v[66:67], -v[52:53], v[64:65], 1.0
	v_fmac_f64_e32 v[64:65], v[64:65], v[66:67]
	v_fma_f64 v[66:67], -v[52:53], v[64:65], 1.0
	v_fmac_f64_e32 v[64:65], v[64:65], v[66:67]
	v_div_scale_f64 v[66:67], vcc, v[48:49], v[54:55], v[48:49]
	v_mul_f64 v[68:69], v[66:67], v[64:65]
	v_fma_f64 v[52:53], -v[52:53], v[68:69], v[66:67]
	s_nop 1
	v_div_fmas_f64 v[52:53], v[52:53], v[64:65], v[68:69]
	v_div_fixup_f64 v[48:49], v[52:53], v[54:55], v[48:49]
.LBB0_82:
	s_andn2_saveexec_b64 s[10:11], s[10:11]
; %bb.83:
	s_mov_b32 s12, 0
	s_mov_b32 s13, 0xbfd00000
	v_fma_f64 v[48:49], v[16:17], s[12:13], 1.0
; %bb.84:
	s_or_b64 exec, exec, s[10:11]
	s_mov_b32 s10, 0xe896898f
	s_mov_b32 s11, 0x40ce7437
	v_add_f64 v[52:53], v[50:51], s[10:11]
	v_mov_b32_e32 v54, 0x32e48896
	v_mov_b32_e32 v55, 0xc16bf81f
	v_fmac_f64_e32 v[54:55], v[16:17], v[52:53]
	v_mov_b32_e32 v52, 0xf0284cdd
	v_mov_b32_e32 v53, 0x41f43f78
	v_fmac_f64_e32 v[52:53], v[16:17], v[54:55]
	;; [unrolled: 3-line block ×4, first 2 shown]
	v_mov_b32_e32 v54, 0xd1d8cc02
	v_mov_b32_e32 v55, 0xc328a121
	s_mov_b32 s10, 0x576dfcb6
	v_fmac_f64_e32 v[54:55], v[16:17], v[52:53]
	v_mov_b32_e32 v52, 0x660b4003
	v_mov_b32_e32 v53, 0x4363a94b
	s_mov_b32 s11, 0x40904522
	v_fmac_f64_e32 v[52:53], v[16:17], v[54:55]
	v_add_f64 v[50:51], v[50:51], s[10:11]
	v_mov_b32_e32 v54, 0xa907bc0c
	v_mov_b32_e32 v55, 0x41231b76
	v_fmac_f64_e32 v[54:55], v[16:17], v[50:51]
	v_mov_b32_e32 v50, 0x5164d101
	v_mov_b32_e32 v51, 0x41b00763
	v_fmac_f64_e32 v[50:51], v[16:17], v[54:55]
	;; [unrolled: 3-line block ×7, first 2 shown]
	v_div_scale_f64 v[16:17], s[10:11], v[50:51], v[50:51], v[54:55]
	v_rcp_f64_e32 v[52:53], v[16:17]
	s_mov_b32 s10, 0x55555555
	v_frexp_exp_i32_f64_e32 v7, v[20:21]
	v_frexp_mant_f64_e32 v[20:21], v[20:21]
	v_fma_f64 v[64:65], -v[16:17], v[52:53], 1.0
	v_fmac_f64_e32 v[52:53], v[52:53], v[64:65]
	v_fma_f64 v[64:65], -v[16:17], v[52:53], 1.0
	v_fmac_f64_e32 v[52:53], v[52:53], v[64:65]
	v_div_scale_f64 v[64:65], vcc, v[54:55], v[50:51], v[54:55]
	v_mul_f64 v[66:67], v[64:65], v[52:53]
	v_fma_f64 v[16:17], -v[16:17], v[66:67], v[64:65]
	s_mov_b32 s11, 0x3fe55555
	s_nop 0
	v_div_fmas_f64 v[16:17], v[16:17], v[52:53], v[66:67]
	v_div_fixup_f64 v[16:17], v[16:17], v[50:51], v[54:55]
	v_mov_b32_e32 v50, 0x3ff00000
	v_cmp_gt_f64_e32 vcc, s[10:11], v[20:21]
	s_mov_b32 s10, 0xbf559e2b
	s_mov_b32 s11, 0x3fc3ab76
	v_cndmask_b32_e64 v51, v50, 2.0, vcc
	v_mov_b32_e32 v50, 0
	v_mul_f64 v[20:21], v[20:21], v[50:51]
	v_add_f64 v[50:51], v[20:21], 1.0
	v_rcp_f64_e32 v[52:53], v[50:51]
	v_add_f64 v[64:65], v[50:51], -1.0
	v_add_f64 v[54:55], v[20:21], -1.0
	v_add_f64 v[20:21], v[20:21], -v[64:65]
	v_fma_f64 v[64:65], -v[50:51], v[52:53], 1.0
	v_fmac_f64_e32 v[52:53], v[64:65], v[52:53]
	v_fma_f64 v[64:65], -v[50:51], v[52:53], 1.0
	v_fmac_f64_e32 v[52:53], v[64:65], v[52:53]
	v_mul_f64 v[64:65], v[54:55], v[52:53]
	v_mul_f64 v[66:67], v[50:51], v[64:65]
	v_fma_f64 v[50:51], v[64:65], v[50:51], -v[66:67]
	v_fmac_f64_e32 v[50:51], v[64:65], v[20:21]
	v_add_f64 v[20:21], v[66:67], v[50:51]
	v_add_f64 v[68:69], v[54:55], -v[20:21]
	v_add_f64 v[66:67], v[20:21], -v[66:67]
	;; [unrolled: 1-line block ×5, first 2 shown]
	v_add_f64 v[20:21], v[50:51], v[20:21]
	v_add_f64 v[20:21], v[68:69], v[20:21]
	v_mul_f64 v[20:21], v[52:53], v[20:21]
	v_add_f64 v[50:51], v[64:65], v[20:21]
	v_add_f64 v[52:53], v[50:51], -v[64:65]
	v_add_f64 v[20:21], v[20:21], -v[52:53]
	v_mul_f64 v[52:53], v[50:51], v[50:51]
	v_mov_b32_e32 v54, 0x6b47b09a
	v_mov_b32_e32 v55, 0x3fc38538
	v_fmac_f64_e32 v[54:55], s[10:11], v[52:53]
	v_mov_b32_e32 v64, 0xd7f4df2e
	v_mov_b32_e32 v65, 0x3fc7474d
	v_fmac_f64_e32 v[64:65], v[52:53], v[54:55]
	;; [unrolled: 3-line block ×6, first 2 shown]
	v_ldexp_f64 v[54:55], v[50:51], 1
	v_mul_f64 v[50:51], v[50:51], v[52:53]
	v_mul_f64 v[50:51], v[50:51], v[64:65]
	v_add_f64 v[52:53], v[54:55], v[50:51]
	v_add_f64 v[54:55], v[52:53], -v[54:55]
	v_ldexp_f64 v[20:21], v[20:21], 1
	v_add_f64 v[50:51], v[50:51], -v[54:55]
	v_add_f64 v[20:21], v[20:21], v[50:51]
	v_add_f64 v[50:51], v[52:53], v[20:21]
	v_subbrev_co_u32_e32 v7, vcc, 0, v7, vcc
	v_add_f64 v[52:53], v[50:51], -v[52:53]
	s_mov_b32 s10, 0xfefa39ef
	v_add_f64 v[20:21], v[20:21], -v[52:53]
	v_cvt_f64_i32_e32 v[52:53], v7
	s_mov_b32 s11, 0x3fe62e42
	v_mul_f64 v[54:55], v[52:53], s[10:11]
	v_fma_f64 v[64:65], v[52:53], s[10:11], -v[54:55]
	s_mov_b32 s10, 0x3b39803f
	s_mov_b32 s11, 0x3c7abc9e
	v_fmac_f64_e32 v[64:65], s[10:11], v[52:53]
	v_add_f64 v[52:53], v[54:55], v[64:65]
	v_add_f64 v[54:55], v[52:53], -v[54:55]
	v_add_f64 v[54:55], v[64:65], -v[54:55]
	v_add_f64 v[64:65], v[52:53], v[50:51]
	v_add_f64 v[66:67], v[64:65], -v[52:53]
	v_add_f64 v[68:69], v[64:65], -v[66:67]
	;; [unrolled: 1-line block ×4, first 2 shown]
	v_add_f64 v[50:51], v[50:51], v[52:53]
	v_add_f64 v[52:53], v[54:55], v[20:21]
	v_add_f64 v[66:67], v[52:53], -v[54:55]
	v_add_f64 v[68:69], v[52:53], -v[66:67]
	v_add_f64 v[50:51], v[52:53], v[50:51]
	v_add_f64 v[54:55], v[54:55], -v[68:69]
	v_add_f64 v[20:21], v[20:21], -v[66:67]
	v_add_f64 v[52:53], v[64:65], v[50:51]
	v_add_f64 v[20:21], v[20:21], v[54:55]
	v_add_f64 v[54:55], v[52:53], -v[64:65]
	v_add_f64 v[50:51], v[50:51], -v[54:55]
	v_add_f64 v[20:21], v[20:21], v[50:51]
	s_mov_b32 s10, 0x6dc9c883
	v_add_f64 v[20:21], v[52:53], v[20:21]
	s_mov_b32 s11, 0x3fe45f30
	v_mul_f64 v[20:21], v[20:21], s[10:11]
	v_fmac_f64_e32 v[16:17], v[20:21], v[48:49]
.LBB0_85:
	s_or_b64 exec, exec, s[8:9]
.LBB0_86:
	s_or_b64 exec, exec, s[6:7]
                                        ; implicit-def: $vgpr20_vgpr21
.LBB0_87:
	s_andn2_saveexec_b64 s[6:7], s[2:3]
	s_cbranch_execz .LBB0_97
; %bb.88:
	s_mov_b32 s11, 0xbfe921fb
	s_mov_b32 s10, 0x54442d18
	;; [unrolled: 1-line block ×3, first 2 shown]
	v_add_f64 v[16:17], v[20:21], s[10:11]
	s_mov_b32 s3, 0x41d00000
	v_cmp_nlt_f64_e64 s[8:9], |v[16:17]|, s[2:3]
	v_trig_preop_f64 v[68:69], |v[16:17]|, 0
	v_trig_preop_f64 v[66:67], |v[16:17]|, 1
	;; [unrolled: 1-line block ×3, first 2 shown]
                                        ; implicit-def: $vgpr7
                                        ; implicit-def: $vgpr48_vgpr49
                                        ; implicit-def: $vgpr50_vgpr51
	s_and_saveexec_b64 s[2:3], s[8:9]
	s_xor_b64 s[12:13], exec, s[2:3]
	s_cbranch_execz .LBB0_90
; %bb.89:
	s_mov_b32 s2, 0
	s_mov_b32 s3, 0x7b000000
	s_movk_i32 s11, 0xff80
	v_and_b32_e32 v7, 0x7fffffff, v17
	v_ldexp_f64 v[48:49], |v[16:17]|, s11
	v_cmp_ge_f64_e64 vcc, |v[16:17]|, s[2:3]
	s_mov_b32 s2, 0
	s_mov_b32 s3, 0x7ff00000
	v_cndmask_b32_e32 v49, v7, v49, vcc
	v_cndmask_b32_e32 v48, v16, v48, vcc
	v_mul_f64 v[52:53], v[68:69], v[48:49]
	v_mul_f64 v[50:51], v[66:67], v[48:49]
	v_fma_f64 v[54:55], v[68:69], v[48:49], -v[52:53]
	v_add_f64 v[80:81], v[50:51], v[54:55]
	v_add_f64 v[82:83], v[52:53], v[80:81]
	v_ldexp_f64 v[84:85], v[82:83], -2
	v_fract_f64_e32 v[86:87], v[84:85]
	v_cmp_neq_f64_e64 vcc, |v[84:85]|, s[2:3]
	v_add_f64 v[52:53], v[82:83], -v[52:53]
	v_add_f64 v[52:53], v[80:81], -v[52:53]
	v_cndmask_b32_e32 v85, 0, v87, vcc
	v_cndmask_b32_e32 v84, 0, v86, vcc
	v_add_f64 v[86:87], v[80:81], -v[50:51]
	v_add_f64 v[54:55], v[54:55], -v[86:87]
	;; [unrolled: 1-line block ×4, first 2 shown]
	v_add_f64 v[54:55], v[54:55], v[86:87]
	v_fma_f64 v[50:51], v[66:67], v[48:49], -v[50:51]
	v_mul_f64 v[86:87], v[64:65], v[48:49]
	v_add_f64 v[98:99], v[86:87], v[50:51]
	v_add_f64 v[100:101], v[98:99], v[54:55]
	v_add_f64 v[82:83], v[100:101], -v[98:99]
	v_add_f64 v[54:55], v[54:55], -v[82:83]
	;; [unrolled: 1-line block ×4, first 2 shown]
	v_add_f64 v[54:55], v[54:55], v[82:83]
	v_add_f64 v[82:83], v[98:99], -v[86:87]
	v_add_f64 v[50:51], v[50:51], -v[82:83]
	;; [unrolled: 1-line block ×4, first 2 shown]
	v_add_f64 v[80:81], v[52:53], v[100:101]
	v_add_f64 v[50:51], v[50:51], v[82:83]
	v_add_f64 v[52:53], v[80:81], -v[52:53]
	v_add_f64 v[50:51], v[50:51], v[54:55]
	v_fma_f64 v[48:49], v[64:65], v[48:49], -v[86:87]
	v_add_f64 v[52:53], v[100:101], -v[52:53]
	v_add_f64 v[48:49], v[48:49], v[50:51]
	v_ldexp_f64 v[50:51], v[84:85], 2
	v_add_f64 v[48:49], v[52:53], v[48:49]
	v_add_f64 v[52:53], v[80:81], v[50:51]
	v_mov_b32_e32 v7, 0x40100000
	v_cmp_gt_f64_e32 vcc, 0, v[52:53]
	v_mov_b32_e32 v96, 0
	s_mov_b32 s11, 0x3ff921fb
	v_cndmask_b32_e32 v97, 0, v7, vcc
	v_add_f64 v[50:51], v[50:51], v[96:97]
	v_add_f64 v[52:53], v[80:81], v[50:51]
	v_cvt_i32_f64_e32 v7, v[52:53]
	v_cvt_f64_i32_e32 v[52:53], v7
	v_add_f64 v[50:51], v[50:51], -v[52:53]
	v_add_f64 v[52:53], v[80:81], v[50:51]
	v_add_f64 v[50:51], v[52:53], -v[50:51]
	v_add_f64 v[50:51], v[80:81], -v[50:51]
	v_add_f64 v[48:49], v[48:49], v[50:51]
	v_cmp_le_f64_e32 vcc, 0.5, v[52:53]
	v_mov_b32_e32 v50, 0x3ff00000
	s_nop 0
	v_cndmask_b32_e32 v97, 0, v50, vcc
	v_add_f64 v[50:51], v[52:53], -v[96:97]
	v_add_f64 v[52:53], v[50:51], v[48:49]
	v_addc_co_u32_e64 v7, s[2:3], 0, v7, vcc
	v_add_f64 v[50:51], v[52:53], -v[50:51]
	v_add_f64 v[48:49], v[48:49], -v[50:51]
	v_mul_f64 v[50:51], v[52:53], s[10:11]
	s_mov_b32 s2, 0x33145c07
	v_fma_f64 v[54:55], v[52:53], s[10:11], -v[50:51]
	s_mov_b32 s3, 0x3c91a626
	v_fmac_f64_e32 v[54:55], s[2:3], v[52:53]
	v_fmac_f64_e32 v[54:55], s[10:11], v[48:49]
	v_add_f64 v[48:49], v[50:51], v[54:55]
	v_add_f64 v[50:51], v[48:49], -v[50:51]
	v_add_f64 v[50:51], v[54:55], -v[50:51]
	s_andn2_saveexec_b64 s[2:3], s[12:13]
	s_cbranch_execz .LBB0_92
	s_branch .LBB0_91
.LBB0_90:
	s_andn2_saveexec_b64 s[2:3], s[12:13]
	s_cbranch_execz .LBB0_92
.LBB0_91:
	s_mov_b32 s10, 0x6dc9c883
	s_mov_b32 s11, 0x3fe45f30
	v_mul_f64 v[48:49], |v[16:17]|, s[10:11]
	s_mov_b32 s10, 0x54442d18
	v_rndne_f64_e32 v[52:53], v[48:49]
	s_mov_b32 s11, 0xbff921fb
	v_fma_f64 v[48:49], v[52:53], s[10:11], |v[16:17]|
	s_mov_b32 s11, 0xbc91a626
	s_mov_b32 s10, 0x33145c00
	v_mul_f64 v[54:55], v[52:53], s[10:11]
	v_add_f64 v[82:83], v[48:49], v[54:55]
	v_fma_f64 v[50:51], s[10:11], v[52:53], v[48:49]
	s_mov_b32 s11, 0x3c91a626
	v_add_f64 v[48:49], v[48:49], -v[82:83]
	v_fma_f64 v[80:81], s[10:11], v[52:53], v[54:55]
	v_add_f64 v[48:49], v[48:49], v[54:55]
	v_add_f64 v[54:55], v[82:83], -v[50:51]
	v_add_f64 v[48:49], v[54:55], v[48:49]
	s_mov_b32 s10, 0x252049c0
	v_add_f64 v[54:55], v[48:49], -v[80:81]
	s_mov_b32 s11, 0xb97b839a
	v_fmac_f64_e32 v[54:55], s[10:11], v[52:53]
	v_add_f64 v[48:49], v[50:51], v[54:55]
	v_add_f64 v[50:51], v[48:49], -v[50:51]
	v_add_f64 v[50:51], v[54:55], -v[50:51]
	v_cvt_i32_f64_e32 v7, v[52:53]
.LBB0_92:
	s_or_b64 exec, exec, s[2:3]
                                        ; implicit-def: $vgpr71
                                        ; implicit-def: $vgpr52_vgpr53
                                        ; implicit-def: $vgpr54_vgpr55
	s_and_saveexec_b64 s[2:3], s[8:9]
	s_xor_b64 s[8:9], exec, s[2:3]
	s_cbranch_execz .LBB0_94
; %bb.93:
	s_mov_b32 s2, 0
	s_mov_b32 s3, 0x7b000000
	s_movk_i32 s10, 0xff80
	v_and_b32_e32 v54, 0x7fffffff, v17
	v_ldexp_f64 v[52:53], |v[16:17]|, s10
	v_cmp_ge_f64_e64 vcc, |v[16:17]|, s[2:3]
	s_mov_b32 s2, 0
	s_mov_b32 s3, 0x7ff00000
	v_cndmask_b32_e32 v53, v54, v53, vcc
	v_cndmask_b32_e32 v52, v16, v52, vcc
	v_mul_f64 v[80:81], v[68:69], v[52:53]
	v_mul_f64 v[54:55], v[66:67], v[52:53]
	v_fma_f64 v[68:69], v[68:69], v[52:53], -v[80:81]
	v_add_f64 v[82:83], v[54:55], v[68:69]
	v_add_f64 v[84:85], v[80:81], v[82:83]
	v_ldexp_f64 v[86:87], v[84:85], -2
	v_fract_f64_e32 v[96:97], v[86:87]
	v_cmp_neq_f64_e64 vcc, |v[86:87]|, s[2:3]
	v_add_f64 v[80:81], v[84:85], -v[80:81]
	v_add_f64 v[80:81], v[82:83], -v[80:81]
	v_cndmask_b32_e32 v87, 0, v97, vcc
	v_cndmask_b32_e32 v86, 0, v96, vcc
	v_add_f64 v[96:97], v[82:83], -v[54:55]
	v_add_f64 v[68:69], v[68:69], -v[96:97]
	;; [unrolled: 1-line block ×4, first 2 shown]
	v_fma_f64 v[54:55], v[66:67], v[52:53], -v[54:55]
	v_mul_f64 v[66:67], v[64:65], v[52:53]
	v_add_f64 v[68:69], v[68:69], v[96:97]
	v_add_f64 v[96:97], v[66:67], v[54:55]
	;; [unrolled: 1-line block ×3, first 2 shown]
	v_add_f64 v[84:85], v[100:101], -v[96:97]
	v_add_f64 v[68:69], v[68:69], -v[84:85]
	;; [unrolled: 1-line block ×4, first 2 shown]
	v_add_f64 v[68:69], v[68:69], v[84:85]
	v_add_f64 v[84:85], v[96:97], -v[66:67]
	v_add_f64 v[54:55], v[54:55], -v[84:85]
	;; [unrolled: 1-line block ×4, first 2 shown]
	v_add_f64 v[54:55], v[54:55], v[84:85]
	v_add_f64 v[54:55], v[54:55], v[68:69]
	v_fma_f64 v[52:53], v[64:65], v[52:53], -v[66:67]
	v_add_f64 v[82:83], v[80:81], v[100:101]
	v_add_f64 v[52:53], v[52:53], v[54:55]
	v_ldexp_f64 v[54:55], v[86:87], 2
	v_add_f64 v[64:65], v[82:83], v[54:55]
	v_mov_b32_e32 v66, 0x40100000
	v_cmp_gt_f64_e32 vcc, 0, v[64:65]
	v_mov_b32_e32 v98, 0
	v_add_f64 v[80:81], v[82:83], -v[80:81]
	v_cndmask_b32_e32 v99, 0, v66, vcc
	v_add_f64 v[54:55], v[54:55], v[98:99]
	v_add_f64 v[64:65], v[82:83], v[54:55]
	v_cvt_i32_f64_e32 v66, v[64:65]
	v_cvt_f64_i32_e32 v[64:65], v66
	v_add_f64 v[54:55], v[54:55], -v[64:65]
	v_add_f64 v[64:65], v[82:83], v[54:55]
	v_add_f64 v[80:81], v[100:101], -v[80:81]
	v_add_f64 v[54:55], v[64:65], -v[54:55]
	v_add_f64 v[52:53], v[80:81], v[52:53]
	v_add_f64 v[54:55], v[82:83], -v[54:55]
	v_add_f64 v[52:53], v[52:53], v[54:55]
	v_cmp_le_f64_e32 vcc, 0.5, v[64:65]
	v_mov_b32_e32 v54, 0x3ff00000
	s_mov_b32 s10, 0x33145c07
	v_cndmask_b32_e32 v99, 0, v54, vcc
	v_addc_co_u32_e64 v71, s[2:3], 0, v66, vcc
	v_add_f64 v[54:55], v[64:65], -v[98:99]
	v_add_f64 v[64:65], v[54:55], v[52:53]
	s_mov_b32 s2, 0x54442d18
	v_add_f64 v[54:55], v[64:65], -v[54:55]
	s_mov_b32 s3, 0x3ff921fb
	v_add_f64 v[52:53], v[52:53], -v[54:55]
	v_mul_f64 v[54:55], v[64:65], s[2:3]
	v_fma_f64 v[66:67], v[64:65], s[2:3], -v[54:55]
	s_mov_b32 s11, 0x3c91a626
	v_fmac_f64_e32 v[66:67], s[10:11], v[64:65]
	v_fmac_f64_e32 v[66:67], s[2:3], v[52:53]
	v_add_f64 v[52:53], v[54:55], v[66:67]
	v_add_f64 v[54:55], v[52:53], -v[54:55]
	v_add_f64 v[54:55], v[66:67], -v[54:55]
	s_andn2_saveexec_b64 s[2:3], s[8:9]
	s_cbranch_execnz .LBB0_95
	s_branch .LBB0_96
.LBB0_94:
	s_andn2_saveexec_b64 s[2:3], s[8:9]
	s_cbranch_execz .LBB0_96
.LBB0_95:
	s_mov_b32 s8, 0x6dc9c883
	s_mov_b32 s9, 0x3fe45f30
	v_mul_f64 v[52:53], |v[16:17]|, s[8:9]
	s_mov_b32 s8, 0x54442d18
	v_rndne_f64_e32 v[64:65], v[52:53]
	s_mov_b32 s9, 0xbff921fb
	v_fma_f64 v[52:53], v[64:65], s[8:9], |v[16:17]|
	s_mov_b32 s9, 0xbc91a626
	s_mov_b32 s8, 0x33145c00
	v_mul_f64 v[66:67], v[64:65], s[8:9]
	v_add_f64 v[80:81], v[52:53], v[66:67]
	v_fma_f64 v[54:55], s[8:9], v[64:65], v[52:53]
	s_mov_b32 s9, 0x3c91a626
	v_add_f64 v[52:53], v[52:53], -v[80:81]
	v_fma_f64 v[68:69], s[8:9], v[64:65], v[66:67]
	v_add_f64 v[52:53], v[52:53], v[66:67]
	v_add_f64 v[66:67], v[80:81], -v[54:55]
	v_add_f64 v[52:53], v[66:67], v[52:53]
	s_mov_b32 s8, 0x252049c0
	v_add_f64 v[66:67], v[52:53], -v[68:69]
	s_mov_b32 s9, 0xb97b839a
	v_fmac_f64_e32 v[66:67], s[8:9], v[64:65]
	v_add_f64 v[52:53], v[54:55], v[66:67]
	v_add_f64 v[54:55], v[52:53], -v[54:55]
	v_add_f64 v[54:55], v[66:67], -v[54:55]
	v_cvt_i32_f64_e32 v71, v[64:65]
.LBB0_96:
	s_or_b64 exec, exec, s[2:3]
	s_mov_b32 s2, 0
	v_mul_f64 v[64:65], v[20:21], v[20:21]
	s_mov_b32 s3, 0x40390000
	v_div_scale_f64 v[66:67], s[8:9], v[64:65], v[64:65], s[2:3]
	v_rcp_f64_e32 v[68:69], v[66:67]
	v_mov_b32_e32 v84, 0xb1759c7f
	v_mov_b32_e32 v85, 0x408ac370
	v_mov_b32_e32 v96, 0x6280a54
	v_fma_f64 v[80:81], -v[66:67], v[68:69], 1.0
	v_fmac_f64_e32 v[68:69], v[68:69], v[80:81]
	v_fma_f64 v[80:81], -v[66:67], v[68:69], 1.0
	v_fmac_f64_e32 v[68:69], v[68:69], v[80:81]
	v_div_scale_f64 v[80:81], vcc, s[2:3], v[64:65], s[2:3]
	v_mul_f64 v[82:83], v[80:81], v[68:69]
	v_fma_f64 v[66:67], -v[66:67], v[82:83], v[80:81]
	v_mov_b32_e32 v80, 0xab5454e3
	s_nop 0
	v_div_fmas_f64 v[66:67], v[66:67], v[68:69], v[82:83]
	v_div_fixup_f64 v[64:65], v[66:67], v[64:65], s[2:3]
	v_mov_b32_e32 v66, 0x983b6b27
	v_mov_b32_e32 v67, 0x3f4a1d30
	v_fmac_f64_e32 v[66:67], 0, v[64:65]
	v_mov_b32_e32 v68, 0xb35dd1cf
	v_mov_b32_e32 v69, 0x3fb534b0
	v_fmac_f64_e32 v[68:69], v[64:65], v[66:67]
	;; [unrolled: 3-line block ×7, first 2 shown]
	v_mov_b32_e32 v81, 0x3fb5ebc5
	v_fmac_f64_e32 v[80:81], v[64:65], v[66:67]
	v_mov_b32_e32 v66, 0xc9b3069f
	v_mov_b32_e32 v67, 0x3ff40e72
	v_fmac_f64_e32 v[66:67], v[64:65], v[80:81]
	v_mov_b32_e32 v80, 0xe68162bb
	;; [unrolled: 3-line block ×4, first 2 shown]
	v_mov_b32_e32 v81, 0x40153965
	v_fmac_f64_e32 v[80:81], v[64:65], v[66:67]
	v_fma_f64 v[66:67], v[64:65], v[80:81], 1.0
	v_mov_b32_e32 v80, 0x38a5384a
	v_mov_b32_e32 v81, 0xbf874742
	v_fmac_f64_e32 v[80:81], 0, v[64:65]
	v_mov_b32_e32 v82, 0x3a321174
	v_mov_b32_e32 v83, 0xbff4853b
	v_fmac_f64_e32 v[82:83], v[64:65], v[80:81]
	;; [unrolled: 3-line block ×9, first 2 shown]
	v_fmac_f64_e32 v[84:85], v[64:65], v[80:81]
	v_mov_b32_e32 v80, 0xbd748cb5
	v_mov_b32_e32 v81, 0x40ae54cd
	v_fmac_f64_e32 v[80:81], v[64:65], v[84:85]
	v_mov_b32_e32 v84, 0xbdefd63e
	v_mov_b32_e32 v85, 0x40bc4877
	;; [unrolled: 3-line block ×4, first 2 shown]
	v_fma_f64 v[68:69], v[64:65], v[68:69], 1.0
	v_fmac_f64_e32 v[84:85], v[64:65], v[80:81]
	v_div_scale_f64 v[80:81], s[2:3], v[66:67], v[66:67], v[68:69]
	v_rcp_f64_e32 v[86:87], v[80:81]
	v_mov_b32_e32 v97, 0x406e402f
	v_fmac_f64_e32 v[96:97], v[64:65], v[84:85]
	s_mov_b32 s2, 0x9037ab78
	v_fma_f64 v[64:65], -v[80:81], v[86:87], 1.0
	v_fmac_f64_e32 v[86:87], v[86:87], v[64:65]
	v_fma_f64 v[64:65], -v[80:81], v[86:87], 1.0
	v_fmac_f64_e32 v[86:87], v[86:87], v[64:65]
	v_div_scale_f64 v[64:65], vcc, v[68:69], v[66:67], v[68:69]
	v_mul_f64 v[84:85], v[64:65], v[86:87]
	v_fma_f64 v[64:65], -v[80:81], v[84:85], v[64:65]
	s_mov_b32 s3, 0x3e21eeb6
	s_nop 0
	v_div_fmas_f64 v[64:65], v[64:65], v[86:87], v[84:85]
	s_mov_b32 s8, 0x46cc5e42
	v_div_fixup_f64 v[64:65], v[64:65], v[66:67], v[68:69]
	v_mul_f64 v[66:67], v[48:49], v[48:49]
	s_mov_b32 s9, 0xbda907db
	v_mov_b64_e32 v[86:87], s[2:3]
	s_mov_b32 s10, 0xa17f65f6
	v_mul_f64 v[68:69], v[66:67], 0.5
	v_fma_f64 v[98:99], s[8:9], v[66:67], v[86:87]
	s_mov_b32 s11, 0xbe927e4f
	s_mov_b32 s12, 0x19f4ec90
	v_add_f64 v[80:81], -v[68:69], 1.0
	v_fma_f64 v[98:99], v[66:67], v[98:99], s[10:11]
	s_mov_b32 s13, 0x3efa01a0
	s_mov_b32 s14, 0x16c16967
	v_add_f64 v[84:85], -v[80:81], 1.0
	v_fma_f64 v[98:99], v[66:67], v[98:99], s[12:13]
	s_mov_b32 s15, 0xbf56c16c
	s_mov_b32 s16, 0x55555555
	v_add_f64 v[68:69], v[84:85], -v[68:69]
	v_fma_f64 v[98:99], v[66:67], v[98:99], s[14:15]
	s_mov_b32 s17, 0x3fa55555
	v_mul_f64 v[84:85], v[66:67], v[66:67]
	v_fma_f64 v[98:99], v[66:67], v[98:99], s[16:17]
	v_fma_f64 v[68:69], v[48:49], -v[50:51], v[68:69]
	s_mov_b32 s2, 0xb42fdfa7
	v_fmac_f64_e32 v[68:69], v[84:85], v[98:99]
	s_mov_b32 s3, 0xbe5ae600
	s_mov_b32 s18, 0xf9a43bb8
	v_add_f64 v[68:69], v[80:81], v[68:69]
	s_mov_b32 s19, 0x3de5e0b2
	v_mov_b64_e32 v[80:81], s[2:3]
	s_mov_b32 s22, 0x796cde01
	v_fma_f64 v[84:85], s[18:19], v[66:67], v[80:81]
	s_mov_b32 s23, 0x3ec71de3
	s_mov_b32 s24, 0x19e83e5c
	v_fma_f64 v[84:85], v[66:67], v[84:85], s[22:23]
	s_mov_b32 s25, 0xbf2a01a0
	s_mov_b32 s26, 0x11110bb3
	v_fma_f64 v[84:85], v[66:67], v[84:85], s[24:25]
	s_mov_b32 s27, 0x3f811111
	v_fma_f64 v[84:85], v[66:67], v[84:85], s[26:27]
	v_mul_f64 v[98:99], v[48:49], -v[66:67]
	v_mul_f64 v[100:101], v[50:51], 0.5
	v_fmac_f64_e32 v[100:101], v[98:99], v[84:85]
	v_fma_f64 v[50:51], v[66:67], v[100:101], -v[50:51]
	s_mov_b32 s29, 0xbfc55555
	s_mov_b32 s28, s16
	v_fmac_f64_e32 v[50:51], s[28:29], v[98:99]
	v_add_f64 v[48:49], v[48:49], -v[50:51]
	v_and_b32_e32 v50, 1, v7
	v_lshlrev_b32_e32 v7, 30, v7
	v_cmp_eq_u32_e32 vcc, 0, v50
	v_xor_b32_e32 v7, v7, v17
	s_mov_b32 s30, 0
	v_cndmask_b32_e32 v66, v68, v48, vcc
	v_cndmask_b32_e32 v48, v69, v49, vcc
	v_and_b32_e32 v7, 0x80000000, v7
	s_mov_b32 s31, 0x40140000
	v_xor_b32_e32 v7, v48, v7
	v_div_scale_f64 v[48:49], s[2:3], v[20:21], v[20:21], s[30:31]
	v_rcp_f64_e32 v[50:51], v[48:49]
	s_movk_i32 s21, 0x1f8
	v_cmp_class_f64_e64 s[2:3], v[16:17], s21
	v_mov_b32_e32 v98, 0x7ff80000
	s_nop 0
	v_cndmask_b32_e64 v16, 0, v66, s[2:3]
	v_fma_f64 v[66:67], -v[48:49], v[50:51], 1.0
	v_fmac_f64_e32 v[50:51], v[50:51], v[66:67]
	v_fma_f64 v[66:67], -v[48:49], v[50:51], 1.0
	v_fmac_f64_e32 v[50:51], v[50:51], v[66:67]
	v_div_scale_f64 v[66:67], vcc, s[30:31], v[20:21], s[30:31]
	v_mul_f64 v[68:69], v[66:67], v[50:51]
	v_fma_f64 v[48:49], -v[48:49], v[68:69], v[66:67]
	v_div_scale_f64 v[66:67], s[34:35], v[96:97], v[96:97], v[82:83]
	v_rcp_f64_e32 v[84:85], v[66:67]
	v_div_fmas_f64 v[48:49], v[48:49], v[50:51], v[68:69]
	v_div_fixup_f64 v[48:49], v[48:49], v[20:21], s[30:31]
	v_cndmask_b32_e64 v17, v98, v7, s[2:3]
	v_fma_f64 v[50:51], -v[66:67], v[84:85], 1.0
	v_fmac_f64_e32 v[84:85], v[84:85], v[50:51]
	v_fma_f64 v[50:51], -v[66:67], v[84:85], 1.0
	v_fmac_f64_e32 v[84:85], v[84:85], v[50:51]
	v_div_scale_f64 v[50:51], vcc, v[82:83], v[96:97], v[82:83]
	v_mul_f64 v[68:69], v[50:51], v[84:85]
	v_fma_f64 v[50:51], -v[66:67], v[68:69], v[50:51]
	s_nop 1
	v_div_fmas_f64 v[50:51], v[50:51], v[84:85], v[68:69]
	v_div_fixup_f64 v[50:51], v[50:51], v[96:97], v[82:83]
	v_mul_f64 v[48:49], v[48:49], v[50:51]
	v_mul_f64 v[50:51], v[52:53], v[52:53]
	v_mul_f64 v[66:67], v[50:51], 0.5
	v_fmac_f64_e32 v[86:87], s[8:9], v[50:51]
	v_add_f64 v[68:69], -v[66:67], 1.0
	v_fma_f64 v[84:85], v[50:51], v[86:87], s[10:11]
	v_add_f64 v[82:83], -v[68:69], 1.0
	v_fma_f64 v[84:85], v[50:51], v[84:85], s[12:13]
	v_add_f64 v[66:67], v[82:83], -v[66:67]
	v_fma_f64 v[84:85], v[50:51], v[84:85], s[14:15]
	v_mul_f64 v[82:83], v[50:51], v[50:51]
	v_fma_f64 v[84:85], v[50:51], v[84:85], s[16:17]
	v_fma_f64 v[66:67], v[52:53], -v[54:55], v[66:67]
	v_fmac_f64_e32 v[66:67], v[82:83], v[84:85]
	v_fmac_f64_e32 v[80:81], s[18:19], v[50:51]
	v_add_f64 v[66:67], v[68:69], v[66:67]
	v_fma_f64 v[68:69], v[50:51], v[80:81], s[22:23]
	v_fma_f64 v[68:69], v[50:51], v[68:69], s[24:25]
	;; [unrolled: 1-line block ×3, first 2 shown]
	v_mul_f64 v[80:81], v[52:53], -v[50:51]
	v_mul_f64 v[82:83], v[54:55], 0.5
	v_fmac_f64_e32 v[82:83], v[80:81], v[68:69]
	v_fma_f64 v[50:51], v[50:51], v[82:83], -v[54:55]
	v_fmac_f64_e32 v[50:51], s[28:29], v[80:81]
	v_add_f64 v[50:51], v[52:53], -v[50:51]
	v_xor_b32_e32 v7, 0x80000000, v51
	v_and_b32_e32 v51, 1, v71
	v_cmp_eq_u32_e32 vcc, 0, v51
	v_lshlrev_b32_e32 v51, 30, v71
	v_and_b32_e32 v51, 0x80000000, v51
	v_cndmask_b32_e32 v7, v7, v67, vcc
	v_cndmask_b32_e32 v50, v50, v66, vcc
	v_xor_b32_e32 v7, v7, v51
	v_cndmask_b32_e64 v50, 0, v50, s[2:3]
	v_cndmask_b32_e64 v51, v98, v7, s[2:3]
	s_mov_b32 s2, 0
	s_brev_b32 s3, 8
	v_cmp_gt_f64_e32 vcc, s[2:3], v[20:21]
	v_mul_f64 v[48:49], v[48:49], v[50:51]
	v_fmac_f64_e32 v[48:49], v[64:65], v[16:17]
	v_cndmask_b32_e64 v7, 0, 1, vcc
	v_lshlrev_b32_e32 v7, 8, v7
	v_ldexp_f64 v[16:17], v[20:21], v7
	v_rsq_f64_e32 v[20:21], v[16:17]
	v_mov_b32_e32 v7, 0xffffff80
	v_cndmask_b32_e32 v7, 0, v7, vcc
	s_mov_b32 s2, 0x33d43651
	v_mul_f64 v[50:51], v[16:17], v[20:21]
	v_mul_f64 v[20:21], v[20:21], 0.5
	v_fma_f64 v[52:53], -v[20:21], v[50:51], 0.5
	v_fmac_f64_e32 v[50:51], v[50:51], v[52:53]
	v_fma_f64 v[54:55], -v[50:51], v[50:51], v[16:17]
	v_fmac_f64_e32 v[20:21], v[20:21], v[52:53]
	v_fmac_f64_e32 v[50:51], v[54:55], v[20:21]
	v_fma_f64 v[52:53], -v[50:51], v[50:51], v[16:17]
	v_fmac_f64_e32 v[50:51], v[52:53], v[20:21]
	v_ldexp_f64 v[20:21], v[50:51], v7
	v_mov_b32_e32 v7, 0x260
	s_mov_b32 s3, 0x3fe98845
	v_cmp_class_f64_e32 vcc, v[16:17], v7
	v_mul_f64 v[48:49], v[48:49], s[2:3]
	s_nop 0
	v_cndmask_b32_e32 v17, v21, v17, vcc
	v_cndmask_b32_e32 v16, v20, v16, vcc
	v_div_scale_f64 v[20:21], s[2:3], v[16:17], v[16:17], v[48:49]
	v_rcp_f64_e32 v[50:51], v[20:21]
	s_nop 0
	v_fma_f64 v[52:53], -v[20:21], v[50:51], 1.0
	v_fmac_f64_e32 v[50:51], v[50:51], v[52:53]
	v_fma_f64 v[52:53], -v[20:21], v[50:51], 1.0
	v_fmac_f64_e32 v[50:51], v[50:51], v[52:53]
	v_div_scale_f64 v[52:53], vcc, v[48:49], v[16:17], v[48:49]
	v_mul_f64 v[54:55], v[52:53], v[50:51]
	v_fma_f64 v[20:21], -v[20:21], v[54:55], v[52:53]
	s_nop 1
	v_div_fmas_f64 v[20:21], v[20:21], v[50:51], v[54:55]
	v_div_fixup_f64 v[16:17], v[20:21], v[16:17], v[48:49]
.LBB0_97:
	s_or_b64 exec, exec, s[6:7]
.LBB0_98:
	s_or_b64 exec, exec, s[4:5]
	v_add_u32_e32 v7, 0x300, v5
	v_cmp_lt_i32_e32 vcc, v7, v4
                                        ; implicit-def: $vgpr20_vgpr21
	s_and_saveexec_b64 s[4:5], vcc
	s_cbranch_execz .LBB0_120
; %bb.99:
	s_mov_b32 s2, 0
	s_mov_b32 s3, 0x40140000
	s_waitcnt vmcnt(0) lgkmcnt(0)
	v_cmp_ge_f64_e32 vcc, s[2:3], v[24:25]
                                        ; implicit-def: $vgpr20_vgpr21
	s_and_saveexec_b64 s[2:3], vcc
	s_xor_b64 s[2:3], exec, s[2:3]
	s_cbranch_execz .LBB0_109
; %bb.100:
	v_mov_b32_e32 v20, 0
	v_cmp_neq_f64_e32 vcc, 0, v[24:25]
	v_mov_b32_e32 v21, 0xfff00000
	s_and_saveexec_b64 s[6:7], vcc
	s_cbranch_execz .LBB0_108
; %bb.101:
	v_mov_b32_e32 v20, 0
	v_cmp_ngt_f64_e32 vcc, 0, v[24:25]
	v_mov_b32_e32 v21, 0x7ff80000
	s_and_saveexec_b64 s[8:9], vcc
	s_cbranch_execz .LBB0_107
; %bb.102:
	s_mov_b32 s10, 0x88e368f1
	v_mul_f64 v[20:21], v[24:25], v[24:25]
	s_mov_b32 s11, 0x3ee4f8b5
	v_mul_f64 v[50:51], v[20:21], 0
	v_cmp_ngt_f64_e32 vcc, s[10:11], v[24:25]
                                        ; implicit-def: $vgpr48_vgpr49
	s_and_saveexec_b64 s[10:11], vcc
	s_xor_b64 s[10:11], exec, s[10:11]
	s_cbranch_execz .LBB0_104
; %bb.103:
	s_mov_b32 s12, 0xad1c8325
	s_mov_b32 s13, 0xc1f1dc53
	v_add_f64 v[48:49], v[50:51], s[12:13]
	v_mov_b32_e32 v52, 0xc772990d
	v_mov_b32_e32 v53, 0x427c7751
	s_mov_b32 s12, 0xa696b78c
	v_fmac_f64_e32 v[52:53], v[20:21], v[48:49]
	v_mov_b32_e32 v48, 0xe0d900f7
	v_mov_b32_e32 v49, 0xc2ec5614
	s_mov_b32 s13, 0x407f3902
	v_fmac_f64_e32 v[48:49], v[20:21], v[52:53]
	v_add_f64 v[52:53], v[50:51], s[12:13]
	v_mov_b32_e32 v54, 0x36a21a67
	v_mov_b32_e32 v55, 0x410536cb
	v_fmac_f64_e32 v[54:55], v[20:21], v[52:53]
	v_mov_b32_e32 v52, 0x2eac0634
	v_mov_b32_e32 v53, 0x41871934
	v_fmac_f64_e32 v[52:53], v[20:21], v[54:55]
	;; [unrolled: 3-line block ×6, first 2 shown]
	v_mov_b32_e32 v54, 0xc7b662cc
	v_mov_b32_e32 v55, 0x43b7be34
	s_mov_b32 s12, 0x80462bbb
	v_fmac_f64_e32 v[54:55], v[20:21], v[52:53]
	v_mov_b32_e32 v52, 0x69ff5fb4
	v_mov_b32_e32 v53, 0x43413ef8
	s_mov_b32 s13, 0xc01721fb
	v_fmac_f64_e32 v[52:53], v[20:21], v[48:49]
	v_add_f64 v[48:49], v[20:21], s[12:13]
	s_mov_b32 s12, 0xa621dd6f
	s_mov_b32 s13, 0xc03e78a4
	v_add_f64 v[64:65], v[20:21], s[12:13]
	v_mul_f64 v[48:49], v[48:49], v[64:65]
	v_mul_f64 v[48:49], v[48:49], v[52:53]
	v_div_scale_f64 v[52:53], s[12:13], v[54:55], v[54:55], v[48:49]
	v_rcp_f64_e32 v[64:65], v[52:53]
	s_nop 0
	v_fma_f64 v[66:67], -v[52:53], v[64:65], 1.0
	v_fmac_f64_e32 v[64:65], v[64:65], v[66:67]
	v_fma_f64 v[66:67], -v[52:53], v[64:65], 1.0
	v_fmac_f64_e32 v[64:65], v[64:65], v[66:67]
	v_div_scale_f64 v[66:67], vcc, v[48:49], v[54:55], v[48:49]
	v_mul_f64 v[68:69], v[66:67], v[64:65]
	v_fma_f64 v[52:53], -v[52:53], v[68:69], v[66:67]
	s_nop 1
	v_div_fmas_f64 v[52:53], v[52:53], v[64:65], v[68:69]
	v_div_fixup_f64 v[48:49], v[52:53], v[54:55], v[48:49]
.LBB0_104:
	s_andn2_saveexec_b64 s[10:11], s[10:11]
; %bb.105:
	s_mov_b32 s12, 0
	s_mov_b32 s13, 0xbfd00000
	v_fma_f64 v[48:49], v[20:21], s[12:13], 1.0
; %bb.106:
	s_or_b64 exec, exec, s[10:11]
	s_mov_b32 s10, 0xe896898f
	s_mov_b32 s11, 0x40ce7437
	v_add_f64 v[52:53], v[50:51], s[10:11]
	v_mov_b32_e32 v54, 0x32e48896
	v_mov_b32_e32 v55, 0xc16bf81f
	v_fmac_f64_e32 v[54:55], v[20:21], v[52:53]
	v_mov_b32_e32 v52, 0xf0284cdd
	v_mov_b32_e32 v53, 0x41f43f78
	v_fmac_f64_e32 v[52:53], v[20:21], v[54:55]
	;; [unrolled: 3-line block ×4, first 2 shown]
	v_mov_b32_e32 v54, 0xd1d8cc02
	v_mov_b32_e32 v55, 0xc328a121
	s_mov_b32 s10, 0x576dfcb6
	v_fmac_f64_e32 v[54:55], v[20:21], v[52:53]
	v_mov_b32_e32 v52, 0x660b4003
	v_mov_b32_e32 v53, 0x4363a94b
	s_mov_b32 s11, 0x40904522
	v_fmac_f64_e32 v[52:53], v[20:21], v[54:55]
	v_add_f64 v[50:51], v[50:51], s[10:11]
	v_mov_b32_e32 v54, 0xa907bc0c
	v_mov_b32_e32 v55, 0x41231b76
	v_fmac_f64_e32 v[54:55], v[20:21], v[50:51]
	v_mov_b32_e32 v50, 0x5164d101
	v_mov_b32_e32 v51, 0x41b00763
	v_fmac_f64_e32 v[50:51], v[20:21], v[54:55]
	;; [unrolled: 3-line block ×7, first 2 shown]
	v_div_scale_f64 v[20:21], s[10:11], v[50:51], v[50:51], v[54:55]
	v_rcp_f64_e32 v[52:53], v[20:21]
	s_mov_b32 s10, 0x55555555
	v_frexp_exp_i32_f64_e32 v7, v[24:25]
	v_frexp_mant_f64_e32 v[24:25], v[24:25]
	v_fma_f64 v[64:65], -v[20:21], v[52:53], 1.0
	v_fmac_f64_e32 v[52:53], v[52:53], v[64:65]
	v_fma_f64 v[64:65], -v[20:21], v[52:53], 1.0
	v_fmac_f64_e32 v[52:53], v[52:53], v[64:65]
	v_div_scale_f64 v[64:65], vcc, v[54:55], v[50:51], v[54:55]
	v_mul_f64 v[66:67], v[64:65], v[52:53]
	v_fma_f64 v[20:21], -v[20:21], v[66:67], v[64:65]
	s_mov_b32 s11, 0x3fe55555
	s_nop 0
	v_div_fmas_f64 v[20:21], v[20:21], v[52:53], v[66:67]
	v_div_fixup_f64 v[20:21], v[20:21], v[50:51], v[54:55]
	v_mov_b32_e32 v50, 0x3ff00000
	v_cmp_gt_f64_e32 vcc, s[10:11], v[24:25]
	s_mov_b32 s10, 0xbf559e2b
	s_mov_b32 s11, 0x3fc3ab76
	v_cndmask_b32_e64 v51, v50, 2.0, vcc
	v_mov_b32_e32 v50, 0
	v_mul_f64 v[24:25], v[24:25], v[50:51]
	v_add_f64 v[50:51], v[24:25], 1.0
	v_rcp_f64_e32 v[52:53], v[50:51]
	v_add_f64 v[64:65], v[50:51], -1.0
	v_add_f64 v[54:55], v[24:25], -1.0
	v_add_f64 v[24:25], v[24:25], -v[64:65]
	v_fma_f64 v[64:65], -v[50:51], v[52:53], 1.0
	v_fmac_f64_e32 v[52:53], v[64:65], v[52:53]
	v_fma_f64 v[64:65], -v[50:51], v[52:53], 1.0
	v_fmac_f64_e32 v[52:53], v[64:65], v[52:53]
	v_mul_f64 v[64:65], v[54:55], v[52:53]
	v_mul_f64 v[66:67], v[50:51], v[64:65]
	v_fma_f64 v[50:51], v[64:65], v[50:51], -v[66:67]
	v_fmac_f64_e32 v[50:51], v[64:65], v[24:25]
	v_add_f64 v[24:25], v[66:67], v[50:51]
	v_add_f64 v[68:69], v[54:55], -v[24:25]
	v_add_f64 v[66:67], v[24:25], -v[66:67]
	;; [unrolled: 1-line block ×5, first 2 shown]
	v_add_f64 v[24:25], v[50:51], v[24:25]
	v_add_f64 v[24:25], v[68:69], v[24:25]
	v_mul_f64 v[24:25], v[52:53], v[24:25]
	v_add_f64 v[50:51], v[64:65], v[24:25]
	v_add_f64 v[52:53], v[50:51], -v[64:65]
	v_add_f64 v[24:25], v[24:25], -v[52:53]
	v_mul_f64 v[52:53], v[50:51], v[50:51]
	v_mov_b32_e32 v54, 0x6b47b09a
	v_mov_b32_e32 v55, 0x3fc38538
	v_fmac_f64_e32 v[54:55], s[10:11], v[52:53]
	v_mov_b32_e32 v64, 0xd7f4df2e
	v_mov_b32_e32 v65, 0x3fc7474d
	v_fmac_f64_e32 v[64:65], v[52:53], v[54:55]
	;; [unrolled: 3-line block ×6, first 2 shown]
	v_ldexp_f64 v[54:55], v[50:51], 1
	v_mul_f64 v[50:51], v[50:51], v[52:53]
	v_mul_f64 v[50:51], v[50:51], v[64:65]
	v_add_f64 v[52:53], v[54:55], v[50:51]
	v_add_f64 v[54:55], v[52:53], -v[54:55]
	v_ldexp_f64 v[24:25], v[24:25], 1
	v_add_f64 v[50:51], v[50:51], -v[54:55]
	v_add_f64 v[24:25], v[24:25], v[50:51]
	v_add_f64 v[50:51], v[52:53], v[24:25]
	v_subbrev_co_u32_e32 v7, vcc, 0, v7, vcc
	v_add_f64 v[52:53], v[50:51], -v[52:53]
	s_mov_b32 s10, 0xfefa39ef
	v_add_f64 v[24:25], v[24:25], -v[52:53]
	v_cvt_f64_i32_e32 v[52:53], v7
	s_mov_b32 s11, 0x3fe62e42
	v_mul_f64 v[54:55], v[52:53], s[10:11]
	v_fma_f64 v[64:65], v[52:53], s[10:11], -v[54:55]
	s_mov_b32 s10, 0x3b39803f
	s_mov_b32 s11, 0x3c7abc9e
	v_fmac_f64_e32 v[64:65], s[10:11], v[52:53]
	v_add_f64 v[52:53], v[54:55], v[64:65]
	v_add_f64 v[54:55], v[52:53], -v[54:55]
	v_add_f64 v[54:55], v[64:65], -v[54:55]
	v_add_f64 v[64:65], v[52:53], v[50:51]
	v_add_f64 v[66:67], v[64:65], -v[52:53]
	v_add_f64 v[68:69], v[64:65], -v[66:67]
	;; [unrolled: 1-line block ×4, first 2 shown]
	v_add_f64 v[50:51], v[50:51], v[52:53]
	v_add_f64 v[52:53], v[54:55], v[24:25]
	v_add_f64 v[66:67], v[52:53], -v[54:55]
	v_add_f64 v[68:69], v[52:53], -v[66:67]
	v_add_f64 v[50:51], v[52:53], v[50:51]
	v_add_f64 v[54:55], v[54:55], -v[68:69]
	v_add_f64 v[24:25], v[24:25], -v[66:67]
	v_add_f64 v[52:53], v[64:65], v[50:51]
	v_add_f64 v[24:25], v[24:25], v[54:55]
	v_add_f64 v[54:55], v[52:53], -v[64:65]
	v_add_f64 v[50:51], v[50:51], -v[54:55]
	v_add_f64 v[24:25], v[24:25], v[50:51]
	s_mov_b32 s10, 0x6dc9c883
	v_add_f64 v[24:25], v[52:53], v[24:25]
	s_mov_b32 s11, 0x3fe45f30
	v_mul_f64 v[24:25], v[24:25], s[10:11]
	v_fmac_f64_e32 v[20:21], v[24:25], v[48:49]
.LBB0_107:
	s_or_b64 exec, exec, s[8:9]
.LBB0_108:
	s_or_b64 exec, exec, s[6:7]
                                        ; implicit-def: $vgpr24_vgpr25
.LBB0_109:
	s_andn2_saveexec_b64 s[6:7], s[2:3]
	s_cbranch_execz .LBB0_119
; %bb.110:
	s_mov_b32 s11, 0xbfe921fb
	s_mov_b32 s10, 0x54442d18
	;; [unrolled: 1-line block ×3, first 2 shown]
	v_add_f64 v[20:21], v[24:25], s[10:11]
	s_mov_b32 s3, 0x41d00000
	v_cmp_nlt_f64_e64 s[8:9], |v[20:21]|, s[2:3]
	v_trig_preop_f64 v[68:69], |v[20:21]|, 0
	v_trig_preop_f64 v[66:67], |v[20:21]|, 1
	;; [unrolled: 1-line block ×3, first 2 shown]
                                        ; implicit-def: $vgpr7
                                        ; implicit-def: $vgpr48_vgpr49
                                        ; implicit-def: $vgpr50_vgpr51
	s_and_saveexec_b64 s[2:3], s[8:9]
	s_xor_b64 s[12:13], exec, s[2:3]
	s_cbranch_execz .LBB0_112
; %bb.111:
	s_mov_b32 s2, 0
	s_mov_b32 s3, 0x7b000000
	s_movk_i32 s11, 0xff80
	v_and_b32_e32 v7, 0x7fffffff, v21
	v_ldexp_f64 v[48:49], |v[20:21]|, s11
	v_cmp_ge_f64_e64 vcc, |v[20:21]|, s[2:3]
	s_mov_b32 s2, 0
	s_mov_b32 s3, 0x7ff00000
	v_cndmask_b32_e32 v49, v7, v49, vcc
	v_cndmask_b32_e32 v48, v20, v48, vcc
	v_mul_f64 v[52:53], v[68:69], v[48:49]
	v_mul_f64 v[50:51], v[66:67], v[48:49]
	v_fma_f64 v[54:55], v[68:69], v[48:49], -v[52:53]
	v_add_f64 v[80:81], v[50:51], v[54:55]
	v_add_f64 v[82:83], v[52:53], v[80:81]
	v_ldexp_f64 v[84:85], v[82:83], -2
	v_fract_f64_e32 v[86:87], v[84:85]
	v_cmp_neq_f64_e64 vcc, |v[84:85]|, s[2:3]
	v_add_f64 v[52:53], v[82:83], -v[52:53]
	v_add_f64 v[52:53], v[80:81], -v[52:53]
	v_cndmask_b32_e32 v85, 0, v87, vcc
	v_cndmask_b32_e32 v84, 0, v86, vcc
	v_add_f64 v[86:87], v[80:81], -v[50:51]
	v_add_f64 v[54:55], v[54:55], -v[86:87]
	;; [unrolled: 1-line block ×4, first 2 shown]
	v_add_f64 v[54:55], v[54:55], v[86:87]
	v_fma_f64 v[50:51], v[66:67], v[48:49], -v[50:51]
	v_mul_f64 v[86:87], v[64:65], v[48:49]
	v_add_f64 v[98:99], v[86:87], v[50:51]
	v_add_f64 v[100:101], v[98:99], v[54:55]
	v_add_f64 v[82:83], v[100:101], -v[98:99]
	v_add_f64 v[54:55], v[54:55], -v[82:83]
	;; [unrolled: 1-line block ×4, first 2 shown]
	v_add_f64 v[54:55], v[54:55], v[82:83]
	v_add_f64 v[82:83], v[98:99], -v[86:87]
	v_add_f64 v[50:51], v[50:51], -v[82:83]
	;; [unrolled: 1-line block ×4, first 2 shown]
	v_add_f64 v[80:81], v[52:53], v[100:101]
	v_add_f64 v[50:51], v[50:51], v[82:83]
	v_add_f64 v[52:53], v[80:81], -v[52:53]
	v_add_f64 v[50:51], v[50:51], v[54:55]
	v_fma_f64 v[48:49], v[64:65], v[48:49], -v[86:87]
	v_add_f64 v[52:53], v[100:101], -v[52:53]
	v_add_f64 v[48:49], v[48:49], v[50:51]
	v_ldexp_f64 v[50:51], v[84:85], 2
	v_add_f64 v[48:49], v[52:53], v[48:49]
	v_add_f64 v[52:53], v[80:81], v[50:51]
	v_mov_b32_e32 v7, 0x40100000
	v_cmp_gt_f64_e32 vcc, 0, v[52:53]
	v_mov_b32_e32 v96, 0
	s_mov_b32 s11, 0x3ff921fb
	v_cndmask_b32_e32 v97, 0, v7, vcc
	v_add_f64 v[50:51], v[50:51], v[96:97]
	v_add_f64 v[52:53], v[80:81], v[50:51]
	v_cvt_i32_f64_e32 v7, v[52:53]
	v_cvt_f64_i32_e32 v[52:53], v7
	v_add_f64 v[50:51], v[50:51], -v[52:53]
	v_add_f64 v[52:53], v[80:81], v[50:51]
	v_add_f64 v[50:51], v[52:53], -v[50:51]
	v_add_f64 v[50:51], v[80:81], -v[50:51]
	v_add_f64 v[48:49], v[48:49], v[50:51]
	v_cmp_le_f64_e32 vcc, 0.5, v[52:53]
	v_mov_b32_e32 v50, 0x3ff00000
	s_nop 0
	v_cndmask_b32_e32 v97, 0, v50, vcc
	v_add_f64 v[50:51], v[52:53], -v[96:97]
	v_add_f64 v[52:53], v[50:51], v[48:49]
	v_addc_co_u32_e64 v7, s[2:3], 0, v7, vcc
	v_add_f64 v[50:51], v[52:53], -v[50:51]
	v_add_f64 v[48:49], v[48:49], -v[50:51]
	v_mul_f64 v[50:51], v[52:53], s[10:11]
	s_mov_b32 s2, 0x33145c07
	v_fma_f64 v[54:55], v[52:53], s[10:11], -v[50:51]
	s_mov_b32 s3, 0x3c91a626
	v_fmac_f64_e32 v[54:55], s[2:3], v[52:53]
	v_fmac_f64_e32 v[54:55], s[10:11], v[48:49]
	v_add_f64 v[48:49], v[50:51], v[54:55]
	v_add_f64 v[50:51], v[48:49], -v[50:51]
	v_add_f64 v[50:51], v[54:55], -v[50:51]
	s_andn2_saveexec_b64 s[2:3], s[12:13]
	s_cbranch_execz .LBB0_114
	s_branch .LBB0_113
.LBB0_112:
	s_andn2_saveexec_b64 s[2:3], s[12:13]
	s_cbranch_execz .LBB0_114
.LBB0_113:
	s_mov_b32 s10, 0x6dc9c883
	s_mov_b32 s11, 0x3fe45f30
	v_mul_f64 v[48:49], |v[20:21]|, s[10:11]
	s_mov_b32 s10, 0x54442d18
	v_rndne_f64_e32 v[52:53], v[48:49]
	s_mov_b32 s11, 0xbff921fb
	v_fma_f64 v[48:49], v[52:53], s[10:11], |v[20:21]|
	s_mov_b32 s11, 0xbc91a626
	s_mov_b32 s10, 0x33145c00
	v_mul_f64 v[54:55], v[52:53], s[10:11]
	v_add_f64 v[82:83], v[48:49], v[54:55]
	v_fma_f64 v[50:51], s[10:11], v[52:53], v[48:49]
	s_mov_b32 s11, 0x3c91a626
	v_add_f64 v[48:49], v[48:49], -v[82:83]
	v_fma_f64 v[80:81], s[10:11], v[52:53], v[54:55]
	v_add_f64 v[48:49], v[48:49], v[54:55]
	v_add_f64 v[54:55], v[82:83], -v[50:51]
	v_add_f64 v[48:49], v[54:55], v[48:49]
	s_mov_b32 s10, 0x252049c0
	v_add_f64 v[54:55], v[48:49], -v[80:81]
	s_mov_b32 s11, 0xb97b839a
	v_fmac_f64_e32 v[54:55], s[10:11], v[52:53]
	v_add_f64 v[48:49], v[50:51], v[54:55]
	v_add_f64 v[50:51], v[48:49], -v[50:51]
	v_add_f64 v[50:51], v[54:55], -v[50:51]
	v_cvt_i32_f64_e32 v7, v[52:53]
.LBB0_114:
	s_or_b64 exec, exec, s[2:3]
                                        ; implicit-def: $vgpr71
                                        ; implicit-def: $vgpr52_vgpr53
                                        ; implicit-def: $vgpr54_vgpr55
	s_and_saveexec_b64 s[2:3], s[8:9]
	s_xor_b64 s[8:9], exec, s[2:3]
	s_cbranch_execz .LBB0_116
; %bb.115:
	s_mov_b32 s2, 0
	s_mov_b32 s3, 0x7b000000
	s_movk_i32 s10, 0xff80
	v_and_b32_e32 v54, 0x7fffffff, v21
	v_ldexp_f64 v[52:53], |v[20:21]|, s10
	v_cmp_ge_f64_e64 vcc, |v[20:21]|, s[2:3]
	s_mov_b32 s2, 0
	s_mov_b32 s3, 0x7ff00000
	v_cndmask_b32_e32 v53, v54, v53, vcc
	v_cndmask_b32_e32 v52, v20, v52, vcc
	v_mul_f64 v[80:81], v[68:69], v[52:53]
	v_mul_f64 v[54:55], v[66:67], v[52:53]
	v_fma_f64 v[68:69], v[68:69], v[52:53], -v[80:81]
	v_add_f64 v[82:83], v[54:55], v[68:69]
	v_add_f64 v[84:85], v[80:81], v[82:83]
	v_ldexp_f64 v[86:87], v[84:85], -2
	v_fract_f64_e32 v[96:97], v[86:87]
	v_cmp_neq_f64_e64 vcc, |v[86:87]|, s[2:3]
	v_add_f64 v[80:81], v[84:85], -v[80:81]
	v_add_f64 v[80:81], v[82:83], -v[80:81]
	v_cndmask_b32_e32 v87, 0, v97, vcc
	v_cndmask_b32_e32 v86, 0, v96, vcc
	v_add_f64 v[96:97], v[82:83], -v[54:55]
	v_add_f64 v[68:69], v[68:69], -v[96:97]
	;; [unrolled: 1-line block ×4, first 2 shown]
	v_fma_f64 v[54:55], v[66:67], v[52:53], -v[54:55]
	v_mul_f64 v[66:67], v[64:65], v[52:53]
	v_add_f64 v[68:69], v[68:69], v[96:97]
	v_add_f64 v[96:97], v[66:67], v[54:55]
	;; [unrolled: 1-line block ×3, first 2 shown]
	v_add_f64 v[84:85], v[100:101], -v[96:97]
	v_add_f64 v[68:69], v[68:69], -v[84:85]
	;; [unrolled: 1-line block ×4, first 2 shown]
	v_add_f64 v[68:69], v[68:69], v[84:85]
	v_add_f64 v[84:85], v[96:97], -v[66:67]
	v_add_f64 v[54:55], v[54:55], -v[84:85]
	;; [unrolled: 1-line block ×4, first 2 shown]
	v_add_f64 v[54:55], v[54:55], v[84:85]
	v_add_f64 v[54:55], v[54:55], v[68:69]
	v_fma_f64 v[52:53], v[64:65], v[52:53], -v[66:67]
	v_add_f64 v[82:83], v[80:81], v[100:101]
	v_add_f64 v[52:53], v[52:53], v[54:55]
	v_ldexp_f64 v[54:55], v[86:87], 2
	v_add_f64 v[64:65], v[82:83], v[54:55]
	v_mov_b32_e32 v66, 0x40100000
	v_cmp_gt_f64_e32 vcc, 0, v[64:65]
	v_mov_b32_e32 v98, 0
	v_add_f64 v[80:81], v[82:83], -v[80:81]
	v_cndmask_b32_e32 v99, 0, v66, vcc
	v_add_f64 v[54:55], v[54:55], v[98:99]
	v_add_f64 v[64:65], v[82:83], v[54:55]
	v_cvt_i32_f64_e32 v66, v[64:65]
	v_cvt_f64_i32_e32 v[64:65], v66
	v_add_f64 v[54:55], v[54:55], -v[64:65]
	v_add_f64 v[64:65], v[82:83], v[54:55]
	v_add_f64 v[80:81], v[100:101], -v[80:81]
	v_add_f64 v[54:55], v[64:65], -v[54:55]
	v_add_f64 v[52:53], v[80:81], v[52:53]
	v_add_f64 v[54:55], v[82:83], -v[54:55]
	v_add_f64 v[52:53], v[52:53], v[54:55]
	v_cmp_le_f64_e32 vcc, 0.5, v[64:65]
	v_mov_b32_e32 v54, 0x3ff00000
	s_mov_b32 s10, 0x33145c07
	v_cndmask_b32_e32 v99, 0, v54, vcc
	v_addc_co_u32_e64 v71, s[2:3], 0, v66, vcc
	v_add_f64 v[54:55], v[64:65], -v[98:99]
	v_add_f64 v[64:65], v[54:55], v[52:53]
	s_mov_b32 s2, 0x54442d18
	v_add_f64 v[54:55], v[64:65], -v[54:55]
	s_mov_b32 s3, 0x3ff921fb
	v_add_f64 v[52:53], v[52:53], -v[54:55]
	v_mul_f64 v[54:55], v[64:65], s[2:3]
	v_fma_f64 v[66:67], v[64:65], s[2:3], -v[54:55]
	s_mov_b32 s11, 0x3c91a626
	v_fmac_f64_e32 v[66:67], s[10:11], v[64:65]
	v_fmac_f64_e32 v[66:67], s[2:3], v[52:53]
	v_add_f64 v[52:53], v[54:55], v[66:67]
	v_add_f64 v[54:55], v[52:53], -v[54:55]
	v_add_f64 v[54:55], v[66:67], -v[54:55]
	s_andn2_saveexec_b64 s[2:3], s[8:9]
	s_cbranch_execnz .LBB0_117
	s_branch .LBB0_118
.LBB0_116:
	s_andn2_saveexec_b64 s[2:3], s[8:9]
	s_cbranch_execz .LBB0_118
.LBB0_117:
	s_mov_b32 s8, 0x6dc9c883
	s_mov_b32 s9, 0x3fe45f30
	v_mul_f64 v[52:53], |v[20:21]|, s[8:9]
	s_mov_b32 s8, 0x54442d18
	v_rndne_f64_e32 v[64:65], v[52:53]
	s_mov_b32 s9, 0xbff921fb
	v_fma_f64 v[52:53], v[64:65], s[8:9], |v[20:21]|
	s_mov_b32 s9, 0xbc91a626
	s_mov_b32 s8, 0x33145c00
	v_mul_f64 v[66:67], v[64:65], s[8:9]
	v_add_f64 v[80:81], v[52:53], v[66:67]
	v_fma_f64 v[54:55], s[8:9], v[64:65], v[52:53]
	s_mov_b32 s9, 0x3c91a626
	v_add_f64 v[52:53], v[52:53], -v[80:81]
	v_fma_f64 v[68:69], s[8:9], v[64:65], v[66:67]
	v_add_f64 v[52:53], v[52:53], v[66:67]
	v_add_f64 v[66:67], v[80:81], -v[54:55]
	v_add_f64 v[52:53], v[66:67], v[52:53]
	s_mov_b32 s8, 0x252049c0
	v_add_f64 v[66:67], v[52:53], -v[68:69]
	s_mov_b32 s9, 0xb97b839a
	v_fmac_f64_e32 v[66:67], s[8:9], v[64:65]
	v_add_f64 v[52:53], v[54:55], v[66:67]
	v_add_f64 v[54:55], v[52:53], -v[54:55]
	v_add_f64 v[54:55], v[66:67], -v[54:55]
	v_cvt_i32_f64_e32 v71, v[64:65]
.LBB0_118:
	s_or_b64 exec, exec, s[2:3]
	s_mov_b32 s2, 0
	v_mul_f64 v[64:65], v[24:25], v[24:25]
	s_mov_b32 s3, 0x40390000
	v_div_scale_f64 v[66:67], s[8:9], v[64:65], v[64:65], s[2:3]
	v_rcp_f64_e32 v[68:69], v[66:67]
	v_mov_b32_e32 v84, 0xb1759c7f
	v_mov_b32_e32 v85, 0x408ac370
	;; [unrolled: 1-line block ×3, first 2 shown]
	v_fma_f64 v[80:81], -v[66:67], v[68:69], 1.0
	v_fmac_f64_e32 v[68:69], v[68:69], v[80:81]
	v_fma_f64 v[80:81], -v[66:67], v[68:69], 1.0
	v_fmac_f64_e32 v[68:69], v[68:69], v[80:81]
	v_div_scale_f64 v[80:81], vcc, s[2:3], v[64:65], s[2:3]
	v_mul_f64 v[82:83], v[80:81], v[68:69]
	v_fma_f64 v[66:67], -v[66:67], v[82:83], v[80:81]
	v_mov_b32_e32 v80, 0xab5454e3
	s_nop 0
	v_div_fmas_f64 v[66:67], v[66:67], v[68:69], v[82:83]
	v_div_fixup_f64 v[64:65], v[66:67], v[64:65], s[2:3]
	v_mov_b32_e32 v66, 0x983b6b27
	v_mov_b32_e32 v67, 0x3f4a1d30
	v_fmac_f64_e32 v[66:67], 0, v[64:65]
	v_mov_b32_e32 v68, 0xb35dd1cf
	v_mov_b32_e32 v69, 0x3fb534b0
	v_fmac_f64_e32 v[68:69], v[64:65], v[66:67]
	;; [unrolled: 3-line block ×7, first 2 shown]
	v_mov_b32_e32 v81, 0x3fb5ebc5
	v_fmac_f64_e32 v[80:81], v[64:65], v[66:67]
	v_mov_b32_e32 v66, 0xc9b3069f
	v_mov_b32_e32 v67, 0x3ff40e72
	v_fmac_f64_e32 v[66:67], v[64:65], v[80:81]
	v_mov_b32_e32 v80, 0xe68162bb
	;; [unrolled: 3-line block ×4, first 2 shown]
	v_mov_b32_e32 v81, 0x40153965
	v_fmac_f64_e32 v[80:81], v[64:65], v[66:67]
	v_fma_f64 v[66:67], v[64:65], v[80:81], 1.0
	v_mov_b32_e32 v80, 0x38a5384a
	v_mov_b32_e32 v81, 0xbf874742
	v_fmac_f64_e32 v[80:81], 0, v[64:65]
	v_mov_b32_e32 v82, 0x3a321174
	v_mov_b32_e32 v83, 0xbff4853b
	v_fmac_f64_e32 v[82:83], v[64:65], v[80:81]
	;; [unrolled: 3-line block ×9, first 2 shown]
	v_fmac_f64_e32 v[84:85], v[64:65], v[80:81]
	v_mov_b32_e32 v80, 0xbd748cb5
	v_mov_b32_e32 v81, 0x40ae54cd
	v_fmac_f64_e32 v[80:81], v[64:65], v[84:85]
	v_mov_b32_e32 v84, 0xbdefd63e
	v_mov_b32_e32 v85, 0x40bc4877
	;; [unrolled: 3-line block ×4, first 2 shown]
	v_fma_f64 v[68:69], v[64:65], v[68:69], 1.0
	v_fmac_f64_e32 v[84:85], v[64:65], v[80:81]
	v_div_scale_f64 v[80:81], s[2:3], v[66:67], v[66:67], v[68:69]
	v_rcp_f64_e32 v[86:87], v[80:81]
	v_mov_b32_e32 v97, 0x406e402f
	v_fmac_f64_e32 v[96:97], v[64:65], v[84:85]
	s_mov_b32 s2, 0x9037ab78
	v_fma_f64 v[64:65], -v[80:81], v[86:87], 1.0
	v_fmac_f64_e32 v[86:87], v[86:87], v[64:65]
	v_fma_f64 v[64:65], -v[80:81], v[86:87], 1.0
	v_fmac_f64_e32 v[86:87], v[86:87], v[64:65]
	v_div_scale_f64 v[64:65], vcc, v[68:69], v[66:67], v[68:69]
	v_mul_f64 v[84:85], v[64:65], v[86:87]
	v_fma_f64 v[64:65], -v[80:81], v[84:85], v[64:65]
	s_mov_b32 s3, 0x3e21eeb6
	s_nop 0
	v_div_fmas_f64 v[64:65], v[64:65], v[86:87], v[84:85]
	s_mov_b32 s8, 0x46cc5e42
	v_div_fixup_f64 v[64:65], v[64:65], v[66:67], v[68:69]
	v_mul_f64 v[66:67], v[48:49], v[48:49]
	s_mov_b32 s9, 0xbda907db
	v_mov_b64_e32 v[86:87], s[2:3]
	s_mov_b32 s10, 0xa17f65f6
	v_mul_f64 v[68:69], v[66:67], 0.5
	v_fma_f64 v[98:99], s[8:9], v[66:67], v[86:87]
	s_mov_b32 s11, 0xbe927e4f
	s_mov_b32 s12, 0x19f4ec90
	v_add_f64 v[80:81], -v[68:69], 1.0
	v_fma_f64 v[98:99], v[66:67], v[98:99], s[10:11]
	s_mov_b32 s13, 0x3efa01a0
	s_mov_b32 s14, 0x16c16967
	v_add_f64 v[84:85], -v[80:81], 1.0
	v_fma_f64 v[98:99], v[66:67], v[98:99], s[12:13]
	s_mov_b32 s15, 0xbf56c16c
	s_mov_b32 s16, 0x55555555
	v_add_f64 v[68:69], v[84:85], -v[68:69]
	v_fma_f64 v[98:99], v[66:67], v[98:99], s[14:15]
	s_mov_b32 s17, 0x3fa55555
	v_mul_f64 v[84:85], v[66:67], v[66:67]
	v_fma_f64 v[98:99], v[66:67], v[98:99], s[16:17]
	v_fma_f64 v[68:69], v[48:49], -v[50:51], v[68:69]
	s_mov_b32 s2, 0xb42fdfa7
	v_fmac_f64_e32 v[68:69], v[84:85], v[98:99]
	s_mov_b32 s3, 0xbe5ae600
	s_mov_b32 s18, 0xf9a43bb8
	v_add_f64 v[68:69], v[80:81], v[68:69]
	s_mov_b32 s19, 0x3de5e0b2
	v_mov_b64_e32 v[80:81], s[2:3]
	s_mov_b32 s22, 0x796cde01
	v_fma_f64 v[84:85], s[18:19], v[66:67], v[80:81]
	s_mov_b32 s23, 0x3ec71de3
	s_mov_b32 s24, 0x19e83e5c
	v_fma_f64 v[84:85], v[66:67], v[84:85], s[22:23]
	s_mov_b32 s25, 0xbf2a01a0
	s_mov_b32 s26, 0x11110bb3
	v_fma_f64 v[84:85], v[66:67], v[84:85], s[24:25]
	s_mov_b32 s27, 0x3f811111
	v_fma_f64 v[84:85], v[66:67], v[84:85], s[26:27]
	v_mul_f64 v[98:99], v[48:49], -v[66:67]
	v_mul_f64 v[100:101], v[50:51], 0.5
	v_fmac_f64_e32 v[100:101], v[98:99], v[84:85]
	v_fma_f64 v[50:51], v[66:67], v[100:101], -v[50:51]
	s_mov_b32 s29, 0xbfc55555
	s_mov_b32 s28, s16
	v_fmac_f64_e32 v[50:51], s[28:29], v[98:99]
	v_add_f64 v[48:49], v[48:49], -v[50:51]
	v_and_b32_e32 v50, 1, v7
	v_lshlrev_b32_e32 v7, 30, v7
	v_cmp_eq_u32_e32 vcc, 0, v50
	v_xor_b32_e32 v7, v7, v21
	s_mov_b32 s30, 0
	v_cndmask_b32_e32 v66, v68, v48, vcc
	v_cndmask_b32_e32 v48, v69, v49, vcc
	v_and_b32_e32 v7, 0x80000000, v7
	s_mov_b32 s31, 0x40140000
	v_xor_b32_e32 v7, v48, v7
	v_div_scale_f64 v[48:49], s[2:3], v[24:25], v[24:25], s[30:31]
	v_rcp_f64_e32 v[50:51], v[48:49]
	s_movk_i32 s21, 0x1f8
	v_cmp_class_f64_e64 s[2:3], v[20:21], s21
	v_mov_b32_e32 v98, 0x7ff80000
	s_nop 0
	v_cndmask_b32_e64 v20, 0, v66, s[2:3]
	v_fma_f64 v[66:67], -v[48:49], v[50:51], 1.0
	v_fmac_f64_e32 v[50:51], v[50:51], v[66:67]
	v_fma_f64 v[66:67], -v[48:49], v[50:51], 1.0
	v_fmac_f64_e32 v[50:51], v[50:51], v[66:67]
	v_div_scale_f64 v[66:67], vcc, s[30:31], v[24:25], s[30:31]
	v_mul_f64 v[68:69], v[66:67], v[50:51]
	v_fma_f64 v[48:49], -v[48:49], v[68:69], v[66:67]
	v_div_scale_f64 v[66:67], s[34:35], v[96:97], v[96:97], v[82:83]
	v_rcp_f64_e32 v[84:85], v[66:67]
	v_div_fmas_f64 v[48:49], v[48:49], v[50:51], v[68:69]
	v_div_fixup_f64 v[48:49], v[48:49], v[24:25], s[30:31]
	v_cndmask_b32_e64 v21, v98, v7, s[2:3]
	v_fma_f64 v[50:51], -v[66:67], v[84:85], 1.0
	v_fmac_f64_e32 v[84:85], v[84:85], v[50:51]
	v_fma_f64 v[50:51], -v[66:67], v[84:85], 1.0
	v_fmac_f64_e32 v[84:85], v[84:85], v[50:51]
	v_div_scale_f64 v[50:51], vcc, v[82:83], v[96:97], v[82:83]
	v_mul_f64 v[68:69], v[50:51], v[84:85]
	v_fma_f64 v[50:51], -v[66:67], v[68:69], v[50:51]
	s_nop 1
	v_div_fmas_f64 v[50:51], v[50:51], v[84:85], v[68:69]
	v_div_fixup_f64 v[50:51], v[50:51], v[96:97], v[82:83]
	v_mul_f64 v[48:49], v[48:49], v[50:51]
	v_mul_f64 v[50:51], v[52:53], v[52:53]
	v_mul_f64 v[66:67], v[50:51], 0.5
	v_fmac_f64_e32 v[86:87], s[8:9], v[50:51]
	v_add_f64 v[68:69], -v[66:67], 1.0
	v_fma_f64 v[84:85], v[50:51], v[86:87], s[10:11]
	v_add_f64 v[82:83], -v[68:69], 1.0
	v_fma_f64 v[84:85], v[50:51], v[84:85], s[12:13]
	v_add_f64 v[66:67], v[82:83], -v[66:67]
	v_fma_f64 v[84:85], v[50:51], v[84:85], s[14:15]
	v_mul_f64 v[82:83], v[50:51], v[50:51]
	v_fma_f64 v[84:85], v[50:51], v[84:85], s[16:17]
	v_fma_f64 v[66:67], v[52:53], -v[54:55], v[66:67]
	v_fmac_f64_e32 v[66:67], v[82:83], v[84:85]
	v_fmac_f64_e32 v[80:81], s[18:19], v[50:51]
	v_add_f64 v[66:67], v[68:69], v[66:67]
	v_fma_f64 v[68:69], v[50:51], v[80:81], s[22:23]
	v_fma_f64 v[68:69], v[50:51], v[68:69], s[24:25]
	;; [unrolled: 1-line block ×3, first 2 shown]
	v_mul_f64 v[80:81], v[52:53], -v[50:51]
	v_mul_f64 v[82:83], v[54:55], 0.5
	v_fmac_f64_e32 v[82:83], v[80:81], v[68:69]
	v_fma_f64 v[50:51], v[50:51], v[82:83], -v[54:55]
	v_fmac_f64_e32 v[50:51], s[28:29], v[80:81]
	v_add_f64 v[50:51], v[52:53], -v[50:51]
	v_xor_b32_e32 v7, 0x80000000, v51
	v_and_b32_e32 v51, 1, v71
	v_cmp_eq_u32_e32 vcc, 0, v51
	v_lshlrev_b32_e32 v51, 30, v71
	v_and_b32_e32 v51, 0x80000000, v51
	v_cndmask_b32_e32 v7, v7, v67, vcc
	v_cndmask_b32_e32 v50, v50, v66, vcc
	v_xor_b32_e32 v7, v7, v51
	v_cndmask_b32_e64 v50, 0, v50, s[2:3]
	v_cndmask_b32_e64 v51, v98, v7, s[2:3]
	s_mov_b32 s2, 0
	s_brev_b32 s3, 8
	v_cmp_gt_f64_e32 vcc, s[2:3], v[24:25]
	v_mul_f64 v[48:49], v[48:49], v[50:51]
	v_fmac_f64_e32 v[48:49], v[64:65], v[20:21]
	v_cndmask_b32_e64 v7, 0, 1, vcc
	v_lshlrev_b32_e32 v7, 8, v7
	v_ldexp_f64 v[20:21], v[24:25], v7
	v_rsq_f64_e32 v[24:25], v[20:21]
	v_mov_b32_e32 v7, 0xffffff80
	v_cndmask_b32_e32 v7, 0, v7, vcc
	s_mov_b32 s2, 0x33d43651
	v_mul_f64 v[50:51], v[20:21], v[24:25]
	v_mul_f64 v[24:25], v[24:25], 0.5
	v_fma_f64 v[52:53], -v[24:25], v[50:51], 0.5
	v_fmac_f64_e32 v[50:51], v[50:51], v[52:53]
	v_fma_f64 v[54:55], -v[50:51], v[50:51], v[20:21]
	v_fmac_f64_e32 v[24:25], v[24:25], v[52:53]
	v_fmac_f64_e32 v[50:51], v[54:55], v[24:25]
	v_fma_f64 v[52:53], -v[50:51], v[50:51], v[20:21]
	v_fmac_f64_e32 v[50:51], v[52:53], v[24:25]
	v_ldexp_f64 v[24:25], v[50:51], v7
	v_mov_b32_e32 v7, 0x260
	s_mov_b32 s3, 0x3fe98845
	v_cmp_class_f64_e32 vcc, v[20:21], v7
	v_mul_f64 v[48:49], v[48:49], s[2:3]
	s_nop 0
	v_cndmask_b32_e32 v21, v25, v21, vcc
	v_cndmask_b32_e32 v20, v24, v20, vcc
	v_div_scale_f64 v[24:25], s[2:3], v[20:21], v[20:21], v[48:49]
	v_rcp_f64_e32 v[50:51], v[24:25]
	s_nop 0
	v_fma_f64 v[52:53], -v[24:25], v[50:51], 1.0
	v_fmac_f64_e32 v[50:51], v[50:51], v[52:53]
	v_fma_f64 v[52:53], -v[24:25], v[50:51], 1.0
	v_fmac_f64_e32 v[50:51], v[50:51], v[52:53]
	v_div_scale_f64 v[52:53], vcc, v[48:49], v[20:21], v[48:49]
	v_mul_f64 v[54:55], v[52:53], v[50:51]
	v_fma_f64 v[24:25], -v[24:25], v[54:55], v[52:53]
	s_nop 1
	v_div_fmas_f64 v[24:25], v[24:25], v[50:51], v[54:55]
	v_div_fixup_f64 v[20:21], v[24:25], v[20:21], v[48:49]
.LBB0_119:
	s_or_b64 exec, exec, s[6:7]
.LBB0_120:
	s_or_b64 exec, exec, s[4:5]
	v_or_b32_e32 v7, 0x400, v5
	v_cmp_lt_i32_e32 vcc, v7, v4
                                        ; implicit-def: $vgpr24_vgpr25
	s_and_saveexec_b64 s[4:5], vcc
	s_cbranch_execz .LBB0_142
; %bb.121:
	s_mov_b32 s2, 0
	s_mov_b32 s3, 0x40140000
	s_waitcnt vmcnt(0) lgkmcnt(0)
	v_cmp_ge_f64_e32 vcc, s[2:3], v[28:29]
                                        ; implicit-def: $vgpr24_vgpr25
	s_and_saveexec_b64 s[2:3], vcc
	s_xor_b64 s[2:3], exec, s[2:3]
	s_cbranch_execz .LBB0_131
; %bb.122:
	v_mov_b32_e32 v24, 0
	v_cmp_neq_f64_e32 vcc, 0, v[28:29]
	v_mov_b32_e32 v25, 0xfff00000
	s_and_saveexec_b64 s[6:7], vcc
	s_cbranch_execz .LBB0_130
; %bb.123:
	v_mov_b32_e32 v24, 0
	v_cmp_ngt_f64_e32 vcc, 0, v[28:29]
	v_mov_b32_e32 v25, 0x7ff80000
	s_and_saveexec_b64 s[8:9], vcc
	s_cbranch_execz .LBB0_129
; %bb.124:
	s_mov_b32 s10, 0x88e368f1
	v_mul_f64 v[24:25], v[28:29], v[28:29]
	s_mov_b32 s11, 0x3ee4f8b5
	v_mul_f64 v[50:51], v[24:25], 0
	v_cmp_ngt_f64_e32 vcc, s[10:11], v[28:29]
                                        ; implicit-def: $vgpr48_vgpr49
	s_and_saveexec_b64 s[10:11], vcc
	s_xor_b64 s[10:11], exec, s[10:11]
	s_cbranch_execz .LBB0_126
; %bb.125:
	s_mov_b32 s12, 0xad1c8325
	s_mov_b32 s13, 0xc1f1dc53
	v_add_f64 v[48:49], v[50:51], s[12:13]
	v_mov_b32_e32 v52, 0xc772990d
	v_mov_b32_e32 v53, 0x427c7751
	s_mov_b32 s12, 0xa696b78c
	v_fmac_f64_e32 v[52:53], v[24:25], v[48:49]
	v_mov_b32_e32 v48, 0xe0d900f7
	v_mov_b32_e32 v49, 0xc2ec5614
	s_mov_b32 s13, 0x407f3902
	v_fmac_f64_e32 v[48:49], v[24:25], v[52:53]
	v_add_f64 v[52:53], v[50:51], s[12:13]
	v_mov_b32_e32 v54, 0x36a21a67
	v_mov_b32_e32 v55, 0x410536cb
	v_fmac_f64_e32 v[54:55], v[24:25], v[52:53]
	v_mov_b32_e32 v52, 0x2eac0634
	v_mov_b32_e32 v53, 0x41871934
	v_fmac_f64_e32 v[52:53], v[24:25], v[54:55]
	;; [unrolled: 3-line block ×6, first 2 shown]
	v_mov_b32_e32 v54, 0xc7b662cc
	v_mov_b32_e32 v55, 0x43b7be34
	s_mov_b32 s12, 0x80462bbb
	v_fmac_f64_e32 v[54:55], v[24:25], v[52:53]
	v_mov_b32_e32 v52, 0x69ff5fb4
	v_mov_b32_e32 v53, 0x43413ef8
	s_mov_b32 s13, 0xc01721fb
	v_fmac_f64_e32 v[52:53], v[24:25], v[48:49]
	v_add_f64 v[48:49], v[24:25], s[12:13]
	s_mov_b32 s12, 0xa621dd6f
	s_mov_b32 s13, 0xc03e78a4
	v_add_f64 v[64:65], v[24:25], s[12:13]
	v_mul_f64 v[48:49], v[48:49], v[64:65]
	v_mul_f64 v[48:49], v[48:49], v[52:53]
	v_div_scale_f64 v[52:53], s[12:13], v[54:55], v[54:55], v[48:49]
	v_rcp_f64_e32 v[64:65], v[52:53]
	s_nop 0
	v_fma_f64 v[66:67], -v[52:53], v[64:65], 1.0
	v_fmac_f64_e32 v[64:65], v[64:65], v[66:67]
	v_fma_f64 v[66:67], -v[52:53], v[64:65], 1.0
	v_fmac_f64_e32 v[64:65], v[64:65], v[66:67]
	v_div_scale_f64 v[66:67], vcc, v[48:49], v[54:55], v[48:49]
	v_mul_f64 v[68:69], v[66:67], v[64:65]
	v_fma_f64 v[52:53], -v[52:53], v[68:69], v[66:67]
	s_nop 1
	v_div_fmas_f64 v[52:53], v[52:53], v[64:65], v[68:69]
	v_div_fixup_f64 v[48:49], v[52:53], v[54:55], v[48:49]
.LBB0_126:
	s_andn2_saveexec_b64 s[10:11], s[10:11]
; %bb.127:
	s_mov_b32 s12, 0
	s_mov_b32 s13, 0xbfd00000
	v_fma_f64 v[48:49], v[24:25], s[12:13], 1.0
; %bb.128:
	s_or_b64 exec, exec, s[10:11]
	s_mov_b32 s10, 0xe896898f
	s_mov_b32 s11, 0x40ce7437
	v_add_f64 v[52:53], v[50:51], s[10:11]
	v_mov_b32_e32 v54, 0x32e48896
	v_mov_b32_e32 v55, 0xc16bf81f
	v_fmac_f64_e32 v[54:55], v[24:25], v[52:53]
	v_mov_b32_e32 v52, 0xf0284cdd
	v_mov_b32_e32 v53, 0x41f43f78
	v_fmac_f64_e32 v[52:53], v[24:25], v[54:55]
	;; [unrolled: 3-line block ×4, first 2 shown]
	v_mov_b32_e32 v54, 0xd1d8cc02
	v_mov_b32_e32 v55, 0xc328a121
	s_mov_b32 s10, 0x576dfcb6
	v_fmac_f64_e32 v[54:55], v[24:25], v[52:53]
	v_mov_b32_e32 v52, 0x660b4003
	v_mov_b32_e32 v53, 0x4363a94b
	s_mov_b32 s11, 0x40904522
	v_fmac_f64_e32 v[52:53], v[24:25], v[54:55]
	v_add_f64 v[50:51], v[50:51], s[10:11]
	v_mov_b32_e32 v54, 0xa907bc0c
	v_mov_b32_e32 v55, 0x41231b76
	v_fmac_f64_e32 v[54:55], v[24:25], v[50:51]
	v_mov_b32_e32 v50, 0x5164d101
	v_mov_b32_e32 v51, 0x41b00763
	v_fmac_f64_e32 v[50:51], v[24:25], v[54:55]
	;; [unrolled: 3-line block ×7, first 2 shown]
	v_div_scale_f64 v[24:25], s[10:11], v[50:51], v[50:51], v[54:55]
	v_rcp_f64_e32 v[52:53], v[24:25]
	s_mov_b32 s10, 0x55555555
	v_frexp_exp_i32_f64_e32 v7, v[28:29]
	v_frexp_mant_f64_e32 v[28:29], v[28:29]
	v_fma_f64 v[64:65], -v[24:25], v[52:53], 1.0
	v_fmac_f64_e32 v[52:53], v[52:53], v[64:65]
	v_fma_f64 v[64:65], -v[24:25], v[52:53], 1.0
	v_fmac_f64_e32 v[52:53], v[52:53], v[64:65]
	v_div_scale_f64 v[64:65], vcc, v[54:55], v[50:51], v[54:55]
	v_mul_f64 v[66:67], v[64:65], v[52:53]
	v_fma_f64 v[24:25], -v[24:25], v[66:67], v[64:65]
	s_mov_b32 s11, 0x3fe55555
	s_nop 0
	v_div_fmas_f64 v[24:25], v[24:25], v[52:53], v[66:67]
	v_div_fixup_f64 v[24:25], v[24:25], v[50:51], v[54:55]
	v_mov_b32_e32 v50, 0x3ff00000
	v_cmp_gt_f64_e32 vcc, s[10:11], v[28:29]
	s_mov_b32 s10, 0xbf559e2b
	s_mov_b32 s11, 0x3fc3ab76
	v_cndmask_b32_e64 v51, v50, 2.0, vcc
	v_mov_b32_e32 v50, 0
	v_mul_f64 v[28:29], v[28:29], v[50:51]
	v_add_f64 v[50:51], v[28:29], 1.0
	v_rcp_f64_e32 v[52:53], v[50:51]
	v_add_f64 v[64:65], v[50:51], -1.0
	v_add_f64 v[54:55], v[28:29], -1.0
	v_add_f64 v[28:29], v[28:29], -v[64:65]
	v_fma_f64 v[64:65], -v[50:51], v[52:53], 1.0
	v_fmac_f64_e32 v[52:53], v[64:65], v[52:53]
	v_fma_f64 v[64:65], -v[50:51], v[52:53], 1.0
	v_fmac_f64_e32 v[52:53], v[64:65], v[52:53]
	v_mul_f64 v[64:65], v[54:55], v[52:53]
	v_mul_f64 v[66:67], v[50:51], v[64:65]
	v_fma_f64 v[50:51], v[64:65], v[50:51], -v[66:67]
	v_fmac_f64_e32 v[50:51], v[64:65], v[28:29]
	v_add_f64 v[28:29], v[66:67], v[50:51]
	v_add_f64 v[68:69], v[54:55], -v[28:29]
	v_add_f64 v[66:67], v[28:29], -v[66:67]
	;; [unrolled: 1-line block ×5, first 2 shown]
	v_add_f64 v[28:29], v[50:51], v[28:29]
	v_add_f64 v[28:29], v[68:69], v[28:29]
	v_mul_f64 v[28:29], v[52:53], v[28:29]
	v_add_f64 v[50:51], v[64:65], v[28:29]
	v_add_f64 v[52:53], v[50:51], -v[64:65]
	v_add_f64 v[28:29], v[28:29], -v[52:53]
	v_mul_f64 v[52:53], v[50:51], v[50:51]
	v_mov_b32_e32 v54, 0x6b47b09a
	v_mov_b32_e32 v55, 0x3fc38538
	v_fmac_f64_e32 v[54:55], s[10:11], v[52:53]
	v_mov_b32_e32 v64, 0xd7f4df2e
	v_mov_b32_e32 v65, 0x3fc7474d
	v_fmac_f64_e32 v[64:65], v[52:53], v[54:55]
	;; [unrolled: 3-line block ×6, first 2 shown]
	v_ldexp_f64 v[54:55], v[50:51], 1
	v_mul_f64 v[50:51], v[50:51], v[52:53]
	v_mul_f64 v[50:51], v[50:51], v[64:65]
	v_add_f64 v[52:53], v[54:55], v[50:51]
	v_add_f64 v[54:55], v[52:53], -v[54:55]
	v_ldexp_f64 v[28:29], v[28:29], 1
	v_add_f64 v[50:51], v[50:51], -v[54:55]
	v_add_f64 v[28:29], v[28:29], v[50:51]
	v_add_f64 v[50:51], v[52:53], v[28:29]
	v_subbrev_co_u32_e32 v7, vcc, 0, v7, vcc
	v_add_f64 v[52:53], v[50:51], -v[52:53]
	s_mov_b32 s10, 0xfefa39ef
	v_add_f64 v[28:29], v[28:29], -v[52:53]
	v_cvt_f64_i32_e32 v[52:53], v7
	s_mov_b32 s11, 0x3fe62e42
	v_mul_f64 v[54:55], v[52:53], s[10:11]
	v_fma_f64 v[64:65], v[52:53], s[10:11], -v[54:55]
	s_mov_b32 s10, 0x3b39803f
	s_mov_b32 s11, 0x3c7abc9e
	v_fmac_f64_e32 v[64:65], s[10:11], v[52:53]
	v_add_f64 v[52:53], v[54:55], v[64:65]
	v_add_f64 v[54:55], v[52:53], -v[54:55]
	v_add_f64 v[54:55], v[64:65], -v[54:55]
	v_add_f64 v[64:65], v[52:53], v[50:51]
	v_add_f64 v[66:67], v[64:65], -v[52:53]
	v_add_f64 v[68:69], v[64:65], -v[66:67]
	;; [unrolled: 1-line block ×4, first 2 shown]
	v_add_f64 v[50:51], v[50:51], v[52:53]
	v_add_f64 v[52:53], v[54:55], v[28:29]
	v_add_f64 v[66:67], v[52:53], -v[54:55]
	v_add_f64 v[68:69], v[52:53], -v[66:67]
	v_add_f64 v[50:51], v[52:53], v[50:51]
	v_add_f64 v[54:55], v[54:55], -v[68:69]
	v_add_f64 v[28:29], v[28:29], -v[66:67]
	v_add_f64 v[52:53], v[64:65], v[50:51]
	v_add_f64 v[28:29], v[28:29], v[54:55]
	v_add_f64 v[54:55], v[52:53], -v[64:65]
	v_add_f64 v[50:51], v[50:51], -v[54:55]
	v_add_f64 v[28:29], v[28:29], v[50:51]
	s_mov_b32 s10, 0x6dc9c883
	v_add_f64 v[28:29], v[52:53], v[28:29]
	s_mov_b32 s11, 0x3fe45f30
	v_mul_f64 v[28:29], v[28:29], s[10:11]
	v_fmac_f64_e32 v[24:25], v[28:29], v[48:49]
.LBB0_129:
	s_or_b64 exec, exec, s[8:9]
.LBB0_130:
	s_or_b64 exec, exec, s[6:7]
                                        ; implicit-def: $vgpr28_vgpr29
.LBB0_131:
	s_andn2_saveexec_b64 s[6:7], s[2:3]
	s_cbranch_execz .LBB0_141
; %bb.132:
	s_mov_b32 s11, 0xbfe921fb
	s_mov_b32 s10, 0x54442d18
	;; [unrolled: 1-line block ×3, first 2 shown]
	v_add_f64 v[24:25], v[28:29], s[10:11]
	s_mov_b32 s3, 0x41d00000
	v_cmp_nlt_f64_e64 s[8:9], |v[24:25]|, s[2:3]
	v_trig_preop_f64 v[68:69], |v[24:25]|, 0
	v_trig_preop_f64 v[66:67], |v[24:25]|, 1
	;; [unrolled: 1-line block ×3, first 2 shown]
                                        ; implicit-def: $vgpr7
                                        ; implicit-def: $vgpr48_vgpr49
                                        ; implicit-def: $vgpr50_vgpr51
	s_and_saveexec_b64 s[2:3], s[8:9]
	s_xor_b64 s[12:13], exec, s[2:3]
	s_cbranch_execz .LBB0_134
; %bb.133:
	s_mov_b32 s2, 0
	s_mov_b32 s3, 0x7b000000
	s_movk_i32 s11, 0xff80
	v_and_b32_e32 v7, 0x7fffffff, v25
	v_ldexp_f64 v[48:49], |v[24:25]|, s11
	v_cmp_ge_f64_e64 vcc, |v[24:25]|, s[2:3]
	s_mov_b32 s2, 0
	s_mov_b32 s3, 0x7ff00000
	v_cndmask_b32_e32 v49, v7, v49, vcc
	v_cndmask_b32_e32 v48, v24, v48, vcc
	v_mul_f64 v[52:53], v[68:69], v[48:49]
	v_mul_f64 v[50:51], v[66:67], v[48:49]
	v_fma_f64 v[54:55], v[68:69], v[48:49], -v[52:53]
	v_add_f64 v[80:81], v[50:51], v[54:55]
	v_add_f64 v[82:83], v[52:53], v[80:81]
	v_ldexp_f64 v[84:85], v[82:83], -2
	v_fract_f64_e32 v[86:87], v[84:85]
	v_cmp_neq_f64_e64 vcc, |v[84:85]|, s[2:3]
	v_add_f64 v[52:53], v[82:83], -v[52:53]
	v_add_f64 v[52:53], v[80:81], -v[52:53]
	v_cndmask_b32_e32 v85, 0, v87, vcc
	v_cndmask_b32_e32 v84, 0, v86, vcc
	v_add_f64 v[86:87], v[80:81], -v[50:51]
	v_add_f64 v[54:55], v[54:55], -v[86:87]
	;; [unrolled: 1-line block ×4, first 2 shown]
	v_add_f64 v[54:55], v[54:55], v[86:87]
	v_fma_f64 v[50:51], v[66:67], v[48:49], -v[50:51]
	v_mul_f64 v[86:87], v[64:65], v[48:49]
	v_add_f64 v[98:99], v[86:87], v[50:51]
	v_add_f64 v[100:101], v[98:99], v[54:55]
	v_add_f64 v[82:83], v[100:101], -v[98:99]
	v_add_f64 v[54:55], v[54:55], -v[82:83]
	;; [unrolled: 1-line block ×4, first 2 shown]
	v_add_f64 v[54:55], v[54:55], v[82:83]
	v_add_f64 v[82:83], v[98:99], -v[86:87]
	v_add_f64 v[50:51], v[50:51], -v[82:83]
	;; [unrolled: 1-line block ×4, first 2 shown]
	v_add_f64 v[80:81], v[52:53], v[100:101]
	v_add_f64 v[50:51], v[50:51], v[82:83]
	v_add_f64 v[52:53], v[80:81], -v[52:53]
	v_add_f64 v[50:51], v[50:51], v[54:55]
	v_fma_f64 v[48:49], v[64:65], v[48:49], -v[86:87]
	v_add_f64 v[52:53], v[100:101], -v[52:53]
	v_add_f64 v[48:49], v[48:49], v[50:51]
	v_ldexp_f64 v[50:51], v[84:85], 2
	v_add_f64 v[48:49], v[52:53], v[48:49]
	v_add_f64 v[52:53], v[80:81], v[50:51]
	v_mov_b32_e32 v7, 0x40100000
	v_cmp_gt_f64_e32 vcc, 0, v[52:53]
	v_mov_b32_e32 v96, 0
	s_mov_b32 s11, 0x3ff921fb
	v_cndmask_b32_e32 v97, 0, v7, vcc
	v_add_f64 v[50:51], v[50:51], v[96:97]
	v_add_f64 v[52:53], v[80:81], v[50:51]
	v_cvt_i32_f64_e32 v7, v[52:53]
	v_cvt_f64_i32_e32 v[52:53], v7
	v_add_f64 v[50:51], v[50:51], -v[52:53]
	v_add_f64 v[52:53], v[80:81], v[50:51]
	v_add_f64 v[50:51], v[52:53], -v[50:51]
	v_add_f64 v[50:51], v[80:81], -v[50:51]
	v_add_f64 v[48:49], v[48:49], v[50:51]
	v_cmp_le_f64_e32 vcc, 0.5, v[52:53]
	v_mov_b32_e32 v50, 0x3ff00000
	s_nop 0
	v_cndmask_b32_e32 v97, 0, v50, vcc
	v_add_f64 v[50:51], v[52:53], -v[96:97]
	v_add_f64 v[52:53], v[50:51], v[48:49]
	v_addc_co_u32_e64 v7, s[2:3], 0, v7, vcc
	v_add_f64 v[50:51], v[52:53], -v[50:51]
	v_add_f64 v[48:49], v[48:49], -v[50:51]
	v_mul_f64 v[50:51], v[52:53], s[10:11]
	s_mov_b32 s2, 0x33145c07
	v_fma_f64 v[54:55], v[52:53], s[10:11], -v[50:51]
	s_mov_b32 s3, 0x3c91a626
	v_fmac_f64_e32 v[54:55], s[2:3], v[52:53]
	v_fmac_f64_e32 v[54:55], s[10:11], v[48:49]
	v_add_f64 v[48:49], v[50:51], v[54:55]
	v_add_f64 v[50:51], v[48:49], -v[50:51]
	v_add_f64 v[50:51], v[54:55], -v[50:51]
	s_andn2_saveexec_b64 s[2:3], s[12:13]
	s_cbranch_execz .LBB0_136
	s_branch .LBB0_135
.LBB0_134:
	s_andn2_saveexec_b64 s[2:3], s[12:13]
	s_cbranch_execz .LBB0_136
.LBB0_135:
	s_mov_b32 s10, 0x6dc9c883
	s_mov_b32 s11, 0x3fe45f30
	v_mul_f64 v[48:49], |v[24:25]|, s[10:11]
	s_mov_b32 s10, 0x54442d18
	v_rndne_f64_e32 v[52:53], v[48:49]
	s_mov_b32 s11, 0xbff921fb
	v_fma_f64 v[48:49], v[52:53], s[10:11], |v[24:25]|
	s_mov_b32 s11, 0xbc91a626
	s_mov_b32 s10, 0x33145c00
	v_mul_f64 v[54:55], v[52:53], s[10:11]
	v_add_f64 v[82:83], v[48:49], v[54:55]
	v_fma_f64 v[50:51], s[10:11], v[52:53], v[48:49]
	s_mov_b32 s11, 0x3c91a626
	v_add_f64 v[48:49], v[48:49], -v[82:83]
	v_fma_f64 v[80:81], s[10:11], v[52:53], v[54:55]
	v_add_f64 v[48:49], v[48:49], v[54:55]
	v_add_f64 v[54:55], v[82:83], -v[50:51]
	v_add_f64 v[48:49], v[54:55], v[48:49]
	s_mov_b32 s10, 0x252049c0
	v_add_f64 v[54:55], v[48:49], -v[80:81]
	s_mov_b32 s11, 0xb97b839a
	v_fmac_f64_e32 v[54:55], s[10:11], v[52:53]
	v_add_f64 v[48:49], v[50:51], v[54:55]
	v_add_f64 v[50:51], v[48:49], -v[50:51]
	v_add_f64 v[50:51], v[54:55], -v[50:51]
	v_cvt_i32_f64_e32 v7, v[52:53]
.LBB0_136:
	s_or_b64 exec, exec, s[2:3]
                                        ; implicit-def: $vgpr71
                                        ; implicit-def: $vgpr52_vgpr53
                                        ; implicit-def: $vgpr54_vgpr55
	s_and_saveexec_b64 s[2:3], s[8:9]
	s_xor_b64 s[8:9], exec, s[2:3]
	s_cbranch_execz .LBB0_138
; %bb.137:
	s_mov_b32 s2, 0
	s_mov_b32 s3, 0x7b000000
	s_movk_i32 s10, 0xff80
	v_and_b32_e32 v54, 0x7fffffff, v25
	v_ldexp_f64 v[52:53], |v[24:25]|, s10
	v_cmp_ge_f64_e64 vcc, |v[24:25]|, s[2:3]
	s_mov_b32 s2, 0
	s_mov_b32 s3, 0x7ff00000
	v_cndmask_b32_e32 v53, v54, v53, vcc
	v_cndmask_b32_e32 v52, v24, v52, vcc
	v_mul_f64 v[80:81], v[68:69], v[52:53]
	v_mul_f64 v[54:55], v[66:67], v[52:53]
	v_fma_f64 v[68:69], v[68:69], v[52:53], -v[80:81]
	v_add_f64 v[82:83], v[54:55], v[68:69]
	v_add_f64 v[84:85], v[80:81], v[82:83]
	v_ldexp_f64 v[86:87], v[84:85], -2
	v_fract_f64_e32 v[96:97], v[86:87]
	v_cmp_neq_f64_e64 vcc, |v[86:87]|, s[2:3]
	v_add_f64 v[80:81], v[84:85], -v[80:81]
	v_add_f64 v[80:81], v[82:83], -v[80:81]
	v_cndmask_b32_e32 v87, 0, v97, vcc
	v_cndmask_b32_e32 v86, 0, v96, vcc
	v_add_f64 v[96:97], v[82:83], -v[54:55]
	v_add_f64 v[68:69], v[68:69], -v[96:97]
	v_add_f64 v[96:97], v[82:83], -v[96:97]
	v_add_f64 v[96:97], v[54:55], -v[96:97]
	v_fma_f64 v[54:55], v[66:67], v[52:53], -v[54:55]
	v_mul_f64 v[66:67], v[64:65], v[52:53]
	v_add_f64 v[68:69], v[68:69], v[96:97]
	v_add_f64 v[96:97], v[66:67], v[54:55]
	;; [unrolled: 1-line block ×3, first 2 shown]
	v_add_f64 v[84:85], v[100:101], -v[96:97]
	v_add_f64 v[68:69], v[68:69], -v[84:85]
	v_add_f64 v[84:85], v[100:101], -v[84:85]
	v_add_f64 v[84:85], v[96:97], -v[84:85]
	v_add_f64 v[68:69], v[68:69], v[84:85]
	v_add_f64 v[84:85], v[96:97], -v[66:67]
	v_add_f64 v[54:55], v[54:55], -v[84:85]
	;; [unrolled: 1-line block ×4, first 2 shown]
	v_add_f64 v[54:55], v[54:55], v[84:85]
	v_add_f64 v[54:55], v[54:55], v[68:69]
	v_fma_f64 v[52:53], v[64:65], v[52:53], -v[66:67]
	v_add_f64 v[82:83], v[80:81], v[100:101]
	v_add_f64 v[52:53], v[52:53], v[54:55]
	v_ldexp_f64 v[54:55], v[86:87], 2
	v_add_f64 v[64:65], v[82:83], v[54:55]
	v_mov_b32_e32 v66, 0x40100000
	v_cmp_gt_f64_e32 vcc, 0, v[64:65]
	v_mov_b32_e32 v98, 0
	v_add_f64 v[80:81], v[82:83], -v[80:81]
	v_cndmask_b32_e32 v99, 0, v66, vcc
	v_add_f64 v[54:55], v[54:55], v[98:99]
	v_add_f64 v[64:65], v[82:83], v[54:55]
	v_cvt_i32_f64_e32 v66, v[64:65]
	v_cvt_f64_i32_e32 v[64:65], v66
	v_add_f64 v[54:55], v[54:55], -v[64:65]
	v_add_f64 v[64:65], v[82:83], v[54:55]
	v_add_f64 v[80:81], v[100:101], -v[80:81]
	v_add_f64 v[54:55], v[64:65], -v[54:55]
	v_add_f64 v[52:53], v[80:81], v[52:53]
	v_add_f64 v[54:55], v[82:83], -v[54:55]
	v_add_f64 v[52:53], v[52:53], v[54:55]
	v_cmp_le_f64_e32 vcc, 0.5, v[64:65]
	v_mov_b32_e32 v54, 0x3ff00000
	s_mov_b32 s10, 0x33145c07
	v_cndmask_b32_e32 v99, 0, v54, vcc
	v_addc_co_u32_e64 v71, s[2:3], 0, v66, vcc
	v_add_f64 v[54:55], v[64:65], -v[98:99]
	v_add_f64 v[64:65], v[54:55], v[52:53]
	s_mov_b32 s2, 0x54442d18
	v_add_f64 v[54:55], v[64:65], -v[54:55]
	s_mov_b32 s3, 0x3ff921fb
	v_add_f64 v[52:53], v[52:53], -v[54:55]
	v_mul_f64 v[54:55], v[64:65], s[2:3]
	v_fma_f64 v[66:67], v[64:65], s[2:3], -v[54:55]
	s_mov_b32 s11, 0x3c91a626
	v_fmac_f64_e32 v[66:67], s[10:11], v[64:65]
	v_fmac_f64_e32 v[66:67], s[2:3], v[52:53]
	v_add_f64 v[52:53], v[54:55], v[66:67]
	v_add_f64 v[54:55], v[52:53], -v[54:55]
	v_add_f64 v[54:55], v[66:67], -v[54:55]
	s_andn2_saveexec_b64 s[2:3], s[8:9]
	s_cbranch_execnz .LBB0_139
	s_branch .LBB0_140
.LBB0_138:
	s_andn2_saveexec_b64 s[2:3], s[8:9]
	s_cbranch_execz .LBB0_140
.LBB0_139:
	s_mov_b32 s8, 0x6dc9c883
	s_mov_b32 s9, 0x3fe45f30
	v_mul_f64 v[52:53], |v[24:25]|, s[8:9]
	s_mov_b32 s8, 0x54442d18
	v_rndne_f64_e32 v[64:65], v[52:53]
	s_mov_b32 s9, 0xbff921fb
	v_fma_f64 v[52:53], v[64:65], s[8:9], |v[24:25]|
	s_mov_b32 s9, 0xbc91a626
	s_mov_b32 s8, 0x33145c00
	v_mul_f64 v[66:67], v[64:65], s[8:9]
	v_add_f64 v[80:81], v[52:53], v[66:67]
	v_fma_f64 v[54:55], s[8:9], v[64:65], v[52:53]
	s_mov_b32 s9, 0x3c91a626
	v_add_f64 v[52:53], v[52:53], -v[80:81]
	v_fma_f64 v[68:69], s[8:9], v[64:65], v[66:67]
	v_add_f64 v[52:53], v[52:53], v[66:67]
	v_add_f64 v[66:67], v[80:81], -v[54:55]
	v_add_f64 v[52:53], v[66:67], v[52:53]
	s_mov_b32 s8, 0x252049c0
	v_add_f64 v[66:67], v[52:53], -v[68:69]
	s_mov_b32 s9, 0xb97b839a
	v_fmac_f64_e32 v[66:67], s[8:9], v[64:65]
	v_add_f64 v[52:53], v[54:55], v[66:67]
	v_add_f64 v[54:55], v[52:53], -v[54:55]
	v_add_f64 v[54:55], v[66:67], -v[54:55]
	v_cvt_i32_f64_e32 v71, v[64:65]
.LBB0_140:
	s_or_b64 exec, exec, s[2:3]
	s_mov_b32 s2, 0
	v_mul_f64 v[64:65], v[28:29], v[28:29]
	s_mov_b32 s3, 0x40390000
	v_div_scale_f64 v[66:67], s[8:9], v[64:65], v[64:65], s[2:3]
	v_rcp_f64_e32 v[68:69], v[66:67]
	v_mov_b32_e32 v84, 0xb1759c7f
	v_mov_b32_e32 v85, 0x408ac370
	;; [unrolled: 1-line block ×3, first 2 shown]
	v_fma_f64 v[80:81], -v[66:67], v[68:69], 1.0
	v_fmac_f64_e32 v[68:69], v[68:69], v[80:81]
	v_fma_f64 v[80:81], -v[66:67], v[68:69], 1.0
	v_fmac_f64_e32 v[68:69], v[68:69], v[80:81]
	v_div_scale_f64 v[80:81], vcc, s[2:3], v[64:65], s[2:3]
	v_mul_f64 v[82:83], v[80:81], v[68:69]
	v_fma_f64 v[66:67], -v[66:67], v[82:83], v[80:81]
	v_mov_b32_e32 v80, 0xab5454e3
	s_nop 0
	v_div_fmas_f64 v[66:67], v[66:67], v[68:69], v[82:83]
	v_div_fixup_f64 v[64:65], v[66:67], v[64:65], s[2:3]
	v_mov_b32_e32 v66, 0x983b6b27
	v_mov_b32_e32 v67, 0x3f4a1d30
	v_fmac_f64_e32 v[66:67], 0, v[64:65]
	v_mov_b32_e32 v68, 0xb35dd1cf
	v_mov_b32_e32 v69, 0x3fb534b0
	v_fmac_f64_e32 v[68:69], v[64:65], v[66:67]
	;; [unrolled: 3-line block ×7, first 2 shown]
	v_mov_b32_e32 v81, 0x3fb5ebc5
	v_fmac_f64_e32 v[80:81], v[64:65], v[66:67]
	v_mov_b32_e32 v66, 0xc9b3069f
	v_mov_b32_e32 v67, 0x3ff40e72
	v_fmac_f64_e32 v[66:67], v[64:65], v[80:81]
	v_mov_b32_e32 v80, 0xe68162bb
	;; [unrolled: 3-line block ×4, first 2 shown]
	v_mov_b32_e32 v81, 0x40153965
	v_fmac_f64_e32 v[80:81], v[64:65], v[66:67]
	v_fma_f64 v[66:67], v[64:65], v[80:81], 1.0
	v_mov_b32_e32 v80, 0x38a5384a
	v_mov_b32_e32 v81, 0xbf874742
	v_fmac_f64_e32 v[80:81], 0, v[64:65]
	v_mov_b32_e32 v82, 0x3a321174
	v_mov_b32_e32 v83, 0xbff4853b
	v_fmac_f64_e32 v[82:83], v[64:65], v[80:81]
	;; [unrolled: 3-line block ×9, first 2 shown]
	v_fmac_f64_e32 v[84:85], v[64:65], v[80:81]
	v_mov_b32_e32 v80, 0xbd748cb5
	v_mov_b32_e32 v81, 0x40ae54cd
	v_fmac_f64_e32 v[80:81], v[64:65], v[84:85]
	v_mov_b32_e32 v84, 0xbdefd63e
	v_mov_b32_e32 v85, 0x40bc4877
	;; [unrolled: 3-line block ×4, first 2 shown]
	v_fma_f64 v[68:69], v[64:65], v[68:69], 1.0
	v_fmac_f64_e32 v[84:85], v[64:65], v[80:81]
	v_div_scale_f64 v[80:81], s[2:3], v[66:67], v[66:67], v[68:69]
	v_rcp_f64_e32 v[86:87], v[80:81]
	v_mov_b32_e32 v97, 0x406e402f
	v_fmac_f64_e32 v[96:97], v[64:65], v[84:85]
	s_mov_b32 s2, 0x9037ab78
	v_fma_f64 v[64:65], -v[80:81], v[86:87], 1.0
	v_fmac_f64_e32 v[86:87], v[86:87], v[64:65]
	v_fma_f64 v[64:65], -v[80:81], v[86:87], 1.0
	v_fmac_f64_e32 v[86:87], v[86:87], v[64:65]
	v_div_scale_f64 v[64:65], vcc, v[68:69], v[66:67], v[68:69]
	v_mul_f64 v[84:85], v[64:65], v[86:87]
	v_fma_f64 v[64:65], -v[80:81], v[84:85], v[64:65]
	s_mov_b32 s3, 0x3e21eeb6
	s_nop 0
	v_div_fmas_f64 v[64:65], v[64:65], v[86:87], v[84:85]
	s_mov_b32 s8, 0x46cc5e42
	v_div_fixup_f64 v[64:65], v[64:65], v[66:67], v[68:69]
	v_mul_f64 v[66:67], v[48:49], v[48:49]
	s_mov_b32 s9, 0xbda907db
	v_mov_b64_e32 v[86:87], s[2:3]
	s_mov_b32 s10, 0xa17f65f6
	v_mul_f64 v[68:69], v[66:67], 0.5
	v_fma_f64 v[98:99], s[8:9], v[66:67], v[86:87]
	s_mov_b32 s11, 0xbe927e4f
	s_mov_b32 s12, 0x19f4ec90
	v_add_f64 v[80:81], -v[68:69], 1.0
	v_fma_f64 v[98:99], v[66:67], v[98:99], s[10:11]
	s_mov_b32 s13, 0x3efa01a0
	s_mov_b32 s14, 0x16c16967
	v_add_f64 v[84:85], -v[80:81], 1.0
	v_fma_f64 v[98:99], v[66:67], v[98:99], s[12:13]
	s_mov_b32 s15, 0xbf56c16c
	s_mov_b32 s16, 0x55555555
	v_add_f64 v[68:69], v[84:85], -v[68:69]
	v_fma_f64 v[98:99], v[66:67], v[98:99], s[14:15]
	s_mov_b32 s17, 0x3fa55555
	v_mul_f64 v[84:85], v[66:67], v[66:67]
	v_fma_f64 v[98:99], v[66:67], v[98:99], s[16:17]
	v_fma_f64 v[68:69], v[48:49], -v[50:51], v[68:69]
	s_mov_b32 s2, 0xb42fdfa7
	v_fmac_f64_e32 v[68:69], v[84:85], v[98:99]
	s_mov_b32 s3, 0xbe5ae600
	s_mov_b32 s18, 0xf9a43bb8
	v_add_f64 v[68:69], v[80:81], v[68:69]
	s_mov_b32 s19, 0x3de5e0b2
	v_mov_b64_e32 v[80:81], s[2:3]
	s_mov_b32 s22, 0x796cde01
	v_fma_f64 v[84:85], s[18:19], v[66:67], v[80:81]
	s_mov_b32 s23, 0x3ec71de3
	s_mov_b32 s24, 0x19e83e5c
	v_fma_f64 v[84:85], v[66:67], v[84:85], s[22:23]
	s_mov_b32 s25, 0xbf2a01a0
	;; [unrolled: 3-line block ×3, first 2 shown]
	v_fma_f64 v[84:85], v[66:67], v[84:85], s[26:27]
	v_mul_f64 v[98:99], v[48:49], -v[66:67]
	v_mul_f64 v[100:101], v[50:51], 0.5
	v_fmac_f64_e32 v[100:101], v[98:99], v[84:85]
	v_fma_f64 v[50:51], v[66:67], v[100:101], -v[50:51]
	s_mov_b32 s29, 0xbfc55555
	s_mov_b32 s28, s16
	v_fmac_f64_e32 v[50:51], s[28:29], v[98:99]
	v_add_f64 v[48:49], v[48:49], -v[50:51]
	v_and_b32_e32 v50, 1, v7
	v_lshlrev_b32_e32 v7, 30, v7
	v_cmp_eq_u32_e32 vcc, 0, v50
	v_xor_b32_e32 v7, v7, v25
	s_mov_b32 s30, 0
	v_cndmask_b32_e32 v66, v68, v48, vcc
	v_cndmask_b32_e32 v48, v69, v49, vcc
	v_and_b32_e32 v7, 0x80000000, v7
	s_mov_b32 s31, 0x40140000
	v_xor_b32_e32 v7, v48, v7
	v_div_scale_f64 v[48:49], s[2:3], v[28:29], v[28:29], s[30:31]
	v_rcp_f64_e32 v[50:51], v[48:49]
	s_movk_i32 s21, 0x1f8
	v_cmp_class_f64_e64 s[2:3], v[24:25], s21
	v_mov_b32_e32 v98, 0x7ff80000
	s_nop 0
	v_cndmask_b32_e64 v24, 0, v66, s[2:3]
	v_fma_f64 v[66:67], -v[48:49], v[50:51], 1.0
	v_fmac_f64_e32 v[50:51], v[50:51], v[66:67]
	v_fma_f64 v[66:67], -v[48:49], v[50:51], 1.0
	v_fmac_f64_e32 v[50:51], v[50:51], v[66:67]
	v_div_scale_f64 v[66:67], vcc, s[30:31], v[28:29], s[30:31]
	v_mul_f64 v[68:69], v[66:67], v[50:51]
	v_fma_f64 v[48:49], -v[48:49], v[68:69], v[66:67]
	v_div_scale_f64 v[66:67], s[34:35], v[96:97], v[96:97], v[82:83]
	v_rcp_f64_e32 v[84:85], v[66:67]
	v_div_fmas_f64 v[48:49], v[48:49], v[50:51], v[68:69]
	v_div_fixup_f64 v[48:49], v[48:49], v[28:29], s[30:31]
	v_cndmask_b32_e64 v25, v98, v7, s[2:3]
	v_fma_f64 v[50:51], -v[66:67], v[84:85], 1.0
	v_fmac_f64_e32 v[84:85], v[84:85], v[50:51]
	v_fma_f64 v[50:51], -v[66:67], v[84:85], 1.0
	v_fmac_f64_e32 v[84:85], v[84:85], v[50:51]
	v_div_scale_f64 v[50:51], vcc, v[82:83], v[96:97], v[82:83]
	v_mul_f64 v[68:69], v[50:51], v[84:85]
	v_fma_f64 v[50:51], -v[66:67], v[68:69], v[50:51]
	s_nop 1
	v_div_fmas_f64 v[50:51], v[50:51], v[84:85], v[68:69]
	v_div_fixup_f64 v[50:51], v[50:51], v[96:97], v[82:83]
	v_mul_f64 v[48:49], v[48:49], v[50:51]
	v_mul_f64 v[50:51], v[52:53], v[52:53]
	v_mul_f64 v[66:67], v[50:51], 0.5
	v_fmac_f64_e32 v[86:87], s[8:9], v[50:51]
	v_add_f64 v[68:69], -v[66:67], 1.0
	v_fma_f64 v[84:85], v[50:51], v[86:87], s[10:11]
	v_add_f64 v[82:83], -v[68:69], 1.0
	v_fma_f64 v[84:85], v[50:51], v[84:85], s[12:13]
	v_add_f64 v[66:67], v[82:83], -v[66:67]
	v_fma_f64 v[84:85], v[50:51], v[84:85], s[14:15]
	v_mul_f64 v[82:83], v[50:51], v[50:51]
	v_fma_f64 v[84:85], v[50:51], v[84:85], s[16:17]
	v_fma_f64 v[66:67], v[52:53], -v[54:55], v[66:67]
	v_fmac_f64_e32 v[66:67], v[82:83], v[84:85]
	v_fmac_f64_e32 v[80:81], s[18:19], v[50:51]
	v_add_f64 v[66:67], v[68:69], v[66:67]
	v_fma_f64 v[68:69], v[50:51], v[80:81], s[22:23]
	v_fma_f64 v[68:69], v[50:51], v[68:69], s[24:25]
	;; [unrolled: 1-line block ×3, first 2 shown]
	v_mul_f64 v[80:81], v[52:53], -v[50:51]
	v_mul_f64 v[82:83], v[54:55], 0.5
	v_fmac_f64_e32 v[82:83], v[80:81], v[68:69]
	v_fma_f64 v[50:51], v[50:51], v[82:83], -v[54:55]
	v_fmac_f64_e32 v[50:51], s[28:29], v[80:81]
	v_add_f64 v[50:51], v[52:53], -v[50:51]
	v_xor_b32_e32 v7, 0x80000000, v51
	v_and_b32_e32 v51, 1, v71
	v_cmp_eq_u32_e32 vcc, 0, v51
	v_lshlrev_b32_e32 v51, 30, v71
	v_and_b32_e32 v51, 0x80000000, v51
	v_cndmask_b32_e32 v7, v7, v67, vcc
	v_cndmask_b32_e32 v50, v50, v66, vcc
	v_xor_b32_e32 v7, v7, v51
	v_cndmask_b32_e64 v50, 0, v50, s[2:3]
	v_cndmask_b32_e64 v51, v98, v7, s[2:3]
	s_mov_b32 s2, 0
	s_brev_b32 s3, 8
	v_cmp_gt_f64_e32 vcc, s[2:3], v[28:29]
	v_mul_f64 v[48:49], v[48:49], v[50:51]
	v_fmac_f64_e32 v[48:49], v[64:65], v[24:25]
	v_cndmask_b32_e64 v7, 0, 1, vcc
	v_lshlrev_b32_e32 v7, 8, v7
	v_ldexp_f64 v[24:25], v[28:29], v7
	v_rsq_f64_e32 v[28:29], v[24:25]
	v_mov_b32_e32 v7, 0xffffff80
	v_cndmask_b32_e32 v7, 0, v7, vcc
	s_mov_b32 s2, 0x33d43651
	v_mul_f64 v[50:51], v[24:25], v[28:29]
	v_mul_f64 v[28:29], v[28:29], 0.5
	v_fma_f64 v[52:53], -v[28:29], v[50:51], 0.5
	v_fmac_f64_e32 v[50:51], v[50:51], v[52:53]
	v_fma_f64 v[54:55], -v[50:51], v[50:51], v[24:25]
	v_fmac_f64_e32 v[28:29], v[28:29], v[52:53]
	v_fmac_f64_e32 v[50:51], v[54:55], v[28:29]
	v_fma_f64 v[52:53], -v[50:51], v[50:51], v[24:25]
	v_fmac_f64_e32 v[50:51], v[52:53], v[28:29]
	v_ldexp_f64 v[28:29], v[50:51], v7
	v_mov_b32_e32 v7, 0x260
	s_mov_b32 s3, 0x3fe98845
	v_cmp_class_f64_e32 vcc, v[24:25], v7
	v_mul_f64 v[48:49], v[48:49], s[2:3]
	s_nop 0
	v_cndmask_b32_e32 v25, v29, v25, vcc
	v_cndmask_b32_e32 v24, v28, v24, vcc
	v_div_scale_f64 v[28:29], s[2:3], v[24:25], v[24:25], v[48:49]
	v_rcp_f64_e32 v[50:51], v[28:29]
	s_nop 0
	v_fma_f64 v[52:53], -v[28:29], v[50:51], 1.0
	v_fmac_f64_e32 v[50:51], v[50:51], v[52:53]
	v_fma_f64 v[52:53], -v[28:29], v[50:51], 1.0
	v_fmac_f64_e32 v[50:51], v[50:51], v[52:53]
	v_div_scale_f64 v[52:53], vcc, v[48:49], v[24:25], v[48:49]
	v_mul_f64 v[54:55], v[52:53], v[50:51]
	v_fma_f64 v[28:29], -v[28:29], v[54:55], v[52:53]
	s_nop 1
	v_div_fmas_f64 v[28:29], v[28:29], v[50:51], v[54:55]
	v_div_fixup_f64 v[24:25], v[28:29], v[24:25], v[48:49]
.LBB0_141:
	s_or_b64 exec, exec, s[6:7]
.LBB0_142:
	s_or_b64 exec, exec, s[4:5]
	v_add_u32_e32 v7, 0x500, v5
	v_cmp_lt_i32_e32 vcc, v7, v4
                                        ; implicit-def: $vgpr28_vgpr29
	s_and_saveexec_b64 s[4:5], vcc
	s_cbranch_execz .LBB0_164
; %bb.143:
	s_mov_b32 s2, 0
	s_mov_b32 s3, 0x40140000
	s_waitcnt vmcnt(0) lgkmcnt(0)
	v_cmp_ge_f64_e32 vcc, s[2:3], v[32:33]
                                        ; implicit-def: $vgpr28_vgpr29
	s_and_saveexec_b64 s[2:3], vcc
	s_xor_b64 s[2:3], exec, s[2:3]
	s_cbranch_execz .LBB0_153
; %bb.144:
	v_mov_b32_e32 v28, 0
	v_cmp_neq_f64_e32 vcc, 0, v[32:33]
	v_mov_b32_e32 v29, 0xfff00000
	s_and_saveexec_b64 s[6:7], vcc
	s_cbranch_execz .LBB0_152
; %bb.145:
	v_mov_b32_e32 v28, 0
	v_cmp_ngt_f64_e32 vcc, 0, v[32:33]
	v_mov_b32_e32 v29, 0x7ff80000
	s_and_saveexec_b64 s[8:9], vcc
	s_cbranch_execz .LBB0_151
; %bb.146:
	s_mov_b32 s10, 0x88e368f1
	v_mul_f64 v[28:29], v[32:33], v[32:33]
	s_mov_b32 s11, 0x3ee4f8b5
	v_mul_f64 v[50:51], v[28:29], 0
	v_cmp_ngt_f64_e32 vcc, s[10:11], v[32:33]
                                        ; implicit-def: $vgpr48_vgpr49
	s_and_saveexec_b64 s[10:11], vcc
	s_xor_b64 s[10:11], exec, s[10:11]
	s_cbranch_execz .LBB0_148
; %bb.147:
	s_mov_b32 s12, 0xad1c8325
	s_mov_b32 s13, 0xc1f1dc53
	v_add_f64 v[48:49], v[50:51], s[12:13]
	v_mov_b32_e32 v52, 0xc772990d
	v_mov_b32_e32 v53, 0x427c7751
	s_mov_b32 s12, 0xa696b78c
	v_fmac_f64_e32 v[52:53], v[28:29], v[48:49]
	v_mov_b32_e32 v48, 0xe0d900f7
	v_mov_b32_e32 v49, 0xc2ec5614
	s_mov_b32 s13, 0x407f3902
	v_fmac_f64_e32 v[48:49], v[28:29], v[52:53]
	v_add_f64 v[52:53], v[50:51], s[12:13]
	v_mov_b32_e32 v54, 0x36a21a67
	v_mov_b32_e32 v55, 0x410536cb
	v_fmac_f64_e32 v[54:55], v[28:29], v[52:53]
	v_mov_b32_e32 v52, 0x2eac0634
	v_mov_b32_e32 v53, 0x41871934
	v_fmac_f64_e32 v[52:53], v[28:29], v[54:55]
	;; [unrolled: 3-line block ×6, first 2 shown]
	v_mov_b32_e32 v54, 0xc7b662cc
	v_mov_b32_e32 v55, 0x43b7be34
	s_mov_b32 s12, 0x80462bbb
	v_fmac_f64_e32 v[54:55], v[28:29], v[52:53]
	v_mov_b32_e32 v52, 0x69ff5fb4
	v_mov_b32_e32 v53, 0x43413ef8
	s_mov_b32 s13, 0xc01721fb
	v_fmac_f64_e32 v[52:53], v[28:29], v[48:49]
	v_add_f64 v[48:49], v[28:29], s[12:13]
	s_mov_b32 s12, 0xa621dd6f
	s_mov_b32 s13, 0xc03e78a4
	v_add_f64 v[64:65], v[28:29], s[12:13]
	v_mul_f64 v[48:49], v[48:49], v[64:65]
	v_mul_f64 v[48:49], v[48:49], v[52:53]
	v_div_scale_f64 v[52:53], s[12:13], v[54:55], v[54:55], v[48:49]
	v_rcp_f64_e32 v[64:65], v[52:53]
	s_nop 0
	v_fma_f64 v[66:67], -v[52:53], v[64:65], 1.0
	v_fmac_f64_e32 v[64:65], v[64:65], v[66:67]
	v_fma_f64 v[66:67], -v[52:53], v[64:65], 1.0
	v_fmac_f64_e32 v[64:65], v[64:65], v[66:67]
	v_div_scale_f64 v[66:67], vcc, v[48:49], v[54:55], v[48:49]
	v_mul_f64 v[68:69], v[66:67], v[64:65]
	v_fma_f64 v[52:53], -v[52:53], v[68:69], v[66:67]
	s_nop 1
	v_div_fmas_f64 v[52:53], v[52:53], v[64:65], v[68:69]
	v_div_fixup_f64 v[48:49], v[52:53], v[54:55], v[48:49]
.LBB0_148:
	s_andn2_saveexec_b64 s[10:11], s[10:11]
; %bb.149:
	s_mov_b32 s12, 0
	s_mov_b32 s13, 0xbfd00000
	v_fma_f64 v[48:49], v[28:29], s[12:13], 1.0
; %bb.150:
	s_or_b64 exec, exec, s[10:11]
	s_mov_b32 s10, 0xe896898f
	s_mov_b32 s11, 0x40ce7437
	v_add_f64 v[52:53], v[50:51], s[10:11]
	v_mov_b32_e32 v54, 0x32e48896
	v_mov_b32_e32 v55, 0xc16bf81f
	v_fmac_f64_e32 v[54:55], v[28:29], v[52:53]
	v_mov_b32_e32 v52, 0xf0284cdd
	v_mov_b32_e32 v53, 0x41f43f78
	v_fmac_f64_e32 v[52:53], v[28:29], v[54:55]
	;; [unrolled: 3-line block ×4, first 2 shown]
	v_mov_b32_e32 v54, 0xd1d8cc02
	v_mov_b32_e32 v55, 0xc328a121
	s_mov_b32 s10, 0x576dfcb6
	v_fmac_f64_e32 v[54:55], v[28:29], v[52:53]
	v_mov_b32_e32 v52, 0x660b4003
	v_mov_b32_e32 v53, 0x4363a94b
	s_mov_b32 s11, 0x40904522
	v_fmac_f64_e32 v[52:53], v[28:29], v[54:55]
	v_add_f64 v[50:51], v[50:51], s[10:11]
	v_mov_b32_e32 v54, 0xa907bc0c
	v_mov_b32_e32 v55, 0x41231b76
	v_fmac_f64_e32 v[54:55], v[28:29], v[50:51]
	v_mov_b32_e32 v50, 0x5164d101
	v_mov_b32_e32 v51, 0x41b00763
	v_fmac_f64_e32 v[50:51], v[28:29], v[54:55]
	;; [unrolled: 3-line block ×7, first 2 shown]
	v_div_scale_f64 v[28:29], s[10:11], v[50:51], v[50:51], v[54:55]
	v_rcp_f64_e32 v[52:53], v[28:29]
	s_mov_b32 s10, 0x55555555
	v_frexp_exp_i32_f64_e32 v7, v[32:33]
	v_frexp_mant_f64_e32 v[32:33], v[32:33]
	v_fma_f64 v[64:65], -v[28:29], v[52:53], 1.0
	v_fmac_f64_e32 v[52:53], v[52:53], v[64:65]
	v_fma_f64 v[64:65], -v[28:29], v[52:53], 1.0
	v_fmac_f64_e32 v[52:53], v[52:53], v[64:65]
	v_div_scale_f64 v[64:65], vcc, v[54:55], v[50:51], v[54:55]
	v_mul_f64 v[66:67], v[64:65], v[52:53]
	v_fma_f64 v[28:29], -v[28:29], v[66:67], v[64:65]
	s_mov_b32 s11, 0x3fe55555
	s_nop 0
	v_div_fmas_f64 v[28:29], v[28:29], v[52:53], v[66:67]
	v_div_fixup_f64 v[28:29], v[28:29], v[50:51], v[54:55]
	v_mov_b32_e32 v50, 0x3ff00000
	v_cmp_gt_f64_e32 vcc, s[10:11], v[32:33]
	s_mov_b32 s10, 0xbf559e2b
	s_mov_b32 s11, 0x3fc3ab76
	v_cndmask_b32_e64 v51, v50, 2.0, vcc
	v_mov_b32_e32 v50, 0
	v_mul_f64 v[32:33], v[32:33], v[50:51]
	v_add_f64 v[50:51], v[32:33], 1.0
	v_rcp_f64_e32 v[52:53], v[50:51]
	v_add_f64 v[64:65], v[50:51], -1.0
	v_add_f64 v[54:55], v[32:33], -1.0
	v_add_f64 v[32:33], v[32:33], -v[64:65]
	v_fma_f64 v[64:65], -v[50:51], v[52:53], 1.0
	v_fmac_f64_e32 v[52:53], v[64:65], v[52:53]
	v_fma_f64 v[64:65], -v[50:51], v[52:53], 1.0
	v_fmac_f64_e32 v[52:53], v[64:65], v[52:53]
	v_mul_f64 v[64:65], v[54:55], v[52:53]
	v_mul_f64 v[66:67], v[50:51], v[64:65]
	v_fma_f64 v[50:51], v[64:65], v[50:51], -v[66:67]
	v_fmac_f64_e32 v[50:51], v[64:65], v[32:33]
	v_add_f64 v[32:33], v[66:67], v[50:51]
	v_add_f64 v[68:69], v[54:55], -v[32:33]
	v_add_f64 v[66:67], v[32:33], -v[66:67]
	;; [unrolled: 1-line block ×5, first 2 shown]
	v_add_f64 v[32:33], v[50:51], v[32:33]
	v_add_f64 v[32:33], v[68:69], v[32:33]
	v_mul_f64 v[32:33], v[52:53], v[32:33]
	v_add_f64 v[50:51], v[64:65], v[32:33]
	v_add_f64 v[52:53], v[50:51], -v[64:65]
	v_add_f64 v[32:33], v[32:33], -v[52:53]
	v_mul_f64 v[52:53], v[50:51], v[50:51]
	v_mov_b32_e32 v54, 0x6b47b09a
	v_mov_b32_e32 v55, 0x3fc38538
	v_fmac_f64_e32 v[54:55], s[10:11], v[52:53]
	v_mov_b32_e32 v64, 0xd7f4df2e
	v_mov_b32_e32 v65, 0x3fc7474d
	v_fmac_f64_e32 v[64:65], v[52:53], v[54:55]
	;; [unrolled: 3-line block ×6, first 2 shown]
	v_ldexp_f64 v[54:55], v[50:51], 1
	v_mul_f64 v[50:51], v[50:51], v[52:53]
	v_mul_f64 v[50:51], v[50:51], v[64:65]
	v_add_f64 v[52:53], v[54:55], v[50:51]
	v_add_f64 v[54:55], v[52:53], -v[54:55]
	v_ldexp_f64 v[32:33], v[32:33], 1
	v_add_f64 v[50:51], v[50:51], -v[54:55]
	v_add_f64 v[32:33], v[32:33], v[50:51]
	v_add_f64 v[50:51], v[52:53], v[32:33]
	v_subbrev_co_u32_e32 v7, vcc, 0, v7, vcc
	v_add_f64 v[52:53], v[50:51], -v[52:53]
	s_mov_b32 s10, 0xfefa39ef
	v_add_f64 v[32:33], v[32:33], -v[52:53]
	v_cvt_f64_i32_e32 v[52:53], v7
	s_mov_b32 s11, 0x3fe62e42
	v_mul_f64 v[54:55], v[52:53], s[10:11]
	v_fma_f64 v[64:65], v[52:53], s[10:11], -v[54:55]
	s_mov_b32 s10, 0x3b39803f
	s_mov_b32 s11, 0x3c7abc9e
	v_fmac_f64_e32 v[64:65], s[10:11], v[52:53]
	v_add_f64 v[52:53], v[54:55], v[64:65]
	v_add_f64 v[54:55], v[52:53], -v[54:55]
	v_add_f64 v[54:55], v[64:65], -v[54:55]
	v_add_f64 v[64:65], v[52:53], v[50:51]
	v_add_f64 v[66:67], v[64:65], -v[52:53]
	v_add_f64 v[68:69], v[64:65], -v[66:67]
	v_add_f64 v[52:53], v[52:53], -v[68:69]
	v_add_f64 v[50:51], v[50:51], -v[66:67]
	v_add_f64 v[50:51], v[50:51], v[52:53]
	v_add_f64 v[52:53], v[54:55], v[32:33]
	v_add_f64 v[66:67], v[52:53], -v[54:55]
	v_add_f64 v[68:69], v[52:53], -v[66:67]
	v_add_f64 v[50:51], v[52:53], v[50:51]
	v_add_f64 v[54:55], v[54:55], -v[68:69]
	v_add_f64 v[32:33], v[32:33], -v[66:67]
	v_add_f64 v[52:53], v[64:65], v[50:51]
	v_add_f64 v[32:33], v[32:33], v[54:55]
	v_add_f64 v[54:55], v[52:53], -v[64:65]
	v_add_f64 v[50:51], v[50:51], -v[54:55]
	v_add_f64 v[32:33], v[32:33], v[50:51]
	s_mov_b32 s10, 0x6dc9c883
	v_add_f64 v[32:33], v[52:53], v[32:33]
	s_mov_b32 s11, 0x3fe45f30
	v_mul_f64 v[32:33], v[32:33], s[10:11]
	v_fmac_f64_e32 v[28:29], v[32:33], v[48:49]
.LBB0_151:
	s_or_b64 exec, exec, s[8:9]
.LBB0_152:
	s_or_b64 exec, exec, s[6:7]
                                        ; implicit-def: $vgpr32_vgpr33
.LBB0_153:
	s_andn2_saveexec_b64 s[6:7], s[2:3]
	s_cbranch_execz .LBB0_163
; %bb.154:
	s_mov_b32 s11, 0xbfe921fb
	s_mov_b32 s10, 0x54442d18
	;; [unrolled: 1-line block ×3, first 2 shown]
	v_add_f64 v[28:29], v[32:33], s[10:11]
	s_mov_b32 s3, 0x41d00000
	v_cmp_nlt_f64_e64 s[8:9], |v[28:29]|, s[2:3]
	v_trig_preop_f64 v[68:69], |v[28:29]|, 0
	v_trig_preop_f64 v[66:67], |v[28:29]|, 1
	;; [unrolled: 1-line block ×3, first 2 shown]
                                        ; implicit-def: $vgpr7
                                        ; implicit-def: $vgpr48_vgpr49
                                        ; implicit-def: $vgpr50_vgpr51
	s_and_saveexec_b64 s[2:3], s[8:9]
	s_xor_b64 s[12:13], exec, s[2:3]
	s_cbranch_execz .LBB0_156
; %bb.155:
	s_mov_b32 s2, 0
	s_mov_b32 s3, 0x7b000000
	s_movk_i32 s11, 0xff80
	v_and_b32_e32 v7, 0x7fffffff, v29
	v_ldexp_f64 v[48:49], |v[28:29]|, s11
	v_cmp_ge_f64_e64 vcc, |v[28:29]|, s[2:3]
	s_mov_b32 s2, 0
	s_mov_b32 s3, 0x7ff00000
	v_cndmask_b32_e32 v49, v7, v49, vcc
	v_cndmask_b32_e32 v48, v28, v48, vcc
	v_mul_f64 v[52:53], v[68:69], v[48:49]
	v_mul_f64 v[50:51], v[66:67], v[48:49]
	v_fma_f64 v[54:55], v[68:69], v[48:49], -v[52:53]
	v_add_f64 v[80:81], v[50:51], v[54:55]
	v_add_f64 v[82:83], v[52:53], v[80:81]
	v_ldexp_f64 v[84:85], v[82:83], -2
	v_fract_f64_e32 v[86:87], v[84:85]
	v_cmp_neq_f64_e64 vcc, |v[84:85]|, s[2:3]
	v_add_f64 v[52:53], v[82:83], -v[52:53]
	v_add_f64 v[52:53], v[80:81], -v[52:53]
	v_cndmask_b32_e32 v85, 0, v87, vcc
	v_cndmask_b32_e32 v84, 0, v86, vcc
	v_add_f64 v[86:87], v[80:81], -v[50:51]
	v_add_f64 v[54:55], v[54:55], -v[86:87]
	;; [unrolled: 1-line block ×4, first 2 shown]
	v_add_f64 v[54:55], v[54:55], v[86:87]
	v_fma_f64 v[50:51], v[66:67], v[48:49], -v[50:51]
	v_mul_f64 v[86:87], v[64:65], v[48:49]
	v_add_f64 v[98:99], v[86:87], v[50:51]
	v_add_f64 v[100:101], v[98:99], v[54:55]
	v_add_f64 v[82:83], v[100:101], -v[98:99]
	v_add_f64 v[54:55], v[54:55], -v[82:83]
	v_add_f64 v[82:83], v[100:101], -v[82:83]
	v_add_f64 v[82:83], v[98:99], -v[82:83]
	v_add_f64 v[54:55], v[54:55], v[82:83]
	v_add_f64 v[82:83], v[98:99], -v[86:87]
	v_add_f64 v[50:51], v[50:51], -v[82:83]
	;; [unrolled: 1-line block ×4, first 2 shown]
	v_add_f64 v[80:81], v[52:53], v[100:101]
	v_add_f64 v[50:51], v[50:51], v[82:83]
	v_add_f64 v[52:53], v[80:81], -v[52:53]
	v_add_f64 v[50:51], v[50:51], v[54:55]
	v_fma_f64 v[48:49], v[64:65], v[48:49], -v[86:87]
	v_add_f64 v[52:53], v[100:101], -v[52:53]
	v_add_f64 v[48:49], v[48:49], v[50:51]
	v_ldexp_f64 v[50:51], v[84:85], 2
	v_add_f64 v[48:49], v[52:53], v[48:49]
	v_add_f64 v[52:53], v[80:81], v[50:51]
	v_mov_b32_e32 v7, 0x40100000
	v_cmp_gt_f64_e32 vcc, 0, v[52:53]
	v_mov_b32_e32 v96, 0
	s_mov_b32 s11, 0x3ff921fb
	v_cndmask_b32_e32 v97, 0, v7, vcc
	v_add_f64 v[50:51], v[50:51], v[96:97]
	v_add_f64 v[52:53], v[80:81], v[50:51]
	v_cvt_i32_f64_e32 v7, v[52:53]
	v_cvt_f64_i32_e32 v[52:53], v7
	v_add_f64 v[50:51], v[50:51], -v[52:53]
	v_add_f64 v[52:53], v[80:81], v[50:51]
	v_add_f64 v[50:51], v[52:53], -v[50:51]
	v_add_f64 v[50:51], v[80:81], -v[50:51]
	v_add_f64 v[48:49], v[48:49], v[50:51]
	v_cmp_le_f64_e32 vcc, 0.5, v[52:53]
	v_mov_b32_e32 v50, 0x3ff00000
	s_nop 0
	v_cndmask_b32_e32 v97, 0, v50, vcc
	v_add_f64 v[50:51], v[52:53], -v[96:97]
	v_add_f64 v[52:53], v[50:51], v[48:49]
	v_addc_co_u32_e64 v7, s[2:3], 0, v7, vcc
	v_add_f64 v[50:51], v[52:53], -v[50:51]
	v_add_f64 v[48:49], v[48:49], -v[50:51]
	v_mul_f64 v[50:51], v[52:53], s[10:11]
	s_mov_b32 s2, 0x33145c07
	v_fma_f64 v[54:55], v[52:53], s[10:11], -v[50:51]
	s_mov_b32 s3, 0x3c91a626
	v_fmac_f64_e32 v[54:55], s[2:3], v[52:53]
	v_fmac_f64_e32 v[54:55], s[10:11], v[48:49]
	v_add_f64 v[48:49], v[50:51], v[54:55]
	v_add_f64 v[50:51], v[48:49], -v[50:51]
	v_add_f64 v[50:51], v[54:55], -v[50:51]
	s_andn2_saveexec_b64 s[2:3], s[12:13]
	s_cbranch_execz .LBB0_158
	s_branch .LBB0_157
.LBB0_156:
	s_andn2_saveexec_b64 s[2:3], s[12:13]
	s_cbranch_execz .LBB0_158
.LBB0_157:
	s_mov_b32 s10, 0x6dc9c883
	s_mov_b32 s11, 0x3fe45f30
	v_mul_f64 v[48:49], |v[28:29]|, s[10:11]
	s_mov_b32 s10, 0x54442d18
	v_rndne_f64_e32 v[52:53], v[48:49]
	s_mov_b32 s11, 0xbff921fb
	v_fma_f64 v[48:49], v[52:53], s[10:11], |v[28:29]|
	s_mov_b32 s11, 0xbc91a626
	s_mov_b32 s10, 0x33145c00
	v_mul_f64 v[54:55], v[52:53], s[10:11]
	v_add_f64 v[82:83], v[48:49], v[54:55]
	v_fma_f64 v[50:51], s[10:11], v[52:53], v[48:49]
	s_mov_b32 s11, 0x3c91a626
	v_add_f64 v[48:49], v[48:49], -v[82:83]
	v_fma_f64 v[80:81], s[10:11], v[52:53], v[54:55]
	v_add_f64 v[48:49], v[48:49], v[54:55]
	v_add_f64 v[54:55], v[82:83], -v[50:51]
	v_add_f64 v[48:49], v[54:55], v[48:49]
	s_mov_b32 s10, 0x252049c0
	v_add_f64 v[54:55], v[48:49], -v[80:81]
	s_mov_b32 s11, 0xb97b839a
	v_fmac_f64_e32 v[54:55], s[10:11], v[52:53]
	v_add_f64 v[48:49], v[50:51], v[54:55]
	v_add_f64 v[50:51], v[48:49], -v[50:51]
	v_add_f64 v[50:51], v[54:55], -v[50:51]
	v_cvt_i32_f64_e32 v7, v[52:53]
.LBB0_158:
	s_or_b64 exec, exec, s[2:3]
                                        ; implicit-def: $vgpr71
                                        ; implicit-def: $vgpr52_vgpr53
                                        ; implicit-def: $vgpr54_vgpr55
	s_and_saveexec_b64 s[2:3], s[8:9]
	s_xor_b64 s[8:9], exec, s[2:3]
	s_cbranch_execz .LBB0_160
; %bb.159:
	s_mov_b32 s2, 0
	s_mov_b32 s3, 0x7b000000
	s_movk_i32 s10, 0xff80
	v_and_b32_e32 v54, 0x7fffffff, v29
	v_ldexp_f64 v[52:53], |v[28:29]|, s10
	v_cmp_ge_f64_e64 vcc, |v[28:29]|, s[2:3]
	s_mov_b32 s2, 0
	s_mov_b32 s3, 0x7ff00000
	v_cndmask_b32_e32 v53, v54, v53, vcc
	v_cndmask_b32_e32 v52, v28, v52, vcc
	v_mul_f64 v[80:81], v[68:69], v[52:53]
	v_mul_f64 v[54:55], v[66:67], v[52:53]
	v_fma_f64 v[68:69], v[68:69], v[52:53], -v[80:81]
	v_add_f64 v[82:83], v[54:55], v[68:69]
	v_add_f64 v[84:85], v[80:81], v[82:83]
	v_ldexp_f64 v[86:87], v[84:85], -2
	v_fract_f64_e32 v[96:97], v[86:87]
	v_cmp_neq_f64_e64 vcc, |v[86:87]|, s[2:3]
	v_add_f64 v[80:81], v[84:85], -v[80:81]
	v_add_f64 v[80:81], v[82:83], -v[80:81]
	v_cndmask_b32_e32 v87, 0, v97, vcc
	v_cndmask_b32_e32 v86, 0, v96, vcc
	v_add_f64 v[96:97], v[82:83], -v[54:55]
	v_add_f64 v[68:69], v[68:69], -v[96:97]
	;; [unrolled: 1-line block ×4, first 2 shown]
	v_fma_f64 v[54:55], v[66:67], v[52:53], -v[54:55]
	v_mul_f64 v[66:67], v[64:65], v[52:53]
	v_add_f64 v[68:69], v[68:69], v[96:97]
	v_add_f64 v[96:97], v[66:67], v[54:55]
	;; [unrolled: 1-line block ×3, first 2 shown]
	v_add_f64 v[84:85], v[100:101], -v[96:97]
	v_add_f64 v[68:69], v[68:69], -v[84:85]
	;; [unrolled: 1-line block ×4, first 2 shown]
	v_add_f64 v[68:69], v[68:69], v[84:85]
	v_add_f64 v[84:85], v[96:97], -v[66:67]
	v_add_f64 v[54:55], v[54:55], -v[84:85]
	;; [unrolled: 1-line block ×4, first 2 shown]
	v_add_f64 v[54:55], v[54:55], v[84:85]
	v_add_f64 v[54:55], v[54:55], v[68:69]
	v_fma_f64 v[52:53], v[64:65], v[52:53], -v[66:67]
	v_add_f64 v[82:83], v[80:81], v[100:101]
	v_add_f64 v[52:53], v[52:53], v[54:55]
	v_ldexp_f64 v[54:55], v[86:87], 2
	v_add_f64 v[64:65], v[82:83], v[54:55]
	v_mov_b32_e32 v66, 0x40100000
	v_cmp_gt_f64_e32 vcc, 0, v[64:65]
	v_mov_b32_e32 v98, 0
	v_add_f64 v[80:81], v[82:83], -v[80:81]
	v_cndmask_b32_e32 v99, 0, v66, vcc
	v_add_f64 v[54:55], v[54:55], v[98:99]
	v_add_f64 v[64:65], v[82:83], v[54:55]
	v_cvt_i32_f64_e32 v66, v[64:65]
	v_cvt_f64_i32_e32 v[64:65], v66
	v_add_f64 v[54:55], v[54:55], -v[64:65]
	v_add_f64 v[64:65], v[82:83], v[54:55]
	v_add_f64 v[80:81], v[100:101], -v[80:81]
	v_add_f64 v[54:55], v[64:65], -v[54:55]
	v_add_f64 v[52:53], v[80:81], v[52:53]
	v_add_f64 v[54:55], v[82:83], -v[54:55]
	v_add_f64 v[52:53], v[52:53], v[54:55]
	v_cmp_le_f64_e32 vcc, 0.5, v[64:65]
	v_mov_b32_e32 v54, 0x3ff00000
	s_mov_b32 s10, 0x33145c07
	v_cndmask_b32_e32 v99, 0, v54, vcc
	v_addc_co_u32_e64 v71, s[2:3], 0, v66, vcc
	v_add_f64 v[54:55], v[64:65], -v[98:99]
	v_add_f64 v[64:65], v[54:55], v[52:53]
	s_mov_b32 s2, 0x54442d18
	v_add_f64 v[54:55], v[64:65], -v[54:55]
	s_mov_b32 s3, 0x3ff921fb
	v_add_f64 v[52:53], v[52:53], -v[54:55]
	v_mul_f64 v[54:55], v[64:65], s[2:3]
	v_fma_f64 v[66:67], v[64:65], s[2:3], -v[54:55]
	s_mov_b32 s11, 0x3c91a626
	v_fmac_f64_e32 v[66:67], s[10:11], v[64:65]
	v_fmac_f64_e32 v[66:67], s[2:3], v[52:53]
	v_add_f64 v[52:53], v[54:55], v[66:67]
	v_add_f64 v[54:55], v[52:53], -v[54:55]
	v_add_f64 v[54:55], v[66:67], -v[54:55]
	s_andn2_saveexec_b64 s[2:3], s[8:9]
	s_cbranch_execnz .LBB0_161
	s_branch .LBB0_162
.LBB0_160:
	s_andn2_saveexec_b64 s[2:3], s[8:9]
	s_cbranch_execz .LBB0_162
.LBB0_161:
	s_mov_b32 s8, 0x6dc9c883
	s_mov_b32 s9, 0x3fe45f30
	v_mul_f64 v[52:53], |v[28:29]|, s[8:9]
	s_mov_b32 s8, 0x54442d18
	v_rndne_f64_e32 v[64:65], v[52:53]
	s_mov_b32 s9, 0xbff921fb
	v_fma_f64 v[52:53], v[64:65], s[8:9], |v[28:29]|
	s_mov_b32 s9, 0xbc91a626
	s_mov_b32 s8, 0x33145c00
	v_mul_f64 v[66:67], v[64:65], s[8:9]
	v_add_f64 v[80:81], v[52:53], v[66:67]
	v_fma_f64 v[54:55], s[8:9], v[64:65], v[52:53]
	s_mov_b32 s9, 0x3c91a626
	v_add_f64 v[52:53], v[52:53], -v[80:81]
	v_fma_f64 v[68:69], s[8:9], v[64:65], v[66:67]
	v_add_f64 v[52:53], v[52:53], v[66:67]
	v_add_f64 v[66:67], v[80:81], -v[54:55]
	v_add_f64 v[52:53], v[66:67], v[52:53]
	s_mov_b32 s8, 0x252049c0
	v_add_f64 v[66:67], v[52:53], -v[68:69]
	s_mov_b32 s9, 0xb97b839a
	v_fmac_f64_e32 v[66:67], s[8:9], v[64:65]
	v_add_f64 v[52:53], v[54:55], v[66:67]
	v_add_f64 v[54:55], v[52:53], -v[54:55]
	v_add_f64 v[54:55], v[66:67], -v[54:55]
	v_cvt_i32_f64_e32 v71, v[64:65]
.LBB0_162:
	s_or_b64 exec, exec, s[2:3]
	s_mov_b32 s2, 0
	v_mul_f64 v[64:65], v[32:33], v[32:33]
	s_mov_b32 s3, 0x40390000
	v_div_scale_f64 v[66:67], s[8:9], v[64:65], v[64:65], s[2:3]
	v_rcp_f64_e32 v[68:69], v[66:67]
	v_mov_b32_e32 v84, 0xb1759c7f
	v_mov_b32_e32 v85, 0x408ac370
	;; [unrolled: 1-line block ×3, first 2 shown]
	v_fma_f64 v[80:81], -v[66:67], v[68:69], 1.0
	v_fmac_f64_e32 v[68:69], v[68:69], v[80:81]
	v_fma_f64 v[80:81], -v[66:67], v[68:69], 1.0
	v_fmac_f64_e32 v[68:69], v[68:69], v[80:81]
	v_div_scale_f64 v[80:81], vcc, s[2:3], v[64:65], s[2:3]
	v_mul_f64 v[82:83], v[80:81], v[68:69]
	v_fma_f64 v[66:67], -v[66:67], v[82:83], v[80:81]
	v_mov_b32_e32 v80, 0xab5454e3
	s_nop 0
	v_div_fmas_f64 v[66:67], v[66:67], v[68:69], v[82:83]
	v_div_fixup_f64 v[64:65], v[66:67], v[64:65], s[2:3]
	v_mov_b32_e32 v66, 0x983b6b27
	v_mov_b32_e32 v67, 0x3f4a1d30
	v_fmac_f64_e32 v[66:67], 0, v[64:65]
	v_mov_b32_e32 v68, 0xb35dd1cf
	v_mov_b32_e32 v69, 0x3fb534b0
	v_fmac_f64_e32 v[68:69], v[64:65], v[66:67]
	;; [unrolled: 3-line block ×7, first 2 shown]
	v_mov_b32_e32 v81, 0x3fb5ebc5
	v_fmac_f64_e32 v[80:81], v[64:65], v[66:67]
	v_mov_b32_e32 v66, 0xc9b3069f
	v_mov_b32_e32 v67, 0x3ff40e72
	v_fmac_f64_e32 v[66:67], v[64:65], v[80:81]
	v_mov_b32_e32 v80, 0xe68162bb
	;; [unrolled: 3-line block ×4, first 2 shown]
	v_mov_b32_e32 v81, 0x40153965
	v_fmac_f64_e32 v[80:81], v[64:65], v[66:67]
	v_fma_f64 v[66:67], v[64:65], v[80:81], 1.0
	v_mov_b32_e32 v80, 0x38a5384a
	v_mov_b32_e32 v81, 0xbf874742
	v_fmac_f64_e32 v[80:81], 0, v[64:65]
	v_mov_b32_e32 v82, 0x3a321174
	v_mov_b32_e32 v83, 0xbff4853b
	v_fmac_f64_e32 v[82:83], v[64:65], v[80:81]
	;; [unrolled: 3-line block ×9, first 2 shown]
	v_fmac_f64_e32 v[84:85], v[64:65], v[80:81]
	v_mov_b32_e32 v80, 0xbd748cb5
	v_mov_b32_e32 v81, 0x40ae54cd
	v_fmac_f64_e32 v[80:81], v[64:65], v[84:85]
	v_mov_b32_e32 v84, 0xbdefd63e
	v_mov_b32_e32 v85, 0x40bc4877
	;; [unrolled: 3-line block ×4, first 2 shown]
	v_fma_f64 v[68:69], v[64:65], v[68:69], 1.0
	v_fmac_f64_e32 v[84:85], v[64:65], v[80:81]
	v_div_scale_f64 v[80:81], s[2:3], v[66:67], v[66:67], v[68:69]
	v_rcp_f64_e32 v[86:87], v[80:81]
	v_mov_b32_e32 v97, 0x406e402f
	v_fmac_f64_e32 v[96:97], v[64:65], v[84:85]
	s_mov_b32 s2, 0x9037ab78
	v_fma_f64 v[64:65], -v[80:81], v[86:87], 1.0
	v_fmac_f64_e32 v[86:87], v[86:87], v[64:65]
	v_fma_f64 v[64:65], -v[80:81], v[86:87], 1.0
	v_fmac_f64_e32 v[86:87], v[86:87], v[64:65]
	v_div_scale_f64 v[64:65], vcc, v[68:69], v[66:67], v[68:69]
	v_mul_f64 v[84:85], v[64:65], v[86:87]
	v_fma_f64 v[64:65], -v[80:81], v[84:85], v[64:65]
	s_mov_b32 s3, 0x3e21eeb6
	s_nop 0
	v_div_fmas_f64 v[64:65], v[64:65], v[86:87], v[84:85]
	s_mov_b32 s8, 0x46cc5e42
	v_div_fixup_f64 v[64:65], v[64:65], v[66:67], v[68:69]
	v_mul_f64 v[66:67], v[48:49], v[48:49]
	s_mov_b32 s9, 0xbda907db
	v_mov_b64_e32 v[86:87], s[2:3]
	s_mov_b32 s10, 0xa17f65f6
	v_mul_f64 v[68:69], v[66:67], 0.5
	v_fma_f64 v[98:99], s[8:9], v[66:67], v[86:87]
	s_mov_b32 s11, 0xbe927e4f
	s_mov_b32 s12, 0x19f4ec90
	v_add_f64 v[80:81], -v[68:69], 1.0
	v_fma_f64 v[98:99], v[66:67], v[98:99], s[10:11]
	s_mov_b32 s13, 0x3efa01a0
	s_mov_b32 s14, 0x16c16967
	v_add_f64 v[84:85], -v[80:81], 1.0
	v_fma_f64 v[98:99], v[66:67], v[98:99], s[12:13]
	s_mov_b32 s15, 0xbf56c16c
	s_mov_b32 s16, 0x55555555
	v_add_f64 v[68:69], v[84:85], -v[68:69]
	v_fma_f64 v[98:99], v[66:67], v[98:99], s[14:15]
	s_mov_b32 s17, 0x3fa55555
	v_mul_f64 v[84:85], v[66:67], v[66:67]
	v_fma_f64 v[98:99], v[66:67], v[98:99], s[16:17]
	v_fma_f64 v[68:69], v[48:49], -v[50:51], v[68:69]
	s_mov_b32 s2, 0xb42fdfa7
	v_fmac_f64_e32 v[68:69], v[84:85], v[98:99]
	s_mov_b32 s3, 0xbe5ae600
	s_mov_b32 s18, 0xf9a43bb8
	v_add_f64 v[68:69], v[80:81], v[68:69]
	s_mov_b32 s19, 0x3de5e0b2
	v_mov_b64_e32 v[80:81], s[2:3]
	s_mov_b32 s22, 0x796cde01
	v_fma_f64 v[84:85], s[18:19], v[66:67], v[80:81]
	s_mov_b32 s23, 0x3ec71de3
	s_mov_b32 s24, 0x19e83e5c
	v_fma_f64 v[84:85], v[66:67], v[84:85], s[22:23]
	s_mov_b32 s25, 0xbf2a01a0
	s_mov_b32 s26, 0x11110bb3
	v_fma_f64 v[84:85], v[66:67], v[84:85], s[24:25]
	s_mov_b32 s27, 0x3f811111
	v_fma_f64 v[84:85], v[66:67], v[84:85], s[26:27]
	v_mul_f64 v[98:99], v[48:49], -v[66:67]
	v_mul_f64 v[100:101], v[50:51], 0.5
	v_fmac_f64_e32 v[100:101], v[98:99], v[84:85]
	v_fma_f64 v[50:51], v[66:67], v[100:101], -v[50:51]
	s_mov_b32 s29, 0xbfc55555
	s_mov_b32 s28, s16
	v_fmac_f64_e32 v[50:51], s[28:29], v[98:99]
	v_add_f64 v[48:49], v[48:49], -v[50:51]
	v_and_b32_e32 v50, 1, v7
	v_lshlrev_b32_e32 v7, 30, v7
	v_cmp_eq_u32_e32 vcc, 0, v50
	v_xor_b32_e32 v7, v7, v29
	s_mov_b32 s30, 0
	v_cndmask_b32_e32 v66, v68, v48, vcc
	v_cndmask_b32_e32 v48, v69, v49, vcc
	v_and_b32_e32 v7, 0x80000000, v7
	s_mov_b32 s31, 0x40140000
	v_xor_b32_e32 v7, v48, v7
	v_div_scale_f64 v[48:49], s[2:3], v[32:33], v[32:33], s[30:31]
	v_rcp_f64_e32 v[50:51], v[48:49]
	s_movk_i32 s21, 0x1f8
	v_cmp_class_f64_e64 s[2:3], v[28:29], s21
	v_mov_b32_e32 v98, 0x7ff80000
	s_nop 0
	v_cndmask_b32_e64 v28, 0, v66, s[2:3]
	v_fma_f64 v[66:67], -v[48:49], v[50:51], 1.0
	v_fmac_f64_e32 v[50:51], v[50:51], v[66:67]
	v_fma_f64 v[66:67], -v[48:49], v[50:51], 1.0
	v_fmac_f64_e32 v[50:51], v[50:51], v[66:67]
	v_div_scale_f64 v[66:67], vcc, s[30:31], v[32:33], s[30:31]
	v_mul_f64 v[68:69], v[66:67], v[50:51]
	v_fma_f64 v[48:49], -v[48:49], v[68:69], v[66:67]
	v_div_scale_f64 v[66:67], s[34:35], v[96:97], v[96:97], v[82:83]
	v_rcp_f64_e32 v[84:85], v[66:67]
	v_div_fmas_f64 v[48:49], v[48:49], v[50:51], v[68:69]
	v_div_fixup_f64 v[48:49], v[48:49], v[32:33], s[30:31]
	v_cndmask_b32_e64 v29, v98, v7, s[2:3]
	v_fma_f64 v[50:51], -v[66:67], v[84:85], 1.0
	v_fmac_f64_e32 v[84:85], v[84:85], v[50:51]
	v_fma_f64 v[50:51], -v[66:67], v[84:85], 1.0
	v_fmac_f64_e32 v[84:85], v[84:85], v[50:51]
	v_div_scale_f64 v[50:51], vcc, v[82:83], v[96:97], v[82:83]
	v_mul_f64 v[68:69], v[50:51], v[84:85]
	v_fma_f64 v[50:51], -v[66:67], v[68:69], v[50:51]
	s_nop 1
	v_div_fmas_f64 v[50:51], v[50:51], v[84:85], v[68:69]
	v_div_fixup_f64 v[50:51], v[50:51], v[96:97], v[82:83]
	v_mul_f64 v[48:49], v[48:49], v[50:51]
	v_mul_f64 v[50:51], v[52:53], v[52:53]
	v_mul_f64 v[66:67], v[50:51], 0.5
	v_fmac_f64_e32 v[86:87], s[8:9], v[50:51]
	v_add_f64 v[68:69], -v[66:67], 1.0
	v_fma_f64 v[84:85], v[50:51], v[86:87], s[10:11]
	v_add_f64 v[82:83], -v[68:69], 1.0
	v_fma_f64 v[84:85], v[50:51], v[84:85], s[12:13]
	v_add_f64 v[66:67], v[82:83], -v[66:67]
	v_fma_f64 v[84:85], v[50:51], v[84:85], s[14:15]
	v_mul_f64 v[82:83], v[50:51], v[50:51]
	v_fma_f64 v[84:85], v[50:51], v[84:85], s[16:17]
	v_fma_f64 v[66:67], v[52:53], -v[54:55], v[66:67]
	v_fmac_f64_e32 v[66:67], v[82:83], v[84:85]
	v_fmac_f64_e32 v[80:81], s[18:19], v[50:51]
	v_add_f64 v[66:67], v[68:69], v[66:67]
	v_fma_f64 v[68:69], v[50:51], v[80:81], s[22:23]
	v_fma_f64 v[68:69], v[50:51], v[68:69], s[24:25]
	v_fma_f64 v[68:69], v[50:51], v[68:69], s[26:27]
	v_mul_f64 v[80:81], v[52:53], -v[50:51]
	v_mul_f64 v[82:83], v[54:55], 0.5
	v_fmac_f64_e32 v[82:83], v[80:81], v[68:69]
	v_fma_f64 v[50:51], v[50:51], v[82:83], -v[54:55]
	v_fmac_f64_e32 v[50:51], s[28:29], v[80:81]
	v_add_f64 v[50:51], v[52:53], -v[50:51]
	v_xor_b32_e32 v7, 0x80000000, v51
	v_and_b32_e32 v51, 1, v71
	v_cmp_eq_u32_e32 vcc, 0, v51
	v_lshlrev_b32_e32 v51, 30, v71
	v_and_b32_e32 v51, 0x80000000, v51
	v_cndmask_b32_e32 v7, v7, v67, vcc
	v_cndmask_b32_e32 v50, v50, v66, vcc
	v_xor_b32_e32 v7, v7, v51
	v_cndmask_b32_e64 v50, 0, v50, s[2:3]
	v_cndmask_b32_e64 v51, v98, v7, s[2:3]
	s_mov_b32 s2, 0
	s_brev_b32 s3, 8
	v_cmp_gt_f64_e32 vcc, s[2:3], v[32:33]
	v_mul_f64 v[48:49], v[48:49], v[50:51]
	v_fmac_f64_e32 v[48:49], v[64:65], v[28:29]
	v_cndmask_b32_e64 v7, 0, 1, vcc
	v_lshlrev_b32_e32 v7, 8, v7
	v_ldexp_f64 v[28:29], v[32:33], v7
	v_rsq_f64_e32 v[32:33], v[28:29]
	v_mov_b32_e32 v7, 0xffffff80
	v_cndmask_b32_e32 v7, 0, v7, vcc
	s_mov_b32 s2, 0x33d43651
	v_mul_f64 v[50:51], v[28:29], v[32:33]
	v_mul_f64 v[32:33], v[32:33], 0.5
	v_fma_f64 v[52:53], -v[32:33], v[50:51], 0.5
	v_fmac_f64_e32 v[50:51], v[50:51], v[52:53]
	v_fma_f64 v[54:55], -v[50:51], v[50:51], v[28:29]
	v_fmac_f64_e32 v[32:33], v[32:33], v[52:53]
	v_fmac_f64_e32 v[50:51], v[54:55], v[32:33]
	v_fma_f64 v[52:53], -v[50:51], v[50:51], v[28:29]
	v_fmac_f64_e32 v[50:51], v[52:53], v[32:33]
	v_ldexp_f64 v[32:33], v[50:51], v7
	v_mov_b32_e32 v7, 0x260
	s_mov_b32 s3, 0x3fe98845
	v_cmp_class_f64_e32 vcc, v[28:29], v7
	v_mul_f64 v[48:49], v[48:49], s[2:3]
	s_nop 0
	v_cndmask_b32_e32 v29, v33, v29, vcc
	v_cndmask_b32_e32 v28, v32, v28, vcc
	v_div_scale_f64 v[32:33], s[2:3], v[28:29], v[28:29], v[48:49]
	v_rcp_f64_e32 v[50:51], v[32:33]
	s_nop 0
	v_fma_f64 v[52:53], -v[32:33], v[50:51], 1.0
	v_fmac_f64_e32 v[50:51], v[50:51], v[52:53]
	v_fma_f64 v[52:53], -v[32:33], v[50:51], 1.0
	v_fmac_f64_e32 v[50:51], v[50:51], v[52:53]
	v_div_scale_f64 v[52:53], vcc, v[48:49], v[28:29], v[48:49]
	v_mul_f64 v[54:55], v[52:53], v[50:51]
	v_fma_f64 v[32:33], -v[32:33], v[54:55], v[52:53]
	s_nop 1
	v_div_fmas_f64 v[32:33], v[32:33], v[50:51], v[54:55]
	v_div_fixup_f64 v[28:29], v[32:33], v[28:29], v[48:49]
.LBB0_163:
	s_or_b64 exec, exec, s[6:7]
.LBB0_164:
	s_or_b64 exec, exec, s[4:5]
	v_add_u32_e32 v7, 0x600, v5
	v_cmp_lt_i32_e32 vcc, v7, v4
                                        ; implicit-def: $vgpr32_vgpr33
	s_and_saveexec_b64 s[4:5], vcc
	s_cbranch_execz .LBB0_186
; %bb.165:
	s_mov_b32 s2, 0
	s_mov_b32 s3, 0x40140000
	s_waitcnt vmcnt(0) lgkmcnt(0)
	v_cmp_ge_f64_e32 vcc, s[2:3], v[36:37]
                                        ; implicit-def: $vgpr32_vgpr33
	s_and_saveexec_b64 s[2:3], vcc
	s_xor_b64 s[2:3], exec, s[2:3]
	s_cbranch_execz .LBB0_175
; %bb.166:
	v_mov_b32_e32 v32, 0
	v_cmp_neq_f64_e32 vcc, 0, v[36:37]
	v_mov_b32_e32 v33, 0xfff00000
	s_and_saveexec_b64 s[6:7], vcc
	s_cbranch_execz .LBB0_174
; %bb.167:
	v_mov_b32_e32 v32, 0
	v_cmp_ngt_f64_e32 vcc, 0, v[36:37]
	v_mov_b32_e32 v33, 0x7ff80000
	s_and_saveexec_b64 s[8:9], vcc
	s_cbranch_execz .LBB0_173
; %bb.168:
	s_mov_b32 s10, 0x88e368f1
	v_mul_f64 v[32:33], v[36:37], v[36:37]
	s_mov_b32 s11, 0x3ee4f8b5
	v_mul_f64 v[50:51], v[32:33], 0
	v_cmp_ngt_f64_e32 vcc, s[10:11], v[36:37]
                                        ; implicit-def: $vgpr48_vgpr49
	s_and_saveexec_b64 s[10:11], vcc
	s_xor_b64 s[10:11], exec, s[10:11]
	s_cbranch_execz .LBB0_170
; %bb.169:
	s_mov_b32 s12, 0xad1c8325
	s_mov_b32 s13, 0xc1f1dc53
	v_add_f64 v[48:49], v[50:51], s[12:13]
	v_mov_b32_e32 v52, 0xc772990d
	v_mov_b32_e32 v53, 0x427c7751
	s_mov_b32 s12, 0xa696b78c
	v_fmac_f64_e32 v[52:53], v[32:33], v[48:49]
	v_mov_b32_e32 v48, 0xe0d900f7
	v_mov_b32_e32 v49, 0xc2ec5614
	s_mov_b32 s13, 0x407f3902
	v_fmac_f64_e32 v[48:49], v[32:33], v[52:53]
	v_add_f64 v[52:53], v[50:51], s[12:13]
	v_mov_b32_e32 v54, 0x36a21a67
	v_mov_b32_e32 v55, 0x410536cb
	v_fmac_f64_e32 v[54:55], v[32:33], v[52:53]
	v_mov_b32_e32 v52, 0x2eac0634
	v_mov_b32_e32 v53, 0x41871934
	v_fmac_f64_e32 v[52:53], v[32:33], v[54:55]
	;; [unrolled: 3-line block ×6, first 2 shown]
	v_mov_b32_e32 v54, 0xc7b662cc
	v_mov_b32_e32 v55, 0x43b7be34
	s_mov_b32 s12, 0x80462bbb
	v_fmac_f64_e32 v[54:55], v[32:33], v[52:53]
	v_mov_b32_e32 v52, 0x69ff5fb4
	v_mov_b32_e32 v53, 0x43413ef8
	s_mov_b32 s13, 0xc01721fb
	v_fmac_f64_e32 v[52:53], v[32:33], v[48:49]
	v_add_f64 v[48:49], v[32:33], s[12:13]
	s_mov_b32 s12, 0xa621dd6f
	s_mov_b32 s13, 0xc03e78a4
	v_add_f64 v[64:65], v[32:33], s[12:13]
	v_mul_f64 v[48:49], v[48:49], v[64:65]
	v_mul_f64 v[48:49], v[48:49], v[52:53]
	v_div_scale_f64 v[52:53], s[12:13], v[54:55], v[54:55], v[48:49]
	v_rcp_f64_e32 v[64:65], v[52:53]
	s_nop 0
	v_fma_f64 v[66:67], -v[52:53], v[64:65], 1.0
	v_fmac_f64_e32 v[64:65], v[64:65], v[66:67]
	v_fma_f64 v[66:67], -v[52:53], v[64:65], 1.0
	v_fmac_f64_e32 v[64:65], v[64:65], v[66:67]
	v_div_scale_f64 v[66:67], vcc, v[48:49], v[54:55], v[48:49]
	v_mul_f64 v[68:69], v[66:67], v[64:65]
	v_fma_f64 v[52:53], -v[52:53], v[68:69], v[66:67]
	s_nop 1
	v_div_fmas_f64 v[52:53], v[52:53], v[64:65], v[68:69]
	v_div_fixup_f64 v[48:49], v[52:53], v[54:55], v[48:49]
.LBB0_170:
	s_andn2_saveexec_b64 s[10:11], s[10:11]
; %bb.171:
	s_mov_b32 s12, 0
	s_mov_b32 s13, 0xbfd00000
	v_fma_f64 v[48:49], v[32:33], s[12:13], 1.0
; %bb.172:
	s_or_b64 exec, exec, s[10:11]
	s_mov_b32 s10, 0xe896898f
	s_mov_b32 s11, 0x40ce7437
	v_add_f64 v[52:53], v[50:51], s[10:11]
	v_mov_b32_e32 v54, 0x32e48896
	v_mov_b32_e32 v55, 0xc16bf81f
	v_fmac_f64_e32 v[54:55], v[32:33], v[52:53]
	v_mov_b32_e32 v52, 0xf0284cdd
	v_mov_b32_e32 v53, 0x41f43f78
	v_fmac_f64_e32 v[52:53], v[32:33], v[54:55]
	;; [unrolled: 3-line block ×4, first 2 shown]
	v_mov_b32_e32 v54, 0xd1d8cc02
	v_mov_b32_e32 v55, 0xc328a121
	s_mov_b32 s10, 0x576dfcb6
	v_fmac_f64_e32 v[54:55], v[32:33], v[52:53]
	v_mov_b32_e32 v52, 0x660b4003
	v_mov_b32_e32 v53, 0x4363a94b
	s_mov_b32 s11, 0x40904522
	v_fmac_f64_e32 v[52:53], v[32:33], v[54:55]
	v_add_f64 v[50:51], v[50:51], s[10:11]
	v_mov_b32_e32 v54, 0xa907bc0c
	v_mov_b32_e32 v55, 0x41231b76
	v_fmac_f64_e32 v[54:55], v[32:33], v[50:51]
	v_mov_b32_e32 v50, 0x5164d101
	v_mov_b32_e32 v51, 0x41b00763
	v_fmac_f64_e32 v[50:51], v[32:33], v[54:55]
	;; [unrolled: 3-line block ×7, first 2 shown]
	v_div_scale_f64 v[32:33], s[10:11], v[50:51], v[50:51], v[54:55]
	v_rcp_f64_e32 v[52:53], v[32:33]
	s_mov_b32 s10, 0x55555555
	v_frexp_exp_i32_f64_e32 v7, v[36:37]
	v_frexp_mant_f64_e32 v[36:37], v[36:37]
	v_fma_f64 v[64:65], -v[32:33], v[52:53], 1.0
	v_fmac_f64_e32 v[52:53], v[52:53], v[64:65]
	v_fma_f64 v[64:65], -v[32:33], v[52:53], 1.0
	v_fmac_f64_e32 v[52:53], v[52:53], v[64:65]
	v_div_scale_f64 v[64:65], vcc, v[54:55], v[50:51], v[54:55]
	v_mul_f64 v[66:67], v[64:65], v[52:53]
	v_fma_f64 v[32:33], -v[32:33], v[66:67], v[64:65]
	s_mov_b32 s11, 0x3fe55555
	s_nop 0
	v_div_fmas_f64 v[32:33], v[32:33], v[52:53], v[66:67]
	v_div_fixup_f64 v[32:33], v[32:33], v[50:51], v[54:55]
	v_mov_b32_e32 v50, 0x3ff00000
	v_cmp_gt_f64_e32 vcc, s[10:11], v[36:37]
	s_mov_b32 s10, 0xbf559e2b
	s_mov_b32 s11, 0x3fc3ab76
	v_cndmask_b32_e64 v51, v50, 2.0, vcc
	v_mov_b32_e32 v50, 0
	v_mul_f64 v[36:37], v[36:37], v[50:51]
	v_add_f64 v[50:51], v[36:37], 1.0
	v_rcp_f64_e32 v[52:53], v[50:51]
	v_add_f64 v[64:65], v[50:51], -1.0
	v_add_f64 v[54:55], v[36:37], -1.0
	v_add_f64 v[36:37], v[36:37], -v[64:65]
	v_fma_f64 v[64:65], -v[50:51], v[52:53], 1.0
	v_fmac_f64_e32 v[52:53], v[64:65], v[52:53]
	v_fma_f64 v[64:65], -v[50:51], v[52:53], 1.0
	v_fmac_f64_e32 v[52:53], v[64:65], v[52:53]
	v_mul_f64 v[64:65], v[54:55], v[52:53]
	v_mul_f64 v[66:67], v[50:51], v[64:65]
	v_fma_f64 v[50:51], v[64:65], v[50:51], -v[66:67]
	v_fmac_f64_e32 v[50:51], v[64:65], v[36:37]
	v_add_f64 v[36:37], v[66:67], v[50:51]
	v_add_f64 v[68:69], v[54:55], -v[36:37]
	v_add_f64 v[66:67], v[36:37], -v[66:67]
	;; [unrolled: 1-line block ×5, first 2 shown]
	v_add_f64 v[36:37], v[50:51], v[36:37]
	v_add_f64 v[36:37], v[68:69], v[36:37]
	v_mul_f64 v[36:37], v[52:53], v[36:37]
	v_add_f64 v[50:51], v[64:65], v[36:37]
	v_add_f64 v[52:53], v[50:51], -v[64:65]
	v_add_f64 v[36:37], v[36:37], -v[52:53]
	v_mul_f64 v[52:53], v[50:51], v[50:51]
	v_mov_b32_e32 v54, 0x6b47b09a
	v_mov_b32_e32 v55, 0x3fc38538
	v_fmac_f64_e32 v[54:55], s[10:11], v[52:53]
	v_mov_b32_e32 v64, 0xd7f4df2e
	v_mov_b32_e32 v65, 0x3fc7474d
	v_fmac_f64_e32 v[64:65], v[52:53], v[54:55]
	;; [unrolled: 3-line block ×6, first 2 shown]
	v_ldexp_f64 v[54:55], v[50:51], 1
	v_mul_f64 v[50:51], v[50:51], v[52:53]
	v_mul_f64 v[50:51], v[50:51], v[64:65]
	v_add_f64 v[52:53], v[54:55], v[50:51]
	v_add_f64 v[54:55], v[52:53], -v[54:55]
	v_ldexp_f64 v[36:37], v[36:37], 1
	v_add_f64 v[50:51], v[50:51], -v[54:55]
	v_add_f64 v[36:37], v[36:37], v[50:51]
	v_add_f64 v[50:51], v[52:53], v[36:37]
	v_subbrev_co_u32_e32 v7, vcc, 0, v7, vcc
	v_add_f64 v[52:53], v[50:51], -v[52:53]
	s_mov_b32 s10, 0xfefa39ef
	v_add_f64 v[36:37], v[36:37], -v[52:53]
	v_cvt_f64_i32_e32 v[52:53], v7
	s_mov_b32 s11, 0x3fe62e42
	v_mul_f64 v[54:55], v[52:53], s[10:11]
	v_fma_f64 v[64:65], v[52:53], s[10:11], -v[54:55]
	s_mov_b32 s10, 0x3b39803f
	s_mov_b32 s11, 0x3c7abc9e
	v_fmac_f64_e32 v[64:65], s[10:11], v[52:53]
	v_add_f64 v[52:53], v[54:55], v[64:65]
	v_add_f64 v[54:55], v[52:53], -v[54:55]
	v_add_f64 v[54:55], v[64:65], -v[54:55]
	v_add_f64 v[64:65], v[52:53], v[50:51]
	v_add_f64 v[66:67], v[64:65], -v[52:53]
	v_add_f64 v[68:69], v[64:65], -v[66:67]
	;; [unrolled: 1-line block ×4, first 2 shown]
	v_add_f64 v[50:51], v[50:51], v[52:53]
	v_add_f64 v[52:53], v[54:55], v[36:37]
	v_add_f64 v[66:67], v[52:53], -v[54:55]
	v_add_f64 v[68:69], v[52:53], -v[66:67]
	v_add_f64 v[50:51], v[52:53], v[50:51]
	v_add_f64 v[54:55], v[54:55], -v[68:69]
	v_add_f64 v[36:37], v[36:37], -v[66:67]
	v_add_f64 v[52:53], v[64:65], v[50:51]
	v_add_f64 v[36:37], v[36:37], v[54:55]
	v_add_f64 v[54:55], v[52:53], -v[64:65]
	v_add_f64 v[50:51], v[50:51], -v[54:55]
	v_add_f64 v[36:37], v[36:37], v[50:51]
	s_mov_b32 s10, 0x6dc9c883
	v_add_f64 v[36:37], v[52:53], v[36:37]
	s_mov_b32 s11, 0x3fe45f30
	v_mul_f64 v[36:37], v[36:37], s[10:11]
	v_fmac_f64_e32 v[32:33], v[36:37], v[48:49]
.LBB0_173:
	s_or_b64 exec, exec, s[8:9]
.LBB0_174:
	s_or_b64 exec, exec, s[6:7]
                                        ; implicit-def: $vgpr36_vgpr37
.LBB0_175:
	s_andn2_saveexec_b64 s[6:7], s[2:3]
	s_cbranch_execz .LBB0_185
; %bb.176:
	s_mov_b32 s11, 0xbfe921fb
	s_mov_b32 s10, 0x54442d18
	;; [unrolled: 1-line block ×3, first 2 shown]
	v_add_f64 v[32:33], v[36:37], s[10:11]
	s_mov_b32 s3, 0x41d00000
	v_cmp_nlt_f64_e64 s[8:9], |v[32:33]|, s[2:3]
	v_trig_preop_f64 v[68:69], |v[32:33]|, 0
	v_trig_preop_f64 v[66:67], |v[32:33]|, 1
	;; [unrolled: 1-line block ×3, first 2 shown]
                                        ; implicit-def: $vgpr7
                                        ; implicit-def: $vgpr48_vgpr49
                                        ; implicit-def: $vgpr50_vgpr51
	s_and_saveexec_b64 s[2:3], s[8:9]
	s_xor_b64 s[12:13], exec, s[2:3]
	s_cbranch_execz .LBB0_178
; %bb.177:
	s_mov_b32 s2, 0
	s_mov_b32 s3, 0x7b000000
	s_movk_i32 s11, 0xff80
	v_and_b32_e32 v7, 0x7fffffff, v33
	v_ldexp_f64 v[48:49], |v[32:33]|, s11
	v_cmp_ge_f64_e64 vcc, |v[32:33]|, s[2:3]
	s_mov_b32 s2, 0
	s_mov_b32 s3, 0x7ff00000
	v_cndmask_b32_e32 v49, v7, v49, vcc
	v_cndmask_b32_e32 v48, v32, v48, vcc
	v_mul_f64 v[52:53], v[68:69], v[48:49]
	v_mul_f64 v[50:51], v[66:67], v[48:49]
	v_fma_f64 v[54:55], v[68:69], v[48:49], -v[52:53]
	v_add_f64 v[80:81], v[50:51], v[54:55]
	v_add_f64 v[82:83], v[52:53], v[80:81]
	v_ldexp_f64 v[84:85], v[82:83], -2
	v_fract_f64_e32 v[86:87], v[84:85]
	v_cmp_neq_f64_e64 vcc, |v[84:85]|, s[2:3]
	v_add_f64 v[52:53], v[82:83], -v[52:53]
	v_add_f64 v[52:53], v[80:81], -v[52:53]
	v_cndmask_b32_e32 v85, 0, v87, vcc
	v_cndmask_b32_e32 v84, 0, v86, vcc
	v_add_f64 v[86:87], v[80:81], -v[50:51]
	v_add_f64 v[54:55], v[54:55], -v[86:87]
	;; [unrolled: 1-line block ×4, first 2 shown]
	v_add_f64 v[54:55], v[54:55], v[86:87]
	v_fma_f64 v[50:51], v[66:67], v[48:49], -v[50:51]
	v_mul_f64 v[86:87], v[64:65], v[48:49]
	v_add_f64 v[98:99], v[86:87], v[50:51]
	v_add_f64 v[100:101], v[98:99], v[54:55]
	v_add_f64 v[82:83], v[100:101], -v[98:99]
	v_add_f64 v[54:55], v[54:55], -v[82:83]
	;; [unrolled: 1-line block ×4, first 2 shown]
	v_add_f64 v[54:55], v[54:55], v[82:83]
	v_add_f64 v[82:83], v[98:99], -v[86:87]
	v_add_f64 v[50:51], v[50:51], -v[82:83]
	;; [unrolled: 1-line block ×4, first 2 shown]
	v_add_f64 v[80:81], v[52:53], v[100:101]
	v_add_f64 v[50:51], v[50:51], v[82:83]
	v_add_f64 v[52:53], v[80:81], -v[52:53]
	v_add_f64 v[50:51], v[50:51], v[54:55]
	v_fma_f64 v[48:49], v[64:65], v[48:49], -v[86:87]
	v_add_f64 v[52:53], v[100:101], -v[52:53]
	v_add_f64 v[48:49], v[48:49], v[50:51]
	v_ldexp_f64 v[50:51], v[84:85], 2
	v_add_f64 v[48:49], v[52:53], v[48:49]
	v_add_f64 v[52:53], v[80:81], v[50:51]
	v_mov_b32_e32 v7, 0x40100000
	v_cmp_gt_f64_e32 vcc, 0, v[52:53]
	v_mov_b32_e32 v96, 0
	s_mov_b32 s11, 0x3ff921fb
	v_cndmask_b32_e32 v97, 0, v7, vcc
	v_add_f64 v[50:51], v[50:51], v[96:97]
	v_add_f64 v[52:53], v[80:81], v[50:51]
	v_cvt_i32_f64_e32 v7, v[52:53]
	v_cvt_f64_i32_e32 v[52:53], v7
	v_add_f64 v[50:51], v[50:51], -v[52:53]
	v_add_f64 v[52:53], v[80:81], v[50:51]
	v_add_f64 v[50:51], v[52:53], -v[50:51]
	v_add_f64 v[50:51], v[80:81], -v[50:51]
	v_add_f64 v[48:49], v[48:49], v[50:51]
	v_cmp_le_f64_e32 vcc, 0.5, v[52:53]
	v_mov_b32_e32 v50, 0x3ff00000
	s_nop 0
	v_cndmask_b32_e32 v97, 0, v50, vcc
	v_add_f64 v[50:51], v[52:53], -v[96:97]
	v_add_f64 v[52:53], v[50:51], v[48:49]
	v_addc_co_u32_e64 v7, s[2:3], 0, v7, vcc
	v_add_f64 v[50:51], v[52:53], -v[50:51]
	v_add_f64 v[48:49], v[48:49], -v[50:51]
	v_mul_f64 v[50:51], v[52:53], s[10:11]
	s_mov_b32 s2, 0x33145c07
	v_fma_f64 v[54:55], v[52:53], s[10:11], -v[50:51]
	s_mov_b32 s3, 0x3c91a626
	v_fmac_f64_e32 v[54:55], s[2:3], v[52:53]
	v_fmac_f64_e32 v[54:55], s[10:11], v[48:49]
	v_add_f64 v[48:49], v[50:51], v[54:55]
	v_add_f64 v[50:51], v[48:49], -v[50:51]
	v_add_f64 v[50:51], v[54:55], -v[50:51]
	s_andn2_saveexec_b64 s[2:3], s[12:13]
	s_cbranch_execz .LBB0_180
	s_branch .LBB0_179
.LBB0_178:
	s_andn2_saveexec_b64 s[2:3], s[12:13]
	s_cbranch_execz .LBB0_180
.LBB0_179:
	s_mov_b32 s10, 0x6dc9c883
	s_mov_b32 s11, 0x3fe45f30
	v_mul_f64 v[48:49], |v[32:33]|, s[10:11]
	s_mov_b32 s10, 0x54442d18
	v_rndne_f64_e32 v[52:53], v[48:49]
	s_mov_b32 s11, 0xbff921fb
	v_fma_f64 v[48:49], v[52:53], s[10:11], |v[32:33]|
	s_mov_b32 s11, 0xbc91a626
	s_mov_b32 s10, 0x33145c00
	v_mul_f64 v[54:55], v[52:53], s[10:11]
	v_add_f64 v[82:83], v[48:49], v[54:55]
	v_fma_f64 v[50:51], s[10:11], v[52:53], v[48:49]
	s_mov_b32 s11, 0x3c91a626
	v_add_f64 v[48:49], v[48:49], -v[82:83]
	v_fma_f64 v[80:81], s[10:11], v[52:53], v[54:55]
	v_add_f64 v[48:49], v[48:49], v[54:55]
	v_add_f64 v[54:55], v[82:83], -v[50:51]
	v_add_f64 v[48:49], v[54:55], v[48:49]
	s_mov_b32 s10, 0x252049c0
	v_add_f64 v[54:55], v[48:49], -v[80:81]
	s_mov_b32 s11, 0xb97b839a
	v_fmac_f64_e32 v[54:55], s[10:11], v[52:53]
	v_add_f64 v[48:49], v[50:51], v[54:55]
	v_add_f64 v[50:51], v[48:49], -v[50:51]
	v_add_f64 v[50:51], v[54:55], -v[50:51]
	v_cvt_i32_f64_e32 v7, v[52:53]
.LBB0_180:
	s_or_b64 exec, exec, s[2:3]
                                        ; implicit-def: $vgpr71
                                        ; implicit-def: $vgpr52_vgpr53
                                        ; implicit-def: $vgpr54_vgpr55
	s_and_saveexec_b64 s[2:3], s[8:9]
	s_xor_b64 s[8:9], exec, s[2:3]
	s_cbranch_execz .LBB0_182
; %bb.181:
	s_mov_b32 s2, 0
	s_mov_b32 s3, 0x7b000000
	s_movk_i32 s10, 0xff80
	v_and_b32_e32 v54, 0x7fffffff, v33
	v_ldexp_f64 v[52:53], |v[32:33]|, s10
	v_cmp_ge_f64_e64 vcc, |v[32:33]|, s[2:3]
	s_mov_b32 s2, 0
	s_mov_b32 s3, 0x7ff00000
	v_cndmask_b32_e32 v53, v54, v53, vcc
	v_cndmask_b32_e32 v52, v32, v52, vcc
	v_mul_f64 v[80:81], v[68:69], v[52:53]
	v_mul_f64 v[54:55], v[66:67], v[52:53]
	v_fma_f64 v[68:69], v[68:69], v[52:53], -v[80:81]
	v_add_f64 v[82:83], v[54:55], v[68:69]
	v_add_f64 v[84:85], v[80:81], v[82:83]
	v_ldexp_f64 v[86:87], v[84:85], -2
	v_fract_f64_e32 v[96:97], v[86:87]
	v_cmp_neq_f64_e64 vcc, |v[86:87]|, s[2:3]
	v_add_f64 v[80:81], v[84:85], -v[80:81]
	v_add_f64 v[80:81], v[82:83], -v[80:81]
	v_cndmask_b32_e32 v87, 0, v97, vcc
	v_cndmask_b32_e32 v86, 0, v96, vcc
	v_add_f64 v[96:97], v[82:83], -v[54:55]
	v_add_f64 v[68:69], v[68:69], -v[96:97]
	;; [unrolled: 1-line block ×4, first 2 shown]
	v_fma_f64 v[54:55], v[66:67], v[52:53], -v[54:55]
	v_mul_f64 v[66:67], v[64:65], v[52:53]
	v_add_f64 v[68:69], v[68:69], v[96:97]
	v_add_f64 v[96:97], v[66:67], v[54:55]
	;; [unrolled: 1-line block ×3, first 2 shown]
	v_add_f64 v[84:85], v[100:101], -v[96:97]
	v_add_f64 v[68:69], v[68:69], -v[84:85]
	;; [unrolled: 1-line block ×4, first 2 shown]
	v_add_f64 v[68:69], v[68:69], v[84:85]
	v_add_f64 v[84:85], v[96:97], -v[66:67]
	v_add_f64 v[54:55], v[54:55], -v[84:85]
	;; [unrolled: 1-line block ×4, first 2 shown]
	v_add_f64 v[54:55], v[54:55], v[84:85]
	v_add_f64 v[54:55], v[54:55], v[68:69]
	v_fma_f64 v[52:53], v[64:65], v[52:53], -v[66:67]
	v_add_f64 v[82:83], v[80:81], v[100:101]
	v_add_f64 v[52:53], v[52:53], v[54:55]
	v_ldexp_f64 v[54:55], v[86:87], 2
	v_add_f64 v[64:65], v[82:83], v[54:55]
	v_mov_b32_e32 v66, 0x40100000
	v_cmp_gt_f64_e32 vcc, 0, v[64:65]
	v_mov_b32_e32 v98, 0
	v_add_f64 v[80:81], v[82:83], -v[80:81]
	v_cndmask_b32_e32 v99, 0, v66, vcc
	v_add_f64 v[54:55], v[54:55], v[98:99]
	v_add_f64 v[64:65], v[82:83], v[54:55]
	v_cvt_i32_f64_e32 v66, v[64:65]
	v_cvt_f64_i32_e32 v[64:65], v66
	v_add_f64 v[54:55], v[54:55], -v[64:65]
	v_add_f64 v[64:65], v[82:83], v[54:55]
	v_add_f64 v[80:81], v[100:101], -v[80:81]
	v_add_f64 v[54:55], v[64:65], -v[54:55]
	v_add_f64 v[52:53], v[80:81], v[52:53]
	v_add_f64 v[54:55], v[82:83], -v[54:55]
	v_add_f64 v[52:53], v[52:53], v[54:55]
	v_cmp_le_f64_e32 vcc, 0.5, v[64:65]
	v_mov_b32_e32 v54, 0x3ff00000
	s_mov_b32 s10, 0x33145c07
	v_cndmask_b32_e32 v99, 0, v54, vcc
	v_addc_co_u32_e64 v71, s[2:3], 0, v66, vcc
	v_add_f64 v[54:55], v[64:65], -v[98:99]
	v_add_f64 v[64:65], v[54:55], v[52:53]
	s_mov_b32 s2, 0x54442d18
	v_add_f64 v[54:55], v[64:65], -v[54:55]
	s_mov_b32 s3, 0x3ff921fb
	v_add_f64 v[52:53], v[52:53], -v[54:55]
	v_mul_f64 v[54:55], v[64:65], s[2:3]
	v_fma_f64 v[66:67], v[64:65], s[2:3], -v[54:55]
	s_mov_b32 s11, 0x3c91a626
	v_fmac_f64_e32 v[66:67], s[10:11], v[64:65]
	v_fmac_f64_e32 v[66:67], s[2:3], v[52:53]
	v_add_f64 v[52:53], v[54:55], v[66:67]
	v_add_f64 v[54:55], v[52:53], -v[54:55]
	v_add_f64 v[54:55], v[66:67], -v[54:55]
	s_andn2_saveexec_b64 s[2:3], s[8:9]
	s_cbranch_execnz .LBB0_183
	s_branch .LBB0_184
.LBB0_182:
	s_andn2_saveexec_b64 s[2:3], s[8:9]
	s_cbranch_execz .LBB0_184
.LBB0_183:
	s_mov_b32 s8, 0x6dc9c883
	s_mov_b32 s9, 0x3fe45f30
	v_mul_f64 v[52:53], |v[32:33]|, s[8:9]
	s_mov_b32 s8, 0x54442d18
	v_rndne_f64_e32 v[64:65], v[52:53]
	s_mov_b32 s9, 0xbff921fb
	v_fma_f64 v[52:53], v[64:65], s[8:9], |v[32:33]|
	s_mov_b32 s9, 0xbc91a626
	s_mov_b32 s8, 0x33145c00
	v_mul_f64 v[66:67], v[64:65], s[8:9]
	v_add_f64 v[80:81], v[52:53], v[66:67]
	v_fma_f64 v[54:55], s[8:9], v[64:65], v[52:53]
	s_mov_b32 s9, 0x3c91a626
	v_add_f64 v[52:53], v[52:53], -v[80:81]
	v_fma_f64 v[68:69], s[8:9], v[64:65], v[66:67]
	v_add_f64 v[52:53], v[52:53], v[66:67]
	v_add_f64 v[66:67], v[80:81], -v[54:55]
	v_add_f64 v[52:53], v[66:67], v[52:53]
	s_mov_b32 s8, 0x252049c0
	v_add_f64 v[66:67], v[52:53], -v[68:69]
	s_mov_b32 s9, 0xb97b839a
	v_fmac_f64_e32 v[66:67], s[8:9], v[64:65]
	v_add_f64 v[52:53], v[54:55], v[66:67]
	v_add_f64 v[54:55], v[52:53], -v[54:55]
	v_add_f64 v[54:55], v[66:67], -v[54:55]
	v_cvt_i32_f64_e32 v71, v[64:65]
.LBB0_184:
	s_or_b64 exec, exec, s[2:3]
	s_mov_b32 s2, 0
	v_mul_f64 v[64:65], v[36:37], v[36:37]
	s_mov_b32 s3, 0x40390000
	v_div_scale_f64 v[66:67], s[8:9], v[64:65], v[64:65], s[2:3]
	v_rcp_f64_e32 v[68:69], v[66:67]
	v_mov_b32_e32 v84, 0xb1759c7f
	v_mov_b32_e32 v85, 0x408ac370
	;; [unrolled: 1-line block ×3, first 2 shown]
	v_fma_f64 v[80:81], -v[66:67], v[68:69], 1.0
	v_fmac_f64_e32 v[68:69], v[68:69], v[80:81]
	v_fma_f64 v[80:81], -v[66:67], v[68:69], 1.0
	v_fmac_f64_e32 v[68:69], v[68:69], v[80:81]
	v_div_scale_f64 v[80:81], vcc, s[2:3], v[64:65], s[2:3]
	v_mul_f64 v[82:83], v[80:81], v[68:69]
	v_fma_f64 v[66:67], -v[66:67], v[82:83], v[80:81]
	v_mov_b32_e32 v80, 0xab5454e3
	s_nop 0
	v_div_fmas_f64 v[66:67], v[66:67], v[68:69], v[82:83]
	v_div_fixup_f64 v[64:65], v[66:67], v[64:65], s[2:3]
	v_mov_b32_e32 v66, 0x983b6b27
	v_mov_b32_e32 v67, 0x3f4a1d30
	v_fmac_f64_e32 v[66:67], 0, v[64:65]
	v_mov_b32_e32 v68, 0xb35dd1cf
	v_mov_b32_e32 v69, 0x3fb534b0
	v_fmac_f64_e32 v[68:69], v[64:65], v[66:67]
	;; [unrolled: 3-line block ×7, first 2 shown]
	v_mov_b32_e32 v81, 0x3fb5ebc5
	v_fmac_f64_e32 v[80:81], v[64:65], v[66:67]
	v_mov_b32_e32 v66, 0xc9b3069f
	v_mov_b32_e32 v67, 0x3ff40e72
	v_fmac_f64_e32 v[66:67], v[64:65], v[80:81]
	v_mov_b32_e32 v80, 0xe68162bb
	;; [unrolled: 3-line block ×4, first 2 shown]
	v_mov_b32_e32 v81, 0x40153965
	v_fmac_f64_e32 v[80:81], v[64:65], v[66:67]
	v_fma_f64 v[66:67], v[64:65], v[80:81], 1.0
	v_mov_b32_e32 v80, 0x38a5384a
	v_mov_b32_e32 v81, 0xbf874742
	v_fmac_f64_e32 v[80:81], 0, v[64:65]
	v_mov_b32_e32 v82, 0x3a321174
	v_mov_b32_e32 v83, 0xbff4853b
	v_fmac_f64_e32 v[82:83], v[64:65], v[80:81]
	;; [unrolled: 3-line block ×9, first 2 shown]
	v_fmac_f64_e32 v[84:85], v[64:65], v[80:81]
	v_mov_b32_e32 v80, 0xbd748cb5
	v_mov_b32_e32 v81, 0x40ae54cd
	v_fmac_f64_e32 v[80:81], v[64:65], v[84:85]
	v_mov_b32_e32 v84, 0xbdefd63e
	v_mov_b32_e32 v85, 0x40bc4877
	;; [unrolled: 3-line block ×4, first 2 shown]
	v_fma_f64 v[68:69], v[64:65], v[68:69], 1.0
	v_fmac_f64_e32 v[84:85], v[64:65], v[80:81]
	v_div_scale_f64 v[80:81], s[2:3], v[66:67], v[66:67], v[68:69]
	v_rcp_f64_e32 v[86:87], v[80:81]
	v_mov_b32_e32 v97, 0x406e402f
	v_fmac_f64_e32 v[96:97], v[64:65], v[84:85]
	s_mov_b32 s2, 0x9037ab78
	v_fma_f64 v[64:65], -v[80:81], v[86:87], 1.0
	v_fmac_f64_e32 v[86:87], v[86:87], v[64:65]
	v_fma_f64 v[64:65], -v[80:81], v[86:87], 1.0
	v_fmac_f64_e32 v[86:87], v[86:87], v[64:65]
	v_div_scale_f64 v[64:65], vcc, v[68:69], v[66:67], v[68:69]
	v_mul_f64 v[84:85], v[64:65], v[86:87]
	v_fma_f64 v[64:65], -v[80:81], v[84:85], v[64:65]
	s_mov_b32 s3, 0x3e21eeb6
	s_nop 0
	v_div_fmas_f64 v[64:65], v[64:65], v[86:87], v[84:85]
	s_mov_b32 s8, 0x46cc5e42
	v_div_fixup_f64 v[64:65], v[64:65], v[66:67], v[68:69]
	v_mul_f64 v[66:67], v[48:49], v[48:49]
	s_mov_b32 s9, 0xbda907db
	v_mov_b64_e32 v[86:87], s[2:3]
	s_mov_b32 s10, 0xa17f65f6
	v_mul_f64 v[68:69], v[66:67], 0.5
	v_fma_f64 v[98:99], s[8:9], v[66:67], v[86:87]
	s_mov_b32 s11, 0xbe927e4f
	s_mov_b32 s12, 0x19f4ec90
	v_add_f64 v[80:81], -v[68:69], 1.0
	v_fma_f64 v[98:99], v[66:67], v[98:99], s[10:11]
	s_mov_b32 s13, 0x3efa01a0
	s_mov_b32 s14, 0x16c16967
	v_add_f64 v[84:85], -v[80:81], 1.0
	v_fma_f64 v[98:99], v[66:67], v[98:99], s[12:13]
	s_mov_b32 s15, 0xbf56c16c
	s_mov_b32 s16, 0x55555555
	v_add_f64 v[68:69], v[84:85], -v[68:69]
	v_fma_f64 v[98:99], v[66:67], v[98:99], s[14:15]
	s_mov_b32 s17, 0x3fa55555
	v_mul_f64 v[84:85], v[66:67], v[66:67]
	v_fma_f64 v[98:99], v[66:67], v[98:99], s[16:17]
	v_fma_f64 v[68:69], v[48:49], -v[50:51], v[68:69]
	s_mov_b32 s2, 0xb42fdfa7
	v_fmac_f64_e32 v[68:69], v[84:85], v[98:99]
	s_mov_b32 s3, 0xbe5ae600
	s_mov_b32 s18, 0xf9a43bb8
	v_add_f64 v[68:69], v[80:81], v[68:69]
	s_mov_b32 s19, 0x3de5e0b2
	v_mov_b64_e32 v[80:81], s[2:3]
	s_mov_b32 s22, 0x796cde01
	v_fma_f64 v[84:85], s[18:19], v[66:67], v[80:81]
	s_mov_b32 s23, 0x3ec71de3
	s_mov_b32 s24, 0x19e83e5c
	v_fma_f64 v[84:85], v[66:67], v[84:85], s[22:23]
	s_mov_b32 s25, 0xbf2a01a0
	;; [unrolled: 3-line block ×3, first 2 shown]
	v_fma_f64 v[84:85], v[66:67], v[84:85], s[26:27]
	v_mul_f64 v[98:99], v[48:49], -v[66:67]
	v_mul_f64 v[100:101], v[50:51], 0.5
	v_fmac_f64_e32 v[100:101], v[98:99], v[84:85]
	v_fma_f64 v[50:51], v[66:67], v[100:101], -v[50:51]
	s_mov_b32 s29, 0xbfc55555
	s_mov_b32 s28, s16
	v_fmac_f64_e32 v[50:51], s[28:29], v[98:99]
	v_add_f64 v[48:49], v[48:49], -v[50:51]
	v_and_b32_e32 v50, 1, v7
	v_lshlrev_b32_e32 v7, 30, v7
	v_cmp_eq_u32_e32 vcc, 0, v50
	v_xor_b32_e32 v7, v7, v33
	s_mov_b32 s30, 0
	v_cndmask_b32_e32 v66, v68, v48, vcc
	v_cndmask_b32_e32 v48, v69, v49, vcc
	v_and_b32_e32 v7, 0x80000000, v7
	s_mov_b32 s31, 0x40140000
	v_xor_b32_e32 v7, v48, v7
	v_div_scale_f64 v[48:49], s[2:3], v[36:37], v[36:37], s[30:31]
	v_rcp_f64_e32 v[50:51], v[48:49]
	s_movk_i32 s21, 0x1f8
	v_cmp_class_f64_e64 s[2:3], v[32:33], s21
	v_mov_b32_e32 v98, 0x7ff80000
	s_nop 0
	v_cndmask_b32_e64 v32, 0, v66, s[2:3]
	v_fma_f64 v[66:67], -v[48:49], v[50:51], 1.0
	v_fmac_f64_e32 v[50:51], v[50:51], v[66:67]
	v_fma_f64 v[66:67], -v[48:49], v[50:51], 1.0
	v_fmac_f64_e32 v[50:51], v[50:51], v[66:67]
	v_div_scale_f64 v[66:67], vcc, s[30:31], v[36:37], s[30:31]
	v_mul_f64 v[68:69], v[66:67], v[50:51]
	v_fma_f64 v[48:49], -v[48:49], v[68:69], v[66:67]
	v_div_scale_f64 v[66:67], s[34:35], v[96:97], v[96:97], v[82:83]
	v_rcp_f64_e32 v[84:85], v[66:67]
	v_div_fmas_f64 v[48:49], v[48:49], v[50:51], v[68:69]
	v_div_fixup_f64 v[48:49], v[48:49], v[36:37], s[30:31]
	v_cndmask_b32_e64 v33, v98, v7, s[2:3]
	v_fma_f64 v[50:51], -v[66:67], v[84:85], 1.0
	v_fmac_f64_e32 v[84:85], v[84:85], v[50:51]
	v_fma_f64 v[50:51], -v[66:67], v[84:85], 1.0
	v_fmac_f64_e32 v[84:85], v[84:85], v[50:51]
	v_div_scale_f64 v[50:51], vcc, v[82:83], v[96:97], v[82:83]
	v_mul_f64 v[68:69], v[50:51], v[84:85]
	v_fma_f64 v[50:51], -v[66:67], v[68:69], v[50:51]
	s_nop 1
	v_div_fmas_f64 v[50:51], v[50:51], v[84:85], v[68:69]
	v_div_fixup_f64 v[50:51], v[50:51], v[96:97], v[82:83]
	v_mul_f64 v[48:49], v[48:49], v[50:51]
	v_mul_f64 v[50:51], v[52:53], v[52:53]
	v_mul_f64 v[66:67], v[50:51], 0.5
	v_fmac_f64_e32 v[86:87], s[8:9], v[50:51]
	v_add_f64 v[68:69], -v[66:67], 1.0
	v_fma_f64 v[84:85], v[50:51], v[86:87], s[10:11]
	v_add_f64 v[82:83], -v[68:69], 1.0
	v_fma_f64 v[84:85], v[50:51], v[84:85], s[12:13]
	v_add_f64 v[66:67], v[82:83], -v[66:67]
	v_fma_f64 v[84:85], v[50:51], v[84:85], s[14:15]
	v_mul_f64 v[82:83], v[50:51], v[50:51]
	v_fma_f64 v[84:85], v[50:51], v[84:85], s[16:17]
	v_fma_f64 v[66:67], v[52:53], -v[54:55], v[66:67]
	v_fmac_f64_e32 v[66:67], v[82:83], v[84:85]
	v_fmac_f64_e32 v[80:81], s[18:19], v[50:51]
	v_add_f64 v[66:67], v[68:69], v[66:67]
	v_fma_f64 v[68:69], v[50:51], v[80:81], s[22:23]
	v_fma_f64 v[68:69], v[50:51], v[68:69], s[24:25]
	;; [unrolled: 1-line block ×3, first 2 shown]
	v_mul_f64 v[80:81], v[52:53], -v[50:51]
	v_mul_f64 v[82:83], v[54:55], 0.5
	v_fmac_f64_e32 v[82:83], v[80:81], v[68:69]
	v_fma_f64 v[50:51], v[50:51], v[82:83], -v[54:55]
	v_fmac_f64_e32 v[50:51], s[28:29], v[80:81]
	v_add_f64 v[50:51], v[52:53], -v[50:51]
	v_xor_b32_e32 v7, 0x80000000, v51
	v_and_b32_e32 v51, 1, v71
	v_cmp_eq_u32_e32 vcc, 0, v51
	v_lshlrev_b32_e32 v51, 30, v71
	v_and_b32_e32 v51, 0x80000000, v51
	v_cndmask_b32_e32 v7, v7, v67, vcc
	v_cndmask_b32_e32 v50, v50, v66, vcc
	v_xor_b32_e32 v7, v7, v51
	v_cndmask_b32_e64 v50, 0, v50, s[2:3]
	v_cndmask_b32_e64 v51, v98, v7, s[2:3]
	s_mov_b32 s2, 0
	s_brev_b32 s3, 8
	v_cmp_gt_f64_e32 vcc, s[2:3], v[36:37]
	v_mul_f64 v[48:49], v[48:49], v[50:51]
	v_fmac_f64_e32 v[48:49], v[64:65], v[32:33]
	v_cndmask_b32_e64 v7, 0, 1, vcc
	v_lshlrev_b32_e32 v7, 8, v7
	v_ldexp_f64 v[32:33], v[36:37], v7
	v_rsq_f64_e32 v[36:37], v[32:33]
	v_mov_b32_e32 v7, 0xffffff80
	v_cndmask_b32_e32 v7, 0, v7, vcc
	s_mov_b32 s2, 0x33d43651
	v_mul_f64 v[50:51], v[32:33], v[36:37]
	v_mul_f64 v[36:37], v[36:37], 0.5
	v_fma_f64 v[52:53], -v[36:37], v[50:51], 0.5
	v_fmac_f64_e32 v[50:51], v[50:51], v[52:53]
	v_fma_f64 v[54:55], -v[50:51], v[50:51], v[32:33]
	v_fmac_f64_e32 v[36:37], v[36:37], v[52:53]
	v_fmac_f64_e32 v[50:51], v[54:55], v[36:37]
	v_fma_f64 v[52:53], -v[50:51], v[50:51], v[32:33]
	v_fmac_f64_e32 v[50:51], v[52:53], v[36:37]
	v_ldexp_f64 v[36:37], v[50:51], v7
	v_mov_b32_e32 v7, 0x260
	s_mov_b32 s3, 0x3fe98845
	v_cmp_class_f64_e32 vcc, v[32:33], v7
	v_mul_f64 v[48:49], v[48:49], s[2:3]
	s_nop 0
	v_cndmask_b32_e32 v33, v37, v33, vcc
	v_cndmask_b32_e32 v32, v36, v32, vcc
	v_div_scale_f64 v[36:37], s[2:3], v[32:33], v[32:33], v[48:49]
	v_rcp_f64_e32 v[50:51], v[36:37]
	s_nop 0
	v_fma_f64 v[52:53], -v[36:37], v[50:51], 1.0
	v_fmac_f64_e32 v[50:51], v[50:51], v[52:53]
	v_fma_f64 v[52:53], -v[36:37], v[50:51], 1.0
	v_fmac_f64_e32 v[50:51], v[50:51], v[52:53]
	v_div_scale_f64 v[52:53], vcc, v[48:49], v[32:33], v[48:49]
	v_mul_f64 v[54:55], v[52:53], v[50:51]
	v_fma_f64 v[36:37], -v[36:37], v[54:55], v[52:53]
	s_nop 1
	v_div_fmas_f64 v[36:37], v[36:37], v[50:51], v[54:55]
	v_div_fixup_f64 v[32:33], v[36:37], v[32:33], v[48:49]
.LBB0_185:
	s_or_b64 exec, exec, s[6:7]
.LBB0_186:
	s_or_b64 exec, exec, s[4:5]
	v_add_u32_e32 v7, 0x700, v5
	v_cmp_lt_i32_e32 vcc, v7, v4
                                        ; implicit-def: $vgpr36_vgpr37
	s_and_saveexec_b64 s[4:5], vcc
	s_cbranch_execz .LBB0_208
; %bb.187:
	s_mov_b32 s2, 0
	s_mov_b32 s3, 0x40140000
	s_waitcnt vmcnt(0) lgkmcnt(0)
	v_cmp_ge_f64_e32 vcc, s[2:3], v[38:39]
                                        ; implicit-def: $vgpr36_vgpr37
	s_and_saveexec_b64 s[2:3], vcc
	s_xor_b64 s[2:3], exec, s[2:3]
	s_cbranch_execz .LBB0_197
; %bb.188:
	v_mov_b32_e32 v36, 0
	v_cmp_neq_f64_e32 vcc, 0, v[38:39]
	v_mov_b32_e32 v37, 0xfff00000
	s_and_saveexec_b64 s[6:7], vcc
	s_cbranch_execz .LBB0_196
; %bb.189:
	v_mov_b32_e32 v36, 0
	v_cmp_ngt_f64_e32 vcc, 0, v[38:39]
	v_mov_b32_e32 v37, 0x7ff80000
	s_and_saveexec_b64 s[8:9], vcc
	s_cbranch_execz .LBB0_195
; %bb.190:
	s_mov_b32 s10, 0x88e368f1
	v_mul_f64 v[36:37], v[38:39], v[38:39]
	s_mov_b32 s11, 0x3ee4f8b5
	v_mul_f64 v[50:51], v[36:37], 0
	v_cmp_ngt_f64_e32 vcc, s[10:11], v[38:39]
                                        ; implicit-def: $vgpr48_vgpr49
	s_and_saveexec_b64 s[10:11], vcc
	s_xor_b64 s[10:11], exec, s[10:11]
	s_cbranch_execz .LBB0_192
; %bb.191:
	s_mov_b32 s12, 0xad1c8325
	s_mov_b32 s13, 0xc1f1dc53
	v_add_f64 v[48:49], v[50:51], s[12:13]
	v_mov_b32_e32 v52, 0xc772990d
	v_mov_b32_e32 v53, 0x427c7751
	s_mov_b32 s12, 0xa696b78c
	v_fmac_f64_e32 v[52:53], v[36:37], v[48:49]
	v_mov_b32_e32 v48, 0xe0d900f7
	v_mov_b32_e32 v49, 0xc2ec5614
	s_mov_b32 s13, 0x407f3902
	v_fmac_f64_e32 v[48:49], v[36:37], v[52:53]
	v_add_f64 v[52:53], v[50:51], s[12:13]
	v_mov_b32_e32 v54, 0x36a21a67
	v_mov_b32_e32 v55, 0x410536cb
	v_fmac_f64_e32 v[54:55], v[36:37], v[52:53]
	v_mov_b32_e32 v52, 0x2eac0634
	v_mov_b32_e32 v53, 0x41871934
	v_fmac_f64_e32 v[52:53], v[36:37], v[54:55]
	;; [unrolled: 3-line block ×6, first 2 shown]
	v_mov_b32_e32 v54, 0xc7b662cc
	v_mov_b32_e32 v55, 0x43b7be34
	s_mov_b32 s12, 0x80462bbb
	v_fmac_f64_e32 v[54:55], v[36:37], v[52:53]
	v_mov_b32_e32 v52, 0x69ff5fb4
	v_mov_b32_e32 v53, 0x43413ef8
	s_mov_b32 s13, 0xc01721fb
	v_fmac_f64_e32 v[52:53], v[36:37], v[48:49]
	v_add_f64 v[48:49], v[36:37], s[12:13]
	s_mov_b32 s12, 0xa621dd6f
	s_mov_b32 s13, 0xc03e78a4
	v_add_f64 v[64:65], v[36:37], s[12:13]
	v_mul_f64 v[48:49], v[48:49], v[64:65]
	v_mul_f64 v[48:49], v[48:49], v[52:53]
	v_div_scale_f64 v[52:53], s[12:13], v[54:55], v[54:55], v[48:49]
	v_rcp_f64_e32 v[64:65], v[52:53]
	s_nop 0
	v_fma_f64 v[66:67], -v[52:53], v[64:65], 1.0
	v_fmac_f64_e32 v[64:65], v[64:65], v[66:67]
	v_fma_f64 v[66:67], -v[52:53], v[64:65], 1.0
	v_fmac_f64_e32 v[64:65], v[64:65], v[66:67]
	v_div_scale_f64 v[66:67], vcc, v[48:49], v[54:55], v[48:49]
	v_mul_f64 v[68:69], v[66:67], v[64:65]
	v_fma_f64 v[52:53], -v[52:53], v[68:69], v[66:67]
	s_nop 1
	v_div_fmas_f64 v[52:53], v[52:53], v[64:65], v[68:69]
	v_div_fixup_f64 v[48:49], v[52:53], v[54:55], v[48:49]
.LBB0_192:
	s_andn2_saveexec_b64 s[10:11], s[10:11]
; %bb.193:
	s_mov_b32 s12, 0
	s_mov_b32 s13, 0xbfd00000
	v_fma_f64 v[48:49], v[36:37], s[12:13], 1.0
; %bb.194:
	s_or_b64 exec, exec, s[10:11]
	s_mov_b32 s10, 0xe896898f
	s_mov_b32 s11, 0x40ce7437
	v_add_f64 v[52:53], v[50:51], s[10:11]
	v_mov_b32_e32 v54, 0x32e48896
	v_mov_b32_e32 v55, 0xc16bf81f
	v_fmac_f64_e32 v[54:55], v[36:37], v[52:53]
	v_mov_b32_e32 v52, 0xf0284cdd
	v_mov_b32_e32 v53, 0x41f43f78
	v_fmac_f64_e32 v[52:53], v[36:37], v[54:55]
	;; [unrolled: 3-line block ×4, first 2 shown]
	v_mov_b32_e32 v54, 0xd1d8cc02
	v_mov_b32_e32 v55, 0xc328a121
	s_mov_b32 s10, 0x576dfcb6
	v_fmac_f64_e32 v[54:55], v[36:37], v[52:53]
	v_mov_b32_e32 v52, 0x660b4003
	v_mov_b32_e32 v53, 0x4363a94b
	s_mov_b32 s11, 0x40904522
	v_fmac_f64_e32 v[52:53], v[36:37], v[54:55]
	v_add_f64 v[50:51], v[50:51], s[10:11]
	v_mov_b32_e32 v54, 0xa907bc0c
	v_mov_b32_e32 v55, 0x41231b76
	v_fmac_f64_e32 v[54:55], v[36:37], v[50:51]
	v_mov_b32_e32 v50, 0x5164d101
	v_mov_b32_e32 v51, 0x41b00763
	v_fmac_f64_e32 v[50:51], v[36:37], v[54:55]
	;; [unrolled: 3-line block ×7, first 2 shown]
	v_div_scale_f64 v[36:37], s[10:11], v[50:51], v[50:51], v[54:55]
	v_rcp_f64_e32 v[52:53], v[36:37]
	s_mov_b32 s10, 0x55555555
	v_frexp_exp_i32_f64_e32 v7, v[38:39]
	v_frexp_mant_f64_e32 v[38:39], v[38:39]
	v_fma_f64 v[64:65], -v[36:37], v[52:53], 1.0
	v_fmac_f64_e32 v[52:53], v[52:53], v[64:65]
	v_fma_f64 v[64:65], -v[36:37], v[52:53], 1.0
	v_fmac_f64_e32 v[52:53], v[52:53], v[64:65]
	v_div_scale_f64 v[64:65], vcc, v[54:55], v[50:51], v[54:55]
	v_mul_f64 v[66:67], v[64:65], v[52:53]
	v_fma_f64 v[36:37], -v[36:37], v[66:67], v[64:65]
	s_mov_b32 s11, 0x3fe55555
	s_nop 0
	v_div_fmas_f64 v[36:37], v[36:37], v[52:53], v[66:67]
	v_div_fixup_f64 v[36:37], v[36:37], v[50:51], v[54:55]
	v_mov_b32_e32 v50, 0x3ff00000
	v_cmp_gt_f64_e32 vcc, s[10:11], v[38:39]
	s_mov_b32 s10, 0xbf559e2b
	s_mov_b32 s11, 0x3fc3ab76
	v_cndmask_b32_e64 v51, v50, 2.0, vcc
	v_mov_b32_e32 v50, 0
	v_mul_f64 v[38:39], v[38:39], v[50:51]
	v_add_f64 v[50:51], v[38:39], 1.0
	v_rcp_f64_e32 v[52:53], v[50:51]
	v_add_f64 v[64:65], v[50:51], -1.0
	v_add_f64 v[54:55], v[38:39], -1.0
	v_add_f64 v[38:39], v[38:39], -v[64:65]
	v_fma_f64 v[64:65], -v[50:51], v[52:53], 1.0
	v_fmac_f64_e32 v[52:53], v[64:65], v[52:53]
	v_fma_f64 v[64:65], -v[50:51], v[52:53], 1.0
	v_fmac_f64_e32 v[52:53], v[64:65], v[52:53]
	v_mul_f64 v[64:65], v[54:55], v[52:53]
	v_mul_f64 v[66:67], v[50:51], v[64:65]
	v_fma_f64 v[50:51], v[64:65], v[50:51], -v[66:67]
	v_fmac_f64_e32 v[50:51], v[64:65], v[38:39]
	v_add_f64 v[38:39], v[66:67], v[50:51]
	v_add_f64 v[68:69], v[54:55], -v[38:39]
	v_add_f64 v[66:67], v[38:39], -v[66:67]
	;; [unrolled: 1-line block ×5, first 2 shown]
	v_add_f64 v[38:39], v[50:51], v[38:39]
	v_add_f64 v[38:39], v[68:69], v[38:39]
	v_mul_f64 v[38:39], v[52:53], v[38:39]
	v_add_f64 v[50:51], v[64:65], v[38:39]
	v_add_f64 v[52:53], v[50:51], -v[64:65]
	v_add_f64 v[38:39], v[38:39], -v[52:53]
	v_mul_f64 v[52:53], v[50:51], v[50:51]
	v_mov_b32_e32 v54, 0x6b47b09a
	v_mov_b32_e32 v55, 0x3fc38538
	v_fmac_f64_e32 v[54:55], s[10:11], v[52:53]
	v_mov_b32_e32 v64, 0xd7f4df2e
	v_mov_b32_e32 v65, 0x3fc7474d
	v_fmac_f64_e32 v[64:65], v[52:53], v[54:55]
	;; [unrolled: 3-line block ×6, first 2 shown]
	v_ldexp_f64 v[54:55], v[50:51], 1
	v_mul_f64 v[50:51], v[50:51], v[52:53]
	v_mul_f64 v[50:51], v[50:51], v[64:65]
	v_add_f64 v[52:53], v[54:55], v[50:51]
	v_add_f64 v[54:55], v[52:53], -v[54:55]
	v_ldexp_f64 v[38:39], v[38:39], 1
	v_add_f64 v[50:51], v[50:51], -v[54:55]
	v_add_f64 v[38:39], v[38:39], v[50:51]
	v_add_f64 v[50:51], v[52:53], v[38:39]
	v_subbrev_co_u32_e32 v7, vcc, 0, v7, vcc
	v_add_f64 v[52:53], v[50:51], -v[52:53]
	s_mov_b32 s10, 0xfefa39ef
	v_add_f64 v[38:39], v[38:39], -v[52:53]
	v_cvt_f64_i32_e32 v[52:53], v7
	s_mov_b32 s11, 0x3fe62e42
	v_mul_f64 v[54:55], v[52:53], s[10:11]
	v_fma_f64 v[64:65], v[52:53], s[10:11], -v[54:55]
	s_mov_b32 s10, 0x3b39803f
	s_mov_b32 s11, 0x3c7abc9e
	v_fmac_f64_e32 v[64:65], s[10:11], v[52:53]
	v_add_f64 v[52:53], v[54:55], v[64:65]
	v_add_f64 v[54:55], v[52:53], -v[54:55]
	v_add_f64 v[54:55], v[64:65], -v[54:55]
	v_add_f64 v[64:65], v[52:53], v[50:51]
	v_add_f64 v[66:67], v[64:65], -v[52:53]
	v_add_f64 v[68:69], v[64:65], -v[66:67]
	;; [unrolled: 1-line block ×4, first 2 shown]
	v_add_f64 v[50:51], v[50:51], v[52:53]
	v_add_f64 v[52:53], v[54:55], v[38:39]
	v_add_f64 v[66:67], v[52:53], -v[54:55]
	v_add_f64 v[68:69], v[52:53], -v[66:67]
	v_add_f64 v[50:51], v[52:53], v[50:51]
	v_add_f64 v[54:55], v[54:55], -v[68:69]
	v_add_f64 v[38:39], v[38:39], -v[66:67]
	v_add_f64 v[52:53], v[64:65], v[50:51]
	v_add_f64 v[38:39], v[38:39], v[54:55]
	v_add_f64 v[54:55], v[52:53], -v[64:65]
	v_add_f64 v[50:51], v[50:51], -v[54:55]
	v_add_f64 v[38:39], v[38:39], v[50:51]
	s_mov_b32 s10, 0x6dc9c883
	v_add_f64 v[38:39], v[52:53], v[38:39]
	s_mov_b32 s11, 0x3fe45f30
	v_mul_f64 v[38:39], v[38:39], s[10:11]
	v_fmac_f64_e32 v[36:37], v[38:39], v[48:49]
.LBB0_195:
	s_or_b64 exec, exec, s[8:9]
.LBB0_196:
	s_or_b64 exec, exec, s[6:7]
                                        ; implicit-def: $vgpr38_vgpr39
.LBB0_197:
	s_andn2_saveexec_b64 s[6:7], s[2:3]
	s_cbranch_execz .LBB0_207
; %bb.198:
	s_mov_b32 s11, 0xbfe921fb
	s_mov_b32 s10, 0x54442d18
	;; [unrolled: 1-line block ×3, first 2 shown]
	v_add_f64 v[36:37], v[38:39], s[10:11]
	s_mov_b32 s3, 0x41d00000
	v_cmp_nlt_f64_e64 s[8:9], |v[36:37]|, s[2:3]
	v_trig_preop_f64 v[68:69], |v[36:37]|, 0
	v_trig_preop_f64 v[66:67], |v[36:37]|, 1
	;; [unrolled: 1-line block ×3, first 2 shown]
                                        ; implicit-def: $vgpr7
                                        ; implicit-def: $vgpr48_vgpr49
                                        ; implicit-def: $vgpr50_vgpr51
	s_and_saveexec_b64 s[2:3], s[8:9]
	s_xor_b64 s[12:13], exec, s[2:3]
	s_cbranch_execz .LBB0_200
; %bb.199:
	s_mov_b32 s2, 0
	s_mov_b32 s3, 0x7b000000
	s_movk_i32 s11, 0xff80
	v_and_b32_e32 v7, 0x7fffffff, v37
	v_ldexp_f64 v[48:49], |v[36:37]|, s11
	v_cmp_ge_f64_e64 vcc, |v[36:37]|, s[2:3]
	s_mov_b32 s2, 0
	s_mov_b32 s3, 0x7ff00000
	v_cndmask_b32_e32 v49, v7, v49, vcc
	v_cndmask_b32_e32 v48, v36, v48, vcc
	v_mul_f64 v[52:53], v[68:69], v[48:49]
	v_mul_f64 v[50:51], v[66:67], v[48:49]
	v_fma_f64 v[54:55], v[68:69], v[48:49], -v[52:53]
	v_add_f64 v[80:81], v[50:51], v[54:55]
	v_add_f64 v[82:83], v[52:53], v[80:81]
	v_ldexp_f64 v[84:85], v[82:83], -2
	v_fract_f64_e32 v[86:87], v[84:85]
	v_cmp_neq_f64_e64 vcc, |v[84:85]|, s[2:3]
	v_add_f64 v[52:53], v[82:83], -v[52:53]
	v_add_f64 v[52:53], v[80:81], -v[52:53]
	v_cndmask_b32_e32 v85, 0, v87, vcc
	v_cndmask_b32_e32 v84, 0, v86, vcc
	v_add_f64 v[86:87], v[80:81], -v[50:51]
	v_add_f64 v[54:55], v[54:55], -v[86:87]
	;; [unrolled: 1-line block ×4, first 2 shown]
	v_add_f64 v[54:55], v[54:55], v[86:87]
	v_fma_f64 v[50:51], v[66:67], v[48:49], -v[50:51]
	v_mul_f64 v[86:87], v[64:65], v[48:49]
	v_add_f64 v[98:99], v[86:87], v[50:51]
	v_add_f64 v[100:101], v[98:99], v[54:55]
	v_add_f64 v[82:83], v[100:101], -v[98:99]
	v_add_f64 v[54:55], v[54:55], -v[82:83]
	;; [unrolled: 1-line block ×4, first 2 shown]
	v_add_f64 v[54:55], v[54:55], v[82:83]
	v_add_f64 v[82:83], v[98:99], -v[86:87]
	v_add_f64 v[50:51], v[50:51], -v[82:83]
	;; [unrolled: 1-line block ×4, first 2 shown]
	v_add_f64 v[80:81], v[52:53], v[100:101]
	v_add_f64 v[50:51], v[50:51], v[82:83]
	v_add_f64 v[52:53], v[80:81], -v[52:53]
	v_add_f64 v[50:51], v[50:51], v[54:55]
	v_fma_f64 v[48:49], v[64:65], v[48:49], -v[86:87]
	v_add_f64 v[52:53], v[100:101], -v[52:53]
	v_add_f64 v[48:49], v[48:49], v[50:51]
	v_ldexp_f64 v[50:51], v[84:85], 2
	v_add_f64 v[48:49], v[52:53], v[48:49]
	v_add_f64 v[52:53], v[80:81], v[50:51]
	v_mov_b32_e32 v7, 0x40100000
	v_cmp_gt_f64_e32 vcc, 0, v[52:53]
	v_mov_b32_e32 v96, 0
	s_mov_b32 s11, 0x3ff921fb
	v_cndmask_b32_e32 v97, 0, v7, vcc
	v_add_f64 v[50:51], v[50:51], v[96:97]
	v_add_f64 v[52:53], v[80:81], v[50:51]
	v_cvt_i32_f64_e32 v7, v[52:53]
	v_cvt_f64_i32_e32 v[52:53], v7
	v_add_f64 v[50:51], v[50:51], -v[52:53]
	v_add_f64 v[52:53], v[80:81], v[50:51]
	v_add_f64 v[50:51], v[52:53], -v[50:51]
	v_add_f64 v[50:51], v[80:81], -v[50:51]
	v_add_f64 v[48:49], v[48:49], v[50:51]
	v_cmp_le_f64_e32 vcc, 0.5, v[52:53]
	v_mov_b32_e32 v50, 0x3ff00000
	s_nop 0
	v_cndmask_b32_e32 v97, 0, v50, vcc
	v_add_f64 v[50:51], v[52:53], -v[96:97]
	v_add_f64 v[52:53], v[50:51], v[48:49]
	v_addc_co_u32_e64 v7, s[2:3], 0, v7, vcc
	v_add_f64 v[50:51], v[52:53], -v[50:51]
	v_add_f64 v[48:49], v[48:49], -v[50:51]
	v_mul_f64 v[50:51], v[52:53], s[10:11]
	s_mov_b32 s2, 0x33145c07
	v_fma_f64 v[54:55], v[52:53], s[10:11], -v[50:51]
	s_mov_b32 s3, 0x3c91a626
	v_fmac_f64_e32 v[54:55], s[2:3], v[52:53]
	v_fmac_f64_e32 v[54:55], s[10:11], v[48:49]
	v_add_f64 v[48:49], v[50:51], v[54:55]
	v_add_f64 v[50:51], v[48:49], -v[50:51]
	v_add_f64 v[50:51], v[54:55], -v[50:51]
	s_andn2_saveexec_b64 s[2:3], s[12:13]
	s_cbranch_execz .LBB0_202
	s_branch .LBB0_201
.LBB0_200:
	s_andn2_saveexec_b64 s[2:3], s[12:13]
	s_cbranch_execz .LBB0_202
.LBB0_201:
	s_mov_b32 s10, 0x6dc9c883
	s_mov_b32 s11, 0x3fe45f30
	v_mul_f64 v[48:49], |v[36:37]|, s[10:11]
	s_mov_b32 s10, 0x54442d18
	v_rndne_f64_e32 v[52:53], v[48:49]
	s_mov_b32 s11, 0xbff921fb
	v_fma_f64 v[48:49], v[52:53], s[10:11], |v[36:37]|
	s_mov_b32 s11, 0xbc91a626
	s_mov_b32 s10, 0x33145c00
	v_mul_f64 v[54:55], v[52:53], s[10:11]
	v_add_f64 v[82:83], v[48:49], v[54:55]
	v_fma_f64 v[50:51], s[10:11], v[52:53], v[48:49]
	s_mov_b32 s11, 0x3c91a626
	v_add_f64 v[48:49], v[48:49], -v[82:83]
	v_fma_f64 v[80:81], s[10:11], v[52:53], v[54:55]
	v_add_f64 v[48:49], v[48:49], v[54:55]
	v_add_f64 v[54:55], v[82:83], -v[50:51]
	v_add_f64 v[48:49], v[54:55], v[48:49]
	s_mov_b32 s10, 0x252049c0
	v_add_f64 v[54:55], v[48:49], -v[80:81]
	s_mov_b32 s11, 0xb97b839a
	v_fmac_f64_e32 v[54:55], s[10:11], v[52:53]
	v_add_f64 v[48:49], v[50:51], v[54:55]
	v_add_f64 v[50:51], v[48:49], -v[50:51]
	v_add_f64 v[50:51], v[54:55], -v[50:51]
	v_cvt_i32_f64_e32 v7, v[52:53]
.LBB0_202:
	s_or_b64 exec, exec, s[2:3]
                                        ; implicit-def: $vgpr71
                                        ; implicit-def: $vgpr52_vgpr53
                                        ; implicit-def: $vgpr54_vgpr55
	s_and_saveexec_b64 s[2:3], s[8:9]
	s_xor_b64 s[8:9], exec, s[2:3]
	s_cbranch_execz .LBB0_204
; %bb.203:
	s_mov_b32 s2, 0
	s_mov_b32 s3, 0x7b000000
	s_movk_i32 s10, 0xff80
	v_and_b32_e32 v54, 0x7fffffff, v37
	v_ldexp_f64 v[52:53], |v[36:37]|, s10
	v_cmp_ge_f64_e64 vcc, |v[36:37]|, s[2:3]
	s_mov_b32 s2, 0
	s_mov_b32 s3, 0x7ff00000
	v_cndmask_b32_e32 v53, v54, v53, vcc
	v_cndmask_b32_e32 v52, v36, v52, vcc
	v_mul_f64 v[80:81], v[68:69], v[52:53]
	v_mul_f64 v[54:55], v[66:67], v[52:53]
	v_fma_f64 v[68:69], v[68:69], v[52:53], -v[80:81]
	v_add_f64 v[82:83], v[54:55], v[68:69]
	v_add_f64 v[84:85], v[80:81], v[82:83]
	v_ldexp_f64 v[86:87], v[84:85], -2
	v_fract_f64_e32 v[96:97], v[86:87]
	v_cmp_neq_f64_e64 vcc, |v[86:87]|, s[2:3]
	v_add_f64 v[80:81], v[84:85], -v[80:81]
	v_add_f64 v[80:81], v[82:83], -v[80:81]
	v_cndmask_b32_e32 v87, 0, v97, vcc
	v_cndmask_b32_e32 v86, 0, v96, vcc
	v_add_f64 v[96:97], v[82:83], -v[54:55]
	v_add_f64 v[68:69], v[68:69], -v[96:97]
	;; [unrolled: 1-line block ×4, first 2 shown]
	v_fma_f64 v[54:55], v[66:67], v[52:53], -v[54:55]
	v_mul_f64 v[66:67], v[64:65], v[52:53]
	v_add_f64 v[68:69], v[68:69], v[96:97]
	v_add_f64 v[96:97], v[66:67], v[54:55]
	;; [unrolled: 1-line block ×3, first 2 shown]
	v_add_f64 v[84:85], v[100:101], -v[96:97]
	v_add_f64 v[68:69], v[68:69], -v[84:85]
	;; [unrolled: 1-line block ×4, first 2 shown]
	v_add_f64 v[68:69], v[68:69], v[84:85]
	v_add_f64 v[84:85], v[96:97], -v[66:67]
	v_add_f64 v[54:55], v[54:55], -v[84:85]
	;; [unrolled: 1-line block ×4, first 2 shown]
	v_add_f64 v[54:55], v[54:55], v[84:85]
	v_add_f64 v[54:55], v[54:55], v[68:69]
	v_fma_f64 v[52:53], v[64:65], v[52:53], -v[66:67]
	v_add_f64 v[82:83], v[80:81], v[100:101]
	v_add_f64 v[52:53], v[52:53], v[54:55]
	v_ldexp_f64 v[54:55], v[86:87], 2
	v_add_f64 v[64:65], v[82:83], v[54:55]
	v_mov_b32_e32 v66, 0x40100000
	v_cmp_gt_f64_e32 vcc, 0, v[64:65]
	v_mov_b32_e32 v98, 0
	v_add_f64 v[80:81], v[82:83], -v[80:81]
	v_cndmask_b32_e32 v99, 0, v66, vcc
	v_add_f64 v[54:55], v[54:55], v[98:99]
	v_add_f64 v[64:65], v[82:83], v[54:55]
	v_cvt_i32_f64_e32 v66, v[64:65]
	v_cvt_f64_i32_e32 v[64:65], v66
	v_add_f64 v[54:55], v[54:55], -v[64:65]
	v_add_f64 v[64:65], v[82:83], v[54:55]
	v_add_f64 v[80:81], v[100:101], -v[80:81]
	v_add_f64 v[54:55], v[64:65], -v[54:55]
	v_add_f64 v[52:53], v[80:81], v[52:53]
	v_add_f64 v[54:55], v[82:83], -v[54:55]
	v_add_f64 v[52:53], v[52:53], v[54:55]
	v_cmp_le_f64_e32 vcc, 0.5, v[64:65]
	v_mov_b32_e32 v54, 0x3ff00000
	s_mov_b32 s10, 0x33145c07
	v_cndmask_b32_e32 v99, 0, v54, vcc
	v_addc_co_u32_e64 v71, s[2:3], 0, v66, vcc
	v_add_f64 v[54:55], v[64:65], -v[98:99]
	v_add_f64 v[64:65], v[54:55], v[52:53]
	s_mov_b32 s2, 0x54442d18
	v_add_f64 v[54:55], v[64:65], -v[54:55]
	s_mov_b32 s3, 0x3ff921fb
	v_add_f64 v[52:53], v[52:53], -v[54:55]
	v_mul_f64 v[54:55], v[64:65], s[2:3]
	v_fma_f64 v[66:67], v[64:65], s[2:3], -v[54:55]
	s_mov_b32 s11, 0x3c91a626
	v_fmac_f64_e32 v[66:67], s[10:11], v[64:65]
	v_fmac_f64_e32 v[66:67], s[2:3], v[52:53]
	v_add_f64 v[52:53], v[54:55], v[66:67]
	v_add_f64 v[54:55], v[52:53], -v[54:55]
	v_add_f64 v[54:55], v[66:67], -v[54:55]
	s_andn2_saveexec_b64 s[2:3], s[8:9]
	s_cbranch_execnz .LBB0_205
	s_branch .LBB0_206
.LBB0_204:
	s_andn2_saveexec_b64 s[2:3], s[8:9]
	s_cbranch_execz .LBB0_206
.LBB0_205:
	s_mov_b32 s8, 0x6dc9c883
	s_mov_b32 s9, 0x3fe45f30
	v_mul_f64 v[52:53], |v[36:37]|, s[8:9]
	s_mov_b32 s8, 0x54442d18
	v_rndne_f64_e32 v[64:65], v[52:53]
	s_mov_b32 s9, 0xbff921fb
	v_fma_f64 v[52:53], v[64:65], s[8:9], |v[36:37]|
	s_mov_b32 s9, 0xbc91a626
	s_mov_b32 s8, 0x33145c00
	v_mul_f64 v[66:67], v[64:65], s[8:9]
	v_add_f64 v[80:81], v[52:53], v[66:67]
	v_fma_f64 v[54:55], s[8:9], v[64:65], v[52:53]
	s_mov_b32 s9, 0x3c91a626
	v_add_f64 v[52:53], v[52:53], -v[80:81]
	v_fma_f64 v[68:69], s[8:9], v[64:65], v[66:67]
	v_add_f64 v[52:53], v[52:53], v[66:67]
	v_add_f64 v[66:67], v[80:81], -v[54:55]
	v_add_f64 v[52:53], v[66:67], v[52:53]
	s_mov_b32 s8, 0x252049c0
	v_add_f64 v[66:67], v[52:53], -v[68:69]
	s_mov_b32 s9, 0xb97b839a
	v_fmac_f64_e32 v[66:67], s[8:9], v[64:65]
	v_add_f64 v[52:53], v[54:55], v[66:67]
	v_add_f64 v[54:55], v[52:53], -v[54:55]
	v_add_f64 v[54:55], v[66:67], -v[54:55]
	v_cvt_i32_f64_e32 v71, v[64:65]
.LBB0_206:
	s_or_b64 exec, exec, s[2:3]
	s_mov_b32 s2, 0
	v_mul_f64 v[64:65], v[38:39], v[38:39]
	s_mov_b32 s3, 0x40390000
	v_div_scale_f64 v[66:67], s[8:9], v[64:65], v[64:65], s[2:3]
	v_rcp_f64_e32 v[68:69], v[66:67]
	v_mov_b32_e32 v84, 0xb1759c7f
	v_mov_b32_e32 v85, 0x408ac370
	;; [unrolled: 1-line block ×3, first 2 shown]
	v_fma_f64 v[80:81], -v[66:67], v[68:69], 1.0
	v_fmac_f64_e32 v[68:69], v[68:69], v[80:81]
	v_fma_f64 v[80:81], -v[66:67], v[68:69], 1.0
	v_fmac_f64_e32 v[68:69], v[68:69], v[80:81]
	v_div_scale_f64 v[80:81], vcc, s[2:3], v[64:65], s[2:3]
	v_mul_f64 v[82:83], v[80:81], v[68:69]
	v_fma_f64 v[66:67], -v[66:67], v[82:83], v[80:81]
	v_mov_b32_e32 v80, 0xab5454e3
	s_nop 0
	v_div_fmas_f64 v[66:67], v[66:67], v[68:69], v[82:83]
	v_div_fixup_f64 v[64:65], v[66:67], v[64:65], s[2:3]
	v_mov_b32_e32 v66, 0x983b6b27
	v_mov_b32_e32 v67, 0x3f4a1d30
	v_fmac_f64_e32 v[66:67], 0, v[64:65]
	v_mov_b32_e32 v68, 0xb35dd1cf
	v_mov_b32_e32 v69, 0x3fb534b0
	v_fmac_f64_e32 v[68:69], v[64:65], v[66:67]
	;; [unrolled: 3-line block ×7, first 2 shown]
	v_mov_b32_e32 v81, 0x3fb5ebc5
	v_fmac_f64_e32 v[80:81], v[64:65], v[66:67]
	v_mov_b32_e32 v66, 0xc9b3069f
	v_mov_b32_e32 v67, 0x3ff40e72
	v_fmac_f64_e32 v[66:67], v[64:65], v[80:81]
	v_mov_b32_e32 v80, 0xe68162bb
	;; [unrolled: 3-line block ×4, first 2 shown]
	v_mov_b32_e32 v81, 0x40153965
	v_fmac_f64_e32 v[80:81], v[64:65], v[66:67]
	v_fma_f64 v[66:67], v[64:65], v[80:81], 1.0
	v_mov_b32_e32 v80, 0x38a5384a
	v_mov_b32_e32 v81, 0xbf874742
	v_fmac_f64_e32 v[80:81], 0, v[64:65]
	v_mov_b32_e32 v82, 0x3a321174
	v_mov_b32_e32 v83, 0xbff4853b
	v_fmac_f64_e32 v[82:83], v[64:65], v[80:81]
	;; [unrolled: 3-line block ×9, first 2 shown]
	v_fmac_f64_e32 v[84:85], v[64:65], v[80:81]
	v_mov_b32_e32 v80, 0xbd748cb5
	v_mov_b32_e32 v81, 0x40ae54cd
	v_fmac_f64_e32 v[80:81], v[64:65], v[84:85]
	v_mov_b32_e32 v84, 0xbdefd63e
	v_mov_b32_e32 v85, 0x40bc4877
	;; [unrolled: 3-line block ×4, first 2 shown]
	v_fma_f64 v[68:69], v[64:65], v[68:69], 1.0
	v_fmac_f64_e32 v[84:85], v[64:65], v[80:81]
	v_div_scale_f64 v[80:81], s[2:3], v[66:67], v[66:67], v[68:69]
	v_rcp_f64_e32 v[86:87], v[80:81]
	v_mov_b32_e32 v97, 0x406e402f
	v_fmac_f64_e32 v[96:97], v[64:65], v[84:85]
	s_mov_b32 s2, 0x9037ab78
	v_fma_f64 v[64:65], -v[80:81], v[86:87], 1.0
	v_fmac_f64_e32 v[86:87], v[86:87], v[64:65]
	v_fma_f64 v[64:65], -v[80:81], v[86:87], 1.0
	v_fmac_f64_e32 v[86:87], v[86:87], v[64:65]
	v_div_scale_f64 v[64:65], vcc, v[68:69], v[66:67], v[68:69]
	v_mul_f64 v[84:85], v[64:65], v[86:87]
	v_fma_f64 v[64:65], -v[80:81], v[84:85], v[64:65]
	s_mov_b32 s3, 0x3e21eeb6
	s_nop 0
	v_div_fmas_f64 v[64:65], v[64:65], v[86:87], v[84:85]
	s_mov_b32 s8, 0x46cc5e42
	v_div_fixup_f64 v[64:65], v[64:65], v[66:67], v[68:69]
	v_mul_f64 v[66:67], v[48:49], v[48:49]
	s_mov_b32 s9, 0xbda907db
	v_mov_b64_e32 v[86:87], s[2:3]
	s_mov_b32 s10, 0xa17f65f6
	v_mul_f64 v[68:69], v[66:67], 0.5
	v_fma_f64 v[98:99], s[8:9], v[66:67], v[86:87]
	s_mov_b32 s11, 0xbe927e4f
	s_mov_b32 s12, 0x19f4ec90
	v_add_f64 v[80:81], -v[68:69], 1.0
	v_fma_f64 v[98:99], v[66:67], v[98:99], s[10:11]
	s_mov_b32 s13, 0x3efa01a0
	s_mov_b32 s14, 0x16c16967
	v_add_f64 v[84:85], -v[80:81], 1.0
	v_fma_f64 v[98:99], v[66:67], v[98:99], s[12:13]
	s_mov_b32 s15, 0xbf56c16c
	s_mov_b32 s16, 0x55555555
	v_add_f64 v[68:69], v[84:85], -v[68:69]
	v_fma_f64 v[98:99], v[66:67], v[98:99], s[14:15]
	s_mov_b32 s17, 0x3fa55555
	v_mul_f64 v[84:85], v[66:67], v[66:67]
	v_fma_f64 v[98:99], v[66:67], v[98:99], s[16:17]
	v_fma_f64 v[68:69], v[48:49], -v[50:51], v[68:69]
	s_mov_b32 s2, 0xb42fdfa7
	v_fmac_f64_e32 v[68:69], v[84:85], v[98:99]
	s_mov_b32 s3, 0xbe5ae600
	s_mov_b32 s18, 0xf9a43bb8
	v_add_f64 v[68:69], v[80:81], v[68:69]
	s_mov_b32 s19, 0x3de5e0b2
	v_mov_b64_e32 v[80:81], s[2:3]
	s_mov_b32 s22, 0x796cde01
	v_fma_f64 v[84:85], s[18:19], v[66:67], v[80:81]
	s_mov_b32 s23, 0x3ec71de3
	s_mov_b32 s24, 0x19e83e5c
	v_fma_f64 v[84:85], v[66:67], v[84:85], s[22:23]
	s_mov_b32 s25, 0xbf2a01a0
	;; [unrolled: 3-line block ×3, first 2 shown]
	v_fma_f64 v[84:85], v[66:67], v[84:85], s[26:27]
	v_mul_f64 v[98:99], v[48:49], -v[66:67]
	v_mul_f64 v[100:101], v[50:51], 0.5
	v_fmac_f64_e32 v[100:101], v[98:99], v[84:85]
	v_fma_f64 v[50:51], v[66:67], v[100:101], -v[50:51]
	s_mov_b32 s29, 0xbfc55555
	s_mov_b32 s28, s16
	v_fmac_f64_e32 v[50:51], s[28:29], v[98:99]
	v_add_f64 v[48:49], v[48:49], -v[50:51]
	v_and_b32_e32 v50, 1, v7
	v_lshlrev_b32_e32 v7, 30, v7
	v_cmp_eq_u32_e32 vcc, 0, v50
	v_xor_b32_e32 v7, v7, v37
	s_mov_b32 s30, 0
	v_cndmask_b32_e32 v66, v68, v48, vcc
	v_cndmask_b32_e32 v48, v69, v49, vcc
	v_and_b32_e32 v7, 0x80000000, v7
	s_mov_b32 s31, 0x40140000
	v_xor_b32_e32 v7, v48, v7
	v_div_scale_f64 v[48:49], s[2:3], v[38:39], v[38:39], s[30:31]
	v_rcp_f64_e32 v[50:51], v[48:49]
	s_movk_i32 s21, 0x1f8
	v_cmp_class_f64_e64 s[2:3], v[36:37], s21
	v_mov_b32_e32 v98, 0x7ff80000
	s_nop 0
	v_cndmask_b32_e64 v36, 0, v66, s[2:3]
	v_fma_f64 v[66:67], -v[48:49], v[50:51], 1.0
	v_fmac_f64_e32 v[50:51], v[50:51], v[66:67]
	v_fma_f64 v[66:67], -v[48:49], v[50:51], 1.0
	v_fmac_f64_e32 v[50:51], v[50:51], v[66:67]
	v_div_scale_f64 v[66:67], vcc, s[30:31], v[38:39], s[30:31]
	v_mul_f64 v[68:69], v[66:67], v[50:51]
	v_fma_f64 v[48:49], -v[48:49], v[68:69], v[66:67]
	v_div_scale_f64 v[66:67], s[34:35], v[96:97], v[96:97], v[82:83]
	v_rcp_f64_e32 v[84:85], v[66:67]
	v_div_fmas_f64 v[48:49], v[48:49], v[50:51], v[68:69]
	v_div_fixup_f64 v[48:49], v[48:49], v[38:39], s[30:31]
	v_cndmask_b32_e64 v37, v98, v7, s[2:3]
	v_fma_f64 v[50:51], -v[66:67], v[84:85], 1.0
	v_fmac_f64_e32 v[84:85], v[84:85], v[50:51]
	v_fma_f64 v[50:51], -v[66:67], v[84:85], 1.0
	v_fmac_f64_e32 v[84:85], v[84:85], v[50:51]
	v_div_scale_f64 v[50:51], vcc, v[82:83], v[96:97], v[82:83]
	v_mul_f64 v[68:69], v[50:51], v[84:85]
	v_fma_f64 v[50:51], -v[66:67], v[68:69], v[50:51]
	s_nop 1
	v_div_fmas_f64 v[50:51], v[50:51], v[84:85], v[68:69]
	v_div_fixup_f64 v[50:51], v[50:51], v[96:97], v[82:83]
	v_mul_f64 v[48:49], v[48:49], v[50:51]
	v_mul_f64 v[50:51], v[52:53], v[52:53]
	v_mul_f64 v[66:67], v[50:51], 0.5
	v_fmac_f64_e32 v[86:87], s[8:9], v[50:51]
	v_add_f64 v[68:69], -v[66:67], 1.0
	v_fma_f64 v[84:85], v[50:51], v[86:87], s[10:11]
	v_add_f64 v[82:83], -v[68:69], 1.0
	v_fma_f64 v[84:85], v[50:51], v[84:85], s[12:13]
	v_add_f64 v[66:67], v[82:83], -v[66:67]
	v_fma_f64 v[84:85], v[50:51], v[84:85], s[14:15]
	v_mul_f64 v[82:83], v[50:51], v[50:51]
	v_fma_f64 v[84:85], v[50:51], v[84:85], s[16:17]
	v_fma_f64 v[66:67], v[52:53], -v[54:55], v[66:67]
	v_fmac_f64_e32 v[66:67], v[82:83], v[84:85]
	v_fmac_f64_e32 v[80:81], s[18:19], v[50:51]
	v_add_f64 v[66:67], v[68:69], v[66:67]
	v_fma_f64 v[68:69], v[50:51], v[80:81], s[22:23]
	v_fma_f64 v[68:69], v[50:51], v[68:69], s[24:25]
	;; [unrolled: 1-line block ×3, first 2 shown]
	v_mul_f64 v[80:81], v[52:53], -v[50:51]
	v_mul_f64 v[82:83], v[54:55], 0.5
	v_fmac_f64_e32 v[82:83], v[80:81], v[68:69]
	v_fma_f64 v[50:51], v[50:51], v[82:83], -v[54:55]
	v_fmac_f64_e32 v[50:51], s[28:29], v[80:81]
	v_add_f64 v[50:51], v[52:53], -v[50:51]
	v_xor_b32_e32 v7, 0x80000000, v51
	v_and_b32_e32 v51, 1, v71
	v_cmp_eq_u32_e32 vcc, 0, v51
	v_lshlrev_b32_e32 v51, 30, v71
	v_and_b32_e32 v51, 0x80000000, v51
	v_cndmask_b32_e32 v7, v7, v67, vcc
	v_cndmask_b32_e32 v50, v50, v66, vcc
	v_xor_b32_e32 v7, v7, v51
	v_cndmask_b32_e64 v50, 0, v50, s[2:3]
	v_cndmask_b32_e64 v51, v98, v7, s[2:3]
	s_mov_b32 s2, 0
	s_brev_b32 s3, 8
	v_cmp_gt_f64_e32 vcc, s[2:3], v[38:39]
	v_mul_f64 v[48:49], v[48:49], v[50:51]
	v_fmac_f64_e32 v[48:49], v[64:65], v[36:37]
	v_cndmask_b32_e64 v7, 0, 1, vcc
	v_lshlrev_b32_e32 v7, 8, v7
	v_ldexp_f64 v[36:37], v[38:39], v7
	v_rsq_f64_e32 v[38:39], v[36:37]
	v_mov_b32_e32 v7, 0xffffff80
	v_cndmask_b32_e32 v7, 0, v7, vcc
	s_mov_b32 s2, 0x33d43651
	v_mul_f64 v[50:51], v[36:37], v[38:39]
	v_mul_f64 v[38:39], v[38:39], 0.5
	v_fma_f64 v[52:53], -v[38:39], v[50:51], 0.5
	v_fmac_f64_e32 v[50:51], v[50:51], v[52:53]
	v_fma_f64 v[54:55], -v[50:51], v[50:51], v[36:37]
	v_fmac_f64_e32 v[38:39], v[38:39], v[52:53]
	v_fmac_f64_e32 v[50:51], v[54:55], v[38:39]
	v_fma_f64 v[52:53], -v[50:51], v[50:51], v[36:37]
	v_fmac_f64_e32 v[50:51], v[52:53], v[38:39]
	v_ldexp_f64 v[38:39], v[50:51], v7
	v_mov_b32_e32 v7, 0x260
	s_mov_b32 s3, 0x3fe98845
	v_cmp_class_f64_e32 vcc, v[36:37], v7
	v_mul_f64 v[48:49], v[48:49], s[2:3]
	s_nop 0
	v_cndmask_b32_e32 v37, v39, v37, vcc
	v_cndmask_b32_e32 v36, v38, v36, vcc
	v_div_scale_f64 v[38:39], s[2:3], v[36:37], v[36:37], v[48:49]
	v_rcp_f64_e32 v[50:51], v[38:39]
	s_nop 0
	v_fma_f64 v[52:53], -v[38:39], v[50:51], 1.0
	v_fmac_f64_e32 v[50:51], v[50:51], v[52:53]
	v_fma_f64 v[52:53], -v[38:39], v[50:51], 1.0
	v_fmac_f64_e32 v[50:51], v[50:51], v[52:53]
	v_div_scale_f64 v[52:53], vcc, v[48:49], v[36:37], v[48:49]
	v_mul_f64 v[54:55], v[52:53], v[50:51]
	v_fma_f64 v[38:39], -v[38:39], v[54:55], v[52:53]
	s_nop 1
	v_div_fmas_f64 v[38:39], v[38:39], v[50:51], v[54:55]
	v_div_fixup_f64 v[36:37], v[38:39], v[36:37], v[48:49]
.LBB0_207:
	s_or_b64 exec, exec, s[6:7]
.LBB0_208:
	s_or_b64 exec, exec, s[4:5]
	v_or_b32_e32 v7, 0x800, v5
	v_cmp_lt_i32_e32 vcc, v7, v4
                                        ; implicit-def: $vgpr38_vgpr39
	s_and_saveexec_b64 s[4:5], vcc
	s_cbranch_execz .LBB0_230
; %bb.209:
	s_mov_b32 s2, 0
	s_mov_b32 s3, 0x40140000
	s_waitcnt vmcnt(0) lgkmcnt(0)
	v_cmp_ge_f64_e32 vcc, s[2:3], v[34:35]
                                        ; implicit-def: $vgpr38_vgpr39
	s_and_saveexec_b64 s[2:3], vcc
	s_xor_b64 s[2:3], exec, s[2:3]
	s_cbranch_execz .LBB0_219
; %bb.210:
	v_mov_b32_e32 v38, 0
	v_cmp_neq_f64_e32 vcc, 0, v[34:35]
	v_mov_b32_e32 v39, 0xfff00000
	s_and_saveexec_b64 s[6:7], vcc
	s_cbranch_execz .LBB0_218
; %bb.211:
	v_mov_b32_e32 v38, 0
	v_cmp_ngt_f64_e32 vcc, 0, v[34:35]
	v_mov_b32_e32 v39, 0x7ff80000
	s_and_saveexec_b64 s[8:9], vcc
	s_cbranch_execz .LBB0_217
; %bb.212:
	s_mov_b32 s10, 0x88e368f1
	v_mul_f64 v[38:39], v[34:35], v[34:35]
	s_mov_b32 s11, 0x3ee4f8b5
	v_mul_f64 v[50:51], v[38:39], 0
	v_cmp_ngt_f64_e32 vcc, s[10:11], v[34:35]
                                        ; implicit-def: $vgpr48_vgpr49
	s_and_saveexec_b64 s[10:11], vcc
	s_xor_b64 s[10:11], exec, s[10:11]
	s_cbranch_execz .LBB0_214
; %bb.213:
	s_mov_b32 s12, 0xad1c8325
	s_mov_b32 s13, 0xc1f1dc53
	v_add_f64 v[48:49], v[50:51], s[12:13]
	v_mov_b32_e32 v52, 0xc772990d
	v_mov_b32_e32 v53, 0x427c7751
	s_mov_b32 s12, 0xa696b78c
	v_fmac_f64_e32 v[52:53], v[38:39], v[48:49]
	v_mov_b32_e32 v48, 0xe0d900f7
	v_mov_b32_e32 v49, 0xc2ec5614
	s_mov_b32 s13, 0x407f3902
	v_fmac_f64_e32 v[48:49], v[38:39], v[52:53]
	v_add_f64 v[52:53], v[50:51], s[12:13]
	v_mov_b32_e32 v54, 0x36a21a67
	v_mov_b32_e32 v55, 0x410536cb
	v_fmac_f64_e32 v[54:55], v[38:39], v[52:53]
	v_mov_b32_e32 v52, 0x2eac0634
	v_mov_b32_e32 v53, 0x41871934
	v_fmac_f64_e32 v[52:53], v[38:39], v[54:55]
	;; [unrolled: 3-line block ×6, first 2 shown]
	v_mov_b32_e32 v54, 0xc7b662cc
	v_mov_b32_e32 v55, 0x43b7be34
	s_mov_b32 s12, 0x80462bbb
	v_fmac_f64_e32 v[54:55], v[38:39], v[52:53]
	v_mov_b32_e32 v52, 0x69ff5fb4
	v_mov_b32_e32 v53, 0x43413ef8
	s_mov_b32 s13, 0xc01721fb
	v_fmac_f64_e32 v[52:53], v[38:39], v[48:49]
	v_add_f64 v[48:49], v[38:39], s[12:13]
	s_mov_b32 s12, 0xa621dd6f
	s_mov_b32 s13, 0xc03e78a4
	v_add_f64 v[64:65], v[38:39], s[12:13]
	v_mul_f64 v[48:49], v[48:49], v[64:65]
	v_mul_f64 v[48:49], v[48:49], v[52:53]
	v_div_scale_f64 v[52:53], s[12:13], v[54:55], v[54:55], v[48:49]
	v_rcp_f64_e32 v[64:65], v[52:53]
	s_nop 0
	v_fma_f64 v[66:67], -v[52:53], v[64:65], 1.0
	v_fmac_f64_e32 v[64:65], v[64:65], v[66:67]
	v_fma_f64 v[66:67], -v[52:53], v[64:65], 1.0
	v_fmac_f64_e32 v[64:65], v[64:65], v[66:67]
	v_div_scale_f64 v[66:67], vcc, v[48:49], v[54:55], v[48:49]
	v_mul_f64 v[68:69], v[66:67], v[64:65]
	v_fma_f64 v[52:53], -v[52:53], v[68:69], v[66:67]
	s_nop 1
	v_div_fmas_f64 v[52:53], v[52:53], v[64:65], v[68:69]
	v_div_fixup_f64 v[48:49], v[52:53], v[54:55], v[48:49]
.LBB0_214:
	s_andn2_saveexec_b64 s[10:11], s[10:11]
; %bb.215:
	s_mov_b32 s12, 0
	s_mov_b32 s13, 0xbfd00000
	v_fma_f64 v[48:49], v[38:39], s[12:13], 1.0
; %bb.216:
	s_or_b64 exec, exec, s[10:11]
	s_mov_b32 s10, 0xe896898f
	s_mov_b32 s11, 0x40ce7437
	v_add_f64 v[52:53], v[50:51], s[10:11]
	v_mov_b32_e32 v54, 0x32e48896
	v_mov_b32_e32 v55, 0xc16bf81f
	v_fmac_f64_e32 v[54:55], v[38:39], v[52:53]
	v_mov_b32_e32 v52, 0xf0284cdd
	v_mov_b32_e32 v53, 0x41f43f78
	v_fmac_f64_e32 v[52:53], v[38:39], v[54:55]
	;; [unrolled: 3-line block ×4, first 2 shown]
	v_mov_b32_e32 v54, 0xd1d8cc02
	v_mov_b32_e32 v55, 0xc328a121
	s_mov_b32 s10, 0x576dfcb6
	v_fmac_f64_e32 v[54:55], v[38:39], v[52:53]
	v_mov_b32_e32 v52, 0x660b4003
	v_mov_b32_e32 v53, 0x4363a94b
	s_mov_b32 s11, 0x40904522
	v_fmac_f64_e32 v[52:53], v[38:39], v[54:55]
	v_add_f64 v[50:51], v[50:51], s[10:11]
	v_mov_b32_e32 v54, 0xa907bc0c
	v_mov_b32_e32 v55, 0x41231b76
	v_fmac_f64_e32 v[54:55], v[38:39], v[50:51]
	v_mov_b32_e32 v50, 0x5164d101
	v_mov_b32_e32 v51, 0x41b00763
	v_fmac_f64_e32 v[50:51], v[38:39], v[54:55]
	;; [unrolled: 3-line block ×7, first 2 shown]
	v_div_scale_f64 v[38:39], s[10:11], v[50:51], v[50:51], v[54:55]
	v_rcp_f64_e32 v[52:53], v[38:39]
	s_mov_b32 s10, 0x55555555
	v_frexp_exp_i32_f64_e32 v7, v[34:35]
	v_frexp_mant_f64_e32 v[34:35], v[34:35]
	v_fma_f64 v[64:65], -v[38:39], v[52:53], 1.0
	v_fmac_f64_e32 v[52:53], v[52:53], v[64:65]
	v_fma_f64 v[64:65], -v[38:39], v[52:53], 1.0
	v_fmac_f64_e32 v[52:53], v[52:53], v[64:65]
	v_div_scale_f64 v[64:65], vcc, v[54:55], v[50:51], v[54:55]
	v_mul_f64 v[66:67], v[64:65], v[52:53]
	v_fma_f64 v[38:39], -v[38:39], v[66:67], v[64:65]
	s_mov_b32 s11, 0x3fe55555
	s_nop 0
	v_div_fmas_f64 v[38:39], v[38:39], v[52:53], v[66:67]
	v_div_fixup_f64 v[38:39], v[38:39], v[50:51], v[54:55]
	v_mov_b32_e32 v50, 0x3ff00000
	v_cmp_gt_f64_e32 vcc, s[10:11], v[34:35]
	s_mov_b32 s10, 0xbf559e2b
	s_mov_b32 s11, 0x3fc3ab76
	v_cndmask_b32_e64 v51, v50, 2.0, vcc
	v_mov_b32_e32 v50, 0
	v_mul_f64 v[34:35], v[34:35], v[50:51]
	v_add_f64 v[50:51], v[34:35], 1.0
	v_rcp_f64_e32 v[52:53], v[50:51]
	v_add_f64 v[64:65], v[50:51], -1.0
	v_add_f64 v[54:55], v[34:35], -1.0
	v_add_f64 v[34:35], v[34:35], -v[64:65]
	v_fma_f64 v[64:65], -v[50:51], v[52:53], 1.0
	v_fmac_f64_e32 v[52:53], v[64:65], v[52:53]
	v_fma_f64 v[64:65], -v[50:51], v[52:53], 1.0
	v_fmac_f64_e32 v[52:53], v[64:65], v[52:53]
	v_mul_f64 v[64:65], v[54:55], v[52:53]
	v_mul_f64 v[66:67], v[50:51], v[64:65]
	v_fma_f64 v[50:51], v[64:65], v[50:51], -v[66:67]
	v_fmac_f64_e32 v[50:51], v[64:65], v[34:35]
	v_add_f64 v[34:35], v[66:67], v[50:51]
	v_add_f64 v[68:69], v[54:55], -v[34:35]
	v_add_f64 v[66:67], v[34:35], -v[66:67]
	;; [unrolled: 1-line block ×5, first 2 shown]
	v_add_f64 v[34:35], v[50:51], v[34:35]
	v_add_f64 v[34:35], v[68:69], v[34:35]
	v_mul_f64 v[34:35], v[52:53], v[34:35]
	v_add_f64 v[50:51], v[64:65], v[34:35]
	v_add_f64 v[52:53], v[50:51], -v[64:65]
	v_add_f64 v[34:35], v[34:35], -v[52:53]
	v_mul_f64 v[52:53], v[50:51], v[50:51]
	v_mov_b32_e32 v54, 0x6b47b09a
	v_mov_b32_e32 v55, 0x3fc38538
	v_fmac_f64_e32 v[54:55], s[10:11], v[52:53]
	v_mov_b32_e32 v64, 0xd7f4df2e
	v_mov_b32_e32 v65, 0x3fc7474d
	v_fmac_f64_e32 v[64:65], v[52:53], v[54:55]
	;; [unrolled: 3-line block ×6, first 2 shown]
	v_ldexp_f64 v[54:55], v[50:51], 1
	v_mul_f64 v[50:51], v[50:51], v[52:53]
	v_mul_f64 v[50:51], v[50:51], v[64:65]
	v_add_f64 v[52:53], v[54:55], v[50:51]
	v_add_f64 v[54:55], v[52:53], -v[54:55]
	v_ldexp_f64 v[34:35], v[34:35], 1
	v_add_f64 v[50:51], v[50:51], -v[54:55]
	v_add_f64 v[34:35], v[34:35], v[50:51]
	v_add_f64 v[50:51], v[52:53], v[34:35]
	v_subbrev_co_u32_e32 v7, vcc, 0, v7, vcc
	v_add_f64 v[52:53], v[50:51], -v[52:53]
	s_mov_b32 s10, 0xfefa39ef
	v_add_f64 v[34:35], v[34:35], -v[52:53]
	v_cvt_f64_i32_e32 v[52:53], v7
	s_mov_b32 s11, 0x3fe62e42
	v_mul_f64 v[54:55], v[52:53], s[10:11]
	v_fma_f64 v[64:65], v[52:53], s[10:11], -v[54:55]
	s_mov_b32 s10, 0x3b39803f
	s_mov_b32 s11, 0x3c7abc9e
	v_fmac_f64_e32 v[64:65], s[10:11], v[52:53]
	v_add_f64 v[52:53], v[54:55], v[64:65]
	v_add_f64 v[54:55], v[52:53], -v[54:55]
	v_add_f64 v[54:55], v[64:65], -v[54:55]
	v_add_f64 v[64:65], v[52:53], v[50:51]
	v_add_f64 v[66:67], v[64:65], -v[52:53]
	v_add_f64 v[68:69], v[64:65], -v[66:67]
	;; [unrolled: 1-line block ×4, first 2 shown]
	v_add_f64 v[50:51], v[50:51], v[52:53]
	v_add_f64 v[52:53], v[54:55], v[34:35]
	v_add_f64 v[66:67], v[52:53], -v[54:55]
	v_add_f64 v[68:69], v[52:53], -v[66:67]
	v_add_f64 v[50:51], v[52:53], v[50:51]
	v_add_f64 v[54:55], v[54:55], -v[68:69]
	v_add_f64 v[34:35], v[34:35], -v[66:67]
	v_add_f64 v[52:53], v[64:65], v[50:51]
	v_add_f64 v[34:35], v[34:35], v[54:55]
	v_add_f64 v[54:55], v[52:53], -v[64:65]
	v_add_f64 v[50:51], v[50:51], -v[54:55]
	v_add_f64 v[34:35], v[34:35], v[50:51]
	s_mov_b32 s10, 0x6dc9c883
	v_add_f64 v[34:35], v[52:53], v[34:35]
	s_mov_b32 s11, 0x3fe45f30
	v_mul_f64 v[34:35], v[34:35], s[10:11]
	v_fmac_f64_e32 v[38:39], v[34:35], v[48:49]
.LBB0_217:
	s_or_b64 exec, exec, s[8:9]
.LBB0_218:
	s_or_b64 exec, exec, s[6:7]
                                        ; implicit-def: $vgpr34_vgpr35
.LBB0_219:
	s_andn2_saveexec_b64 s[6:7], s[2:3]
	s_cbranch_execz .LBB0_229
; %bb.220:
	s_mov_b32 s11, 0xbfe921fb
	s_mov_b32 s10, 0x54442d18
	;; [unrolled: 1-line block ×3, first 2 shown]
	v_add_f64 v[38:39], v[34:35], s[10:11]
	s_mov_b32 s3, 0x41d00000
	v_cmp_nlt_f64_e64 s[8:9], |v[38:39]|, s[2:3]
	v_trig_preop_f64 v[68:69], |v[38:39]|, 0
	v_trig_preop_f64 v[66:67], |v[38:39]|, 1
	;; [unrolled: 1-line block ×3, first 2 shown]
                                        ; implicit-def: $vgpr7
                                        ; implicit-def: $vgpr48_vgpr49
                                        ; implicit-def: $vgpr50_vgpr51
	s_and_saveexec_b64 s[2:3], s[8:9]
	s_xor_b64 s[12:13], exec, s[2:3]
	s_cbranch_execz .LBB0_222
; %bb.221:
	s_mov_b32 s2, 0
	s_mov_b32 s3, 0x7b000000
	s_movk_i32 s11, 0xff80
	v_and_b32_e32 v7, 0x7fffffff, v39
	v_ldexp_f64 v[48:49], |v[38:39]|, s11
	v_cmp_ge_f64_e64 vcc, |v[38:39]|, s[2:3]
	s_mov_b32 s2, 0
	s_mov_b32 s3, 0x7ff00000
	v_cndmask_b32_e32 v49, v7, v49, vcc
	v_cndmask_b32_e32 v48, v38, v48, vcc
	v_mul_f64 v[52:53], v[68:69], v[48:49]
	v_mul_f64 v[50:51], v[66:67], v[48:49]
	v_fma_f64 v[54:55], v[68:69], v[48:49], -v[52:53]
	v_add_f64 v[80:81], v[50:51], v[54:55]
	v_add_f64 v[82:83], v[52:53], v[80:81]
	v_ldexp_f64 v[84:85], v[82:83], -2
	v_fract_f64_e32 v[86:87], v[84:85]
	v_cmp_neq_f64_e64 vcc, |v[84:85]|, s[2:3]
	v_add_f64 v[52:53], v[82:83], -v[52:53]
	v_add_f64 v[52:53], v[80:81], -v[52:53]
	v_cndmask_b32_e32 v85, 0, v87, vcc
	v_cndmask_b32_e32 v84, 0, v86, vcc
	v_add_f64 v[86:87], v[80:81], -v[50:51]
	v_add_f64 v[54:55], v[54:55], -v[86:87]
	;; [unrolled: 1-line block ×4, first 2 shown]
	v_add_f64 v[54:55], v[54:55], v[86:87]
	v_fma_f64 v[50:51], v[66:67], v[48:49], -v[50:51]
	v_mul_f64 v[86:87], v[64:65], v[48:49]
	v_add_f64 v[98:99], v[86:87], v[50:51]
	v_add_f64 v[100:101], v[98:99], v[54:55]
	v_add_f64 v[82:83], v[100:101], -v[98:99]
	v_add_f64 v[54:55], v[54:55], -v[82:83]
	;; [unrolled: 1-line block ×4, first 2 shown]
	v_add_f64 v[54:55], v[54:55], v[82:83]
	v_add_f64 v[82:83], v[98:99], -v[86:87]
	v_add_f64 v[50:51], v[50:51], -v[82:83]
	;; [unrolled: 1-line block ×4, first 2 shown]
	v_add_f64 v[80:81], v[52:53], v[100:101]
	v_add_f64 v[50:51], v[50:51], v[82:83]
	v_add_f64 v[52:53], v[80:81], -v[52:53]
	v_add_f64 v[50:51], v[50:51], v[54:55]
	v_fma_f64 v[48:49], v[64:65], v[48:49], -v[86:87]
	v_add_f64 v[52:53], v[100:101], -v[52:53]
	v_add_f64 v[48:49], v[48:49], v[50:51]
	v_ldexp_f64 v[50:51], v[84:85], 2
	v_add_f64 v[48:49], v[52:53], v[48:49]
	v_add_f64 v[52:53], v[80:81], v[50:51]
	v_mov_b32_e32 v7, 0x40100000
	v_cmp_gt_f64_e32 vcc, 0, v[52:53]
	v_mov_b32_e32 v96, 0
	s_mov_b32 s11, 0x3ff921fb
	v_cndmask_b32_e32 v97, 0, v7, vcc
	v_add_f64 v[50:51], v[50:51], v[96:97]
	v_add_f64 v[52:53], v[80:81], v[50:51]
	v_cvt_i32_f64_e32 v7, v[52:53]
	v_cvt_f64_i32_e32 v[52:53], v7
	v_add_f64 v[50:51], v[50:51], -v[52:53]
	v_add_f64 v[52:53], v[80:81], v[50:51]
	v_add_f64 v[50:51], v[52:53], -v[50:51]
	v_add_f64 v[50:51], v[80:81], -v[50:51]
	v_add_f64 v[48:49], v[48:49], v[50:51]
	v_cmp_le_f64_e32 vcc, 0.5, v[52:53]
	v_mov_b32_e32 v50, 0x3ff00000
	s_nop 0
	v_cndmask_b32_e32 v97, 0, v50, vcc
	v_add_f64 v[50:51], v[52:53], -v[96:97]
	v_add_f64 v[52:53], v[50:51], v[48:49]
	v_addc_co_u32_e64 v7, s[2:3], 0, v7, vcc
	v_add_f64 v[50:51], v[52:53], -v[50:51]
	v_add_f64 v[48:49], v[48:49], -v[50:51]
	v_mul_f64 v[50:51], v[52:53], s[10:11]
	s_mov_b32 s2, 0x33145c07
	v_fma_f64 v[54:55], v[52:53], s[10:11], -v[50:51]
	s_mov_b32 s3, 0x3c91a626
	v_fmac_f64_e32 v[54:55], s[2:3], v[52:53]
	v_fmac_f64_e32 v[54:55], s[10:11], v[48:49]
	v_add_f64 v[48:49], v[50:51], v[54:55]
	v_add_f64 v[50:51], v[48:49], -v[50:51]
	v_add_f64 v[50:51], v[54:55], -v[50:51]
	s_andn2_saveexec_b64 s[2:3], s[12:13]
	s_cbranch_execz .LBB0_224
	s_branch .LBB0_223
.LBB0_222:
	s_andn2_saveexec_b64 s[2:3], s[12:13]
	s_cbranch_execz .LBB0_224
.LBB0_223:
	s_mov_b32 s10, 0x6dc9c883
	s_mov_b32 s11, 0x3fe45f30
	v_mul_f64 v[48:49], |v[38:39]|, s[10:11]
	s_mov_b32 s10, 0x54442d18
	v_rndne_f64_e32 v[52:53], v[48:49]
	s_mov_b32 s11, 0xbff921fb
	v_fma_f64 v[48:49], v[52:53], s[10:11], |v[38:39]|
	s_mov_b32 s11, 0xbc91a626
	s_mov_b32 s10, 0x33145c00
	v_mul_f64 v[54:55], v[52:53], s[10:11]
	v_add_f64 v[82:83], v[48:49], v[54:55]
	v_fma_f64 v[50:51], s[10:11], v[52:53], v[48:49]
	s_mov_b32 s11, 0x3c91a626
	v_add_f64 v[48:49], v[48:49], -v[82:83]
	v_fma_f64 v[80:81], s[10:11], v[52:53], v[54:55]
	v_add_f64 v[48:49], v[48:49], v[54:55]
	v_add_f64 v[54:55], v[82:83], -v[50:51]
	v_add_f64 v[48:49], v[54:55], v[48:49]
	s_mov_b32 s10, 0x252049c0
	v_add_f64 v[54:55], v[48:49], -v[80:81]
	s_mov_b32 s11, 0xb97b839a
	v_fmac_f64_e32 v[54:55], s[10:11], v[52:53]
	v_add_f64 v[48:49], v[50:51], v[54:55]
	v_add_f64 v[50:51], v[48:49], -v[50:51]
	v_add_f64 v[50:51], v[54:55], -v[50:51]
	v_cvt_i32_f64_e32 v7, v[52:53]
.LBB0_224:
	s_or_b64 exec, exec, s[2:3]
                                        ; implicit-def: $vgpr71
                                        ; implicit-def: $vgpr52_vgpr53
                                        ; implicit-def: $vgpr54_vgpr55
	s_and_saveexec_b64 s[2:3], s[8:9]
	s_xor_b64 s[8:9], exec, s[2:3]
	s_cbranch_execz .LBB0_226
; %bb.225:
	s_mov_b32 s2, 0
	s_mov_b32 s3, 0x7b000000
	s_movk_i32 s10, 0xff80
	v_and_b32_e32 v54, 0x7fffffff, v39
	v_ldexp_f64 v[52:53], |v[38:39]|, s10
	v_cmp_ge_f64_e64 vcc, |v[38:39]|, s[2:3]
	s_mov_b32 s2, 0
	s_mov_b32 s3, 0x7ff00000
	v_cndmask_b32_e32 v53, v54, v53, vcc
	v_cndmask_b32_e32 v52, v38, v52, vcc
	v_mul_f64 v[80:81], v[68:69], v[52:53]
	v_mul_f64 v[54:55], v[66:67], v[52:53]
	v_fma_f64 v[68:69], v[68:69], v[52:53], -v[80:81]
	v_add_f64 v[82:83], v[54:55], v[68:69]
	v_add_f64 v[84:85], v[80:81], v[82:83]
	v_ldexp_f64 v[86:87], v[84:85], -2
	v_fract_f64_e32 v[96:97], v[86:87]
	v_cmp_neq_f64_e64 vcc, |v[86:87]|, s[2:3]
	v_add_f64 v[80:81], v[84:85], -v[80:81]
	v_add_f64 v[80:81], v[82:83], -v[80:81]
	v_cndmask_b32_e32 v87, 0, v97, vcc
	v_cndmask_b32_e32 v86, 0, v96, vcc
	v_add_f64 v[96:97], v[82:83], -v[54:55]
	v_add_f64 v[68:69], v[68:69], -v[96:97]
	;; [unrolled: 1-line block ×4, first 2 shown]
	v_fma_f64 v[54:55], v[66:67], v[52:53], -v[54:55]
	v_mul_f64 v[66:67], v[64:65], v[52:53]
	v_add_f64 v[68:69], v[68:69], v[96:97]
	v_add_f64 v[96:97], v[66:67], v[54:55]
	;; [unrolled: 1-line block ×3, first 2 shown]
	v_add_f64 v[84:85], v[100:101], -v[96:97]
	v_add_f64 v[68:69], v[68:69], -v[84:85]
	v_add_f64 v[84:85], v[100:101], -v[84:85]
	v_add_f64 v[84:85], v[96:97], -v[84:85]
	v_add_f64 v[68:69], v[68:69], v[84:85]
	v_add_f64 v[84:85], v[96:97], -v[66:67]
	v_add_f64 v[54:55], v[54:55], -v[84:85]
	;; [unrolled: 1-line block ×4, first 2 shown]
	v_add_f64 v[54:55], v[54:55], v[84:85]
	v_add_f64 v[54:55], v[54:55], v[68:69]
	v_fma_f64 v[52:53], v[64:65], v[52:53], -v[66:67]
	v_add_f64 v[82:83], v[80:81], v[100:101]
	v_add_f64 v[52:53], v[52:53], v[54:55]
	v_ldexp_f64 v[54:55], v[86:87], 2
	v_add_f64 v[64:65], v[82:83], v[54:55]
	v_mov_b32_e32 v66, 0x40100000
	v_cmp_gt_f64_e32 vcc, 0, v[64:65]
	v_mov_b32_e32 v98, 0
	v_add_f64 v[80:81], v[82:83], -v[80:81]
	v_cndmask_b32_e32 v99, 0, v66, vcc
	v_add_f64 v[54:55], v[54:55], v[98:99]
	v_add_f64 v[64:65], v[82:83], v[54:55]
	v_cvt_i32_f64_e32 v66, v[64:65]
	v_cvt_f64_i32_e32 v[64:65], v66
	v_add_f64 v[54:55], v[54:55], -v[64:65]
	v_add_f64 v[64:65], v[82:83], v[54:55]
	v_add_f64 v[80:81], v[100:101], -v[80:81]
	v_add_f64 v[54:55], v[64:65], -v[54:55]
	v_add_f64 v[52:53], v[80:81], v[52:53]
	v_add_f64 v[54:55], v[82:83], -v[54:55]
	v_add_f64 v[52:53], v[52:53], v[54:55]
	v_cmp_le_f64_e32 vcc, 0.5, v[64:65]
	v_mov_b32_e32 v54, 0x3ff00000
	s_mov_b32 s10, 0x33145c07
	v_cndmask_b32_e32 v99, 0, v54, vcc
	v_addc_co_u32_e64 v71, s[2:3], 0, v66, vcc
	v_add_f64 v[54:55], v[64:65], -v[98:99]
	v_add_f64 v[64:65], v[54:55], v[52:53]
	s_mov_b32 s2, 0x54442d18
	v_add_f64 v[54:55], v[64:65], -v[54:55]
	s_mov_b32 s3, 0x3ff921fb
	v_add_f64 v[52:53], v[52:53], -v[54:55]
	v_mul_f64 v[54:55], v[64:65], s[2:3]
	v_fma_f64 v[66:67], v[64:65], s[2:3], -v[54:55]
	s_mov_b32 s11, 0x3c91a626
	v_fmac_f64_e32 v[66:67], s[10:11], v[64:65]
	v_fmac_f64_e32 v[66:67], s[2:3], v[52:53]
	v_add_f64 v[52:53], v[54:55], v[66:67]
	v_add_f64 v[54:55], v[52:53], -v[54:55]
	v_add_f64 v[54:55], v[66:67], -v[54:55]
	s_andn2_saveexec_b64 s[2:3], s[8:9]
	s_cbranch_execnz .LBB0_227
	s_branch .LBB0_228
.LBB0_226:
	s_andn2_saveexec_b64 s[2:3], s[8:9]
	s_cbranch_execz .LBB0_228
.LBB0_227:
	s_mov_b32 s8, 0x6dc9c883
	s_mov_b32 s9, 0x3fe45f30
	v_mul_f64 v[52:53], |v[38:39]|, s[8:9]
	s_mov_b32 s8, 0x54442d18
	v_rndne_f64_e32 v[64:65], v[52:53]
	s_mov_b32 s9, 0xbff921fb
	v_fma_f64 v[52:53], v[64:65], s[8:9], |v[38:39]|
	s_mov_b32 s9, 0xbc91a626
	s_mov_b32 s8, 0x33145c00
	v_mul_f64 v[66:67], v[64:65], s[8:9]
	v_add_f64 v[80:81], v[52:53], v[66:67]
	v_fma_f64 v[54:55], s[8:9], v[64:65], v[52:53]
	s_mov_b32 s9, 0x3c91a626
	v_add_f64 v[52:53], v[52:53], -v[80:81]
	v_fma_f64 v[68:69], s[8:9], v[64:65], v[66:67]
	v_add_f64 v[52:53], v[52:53], v[66:67]
	v_add_f64 v[66:67], v[80:81], -v[54:55]
	v_add_f64 v[52:53], v[66:67], v[52:53]
	s_mov_b32 s8, 0x252049c0
	v_add_f64 v[66:67], v[52:53], -v[68:69]
	s_mov_b32 s9, 0xb97b839a
	v_fmac_f64_e32 v[66:67], s[8:9], v[64:65]
	v_add_f64 v[52:53], v[54:55], v[66:67]
	v_add_f64 v[54:55], v[52:53], -v[54:55]
	v_add_f64 v[54:55], v[66:67], -v[54:55]
	v_cvt_i32_f64_e32 v71, v[64:65]
.LBB0_228:
	s_or_b64 exec, exec, s[2:3]
	s_mov_b32 s2, 0
	v_mul_f64 v[64:65], v[34:35], v[34:35]
	s_mov_b32 s3, 0x40390000
	v_div_scale_f64 v[66:67], s[8:9], v[64:65], v[64:65], s[2:3]
	v_rcp_f64_e32 v[68:69], v[66:67]
	v_mov_b32_e32 v84, 0xb1759c7f
	v_mov_b32_e32 v85, 0x408ac370
	;; [unrolled: 1-line block ×3, first 2 shown]
	v_fma_f64 v[80:81], -v[66:67], v[68:69], 1.0
	v_fmac_f64_e32 v[68:69], v[68:69], v[80:81]
	v_fma_f64 v[80:81], -v[66:67], v[68:69], 1.0
	v_fmac_f64_e32 v[68:69], v[68:69], v[80:81]
	v_div_scale_f64 v[80:81], vcc, s[2:3], v[64:65], s[2:3]
	v_mul_f64 v[82:83], v[80:81], v[68:69]
	v_fma_f64 v[66:67], -v[66:67], v[82:83], v[80:81]
	v_mov_b32_e32 v80, 0xab5454e3
	s_nop 0
	v_div_fmas_f64 v[66:67], v[66:67], v[68:69], v[82:83]
	v_div_fixup_f64 v[64:65], v[66:67], v[64:65], s[2:3]
	v_mov_b32_e32 v66, 0x983b6b27
	v_mov_b32_e32 v67, 0x3f4a1d30
	v_fmac_f64_e32 v[66:67], 0, v[64:65]
	v_mov_b32_e32 v68, 0xb35dd1cf
	v_mov_b32_e32 v69, 0x3fb534b0
	v_fmac_f64_e32 v[68:69], v[64:65], v[66:67]
	;; [unrolled: 3-line block ×7, first 2 shown]
	v_mov_b32_e32 v81, 0x3fb5ebc5
	v_fmac_f64_e32 v[80:81], v[64:65], v[66:67]
	v_mov_b32_e32 v66, 0xc9b3069f
	v_mov_b32_e32 v67, 0x3ff40e72
	v_fmac_f64_e32 v[66:67], v[64:65], v[80:81]
	v_mov_b32_e32 v80, 0xe68162bb
	;; [unrolled: 3-line block ×4, first 2 shown]
	v_mov_b32_e32 v81, 0x40153965
	v_fmac_f64_e32 v[80:81], v[64:65], v[66:67]
	v_fma_f64 v[66:67], v[64:65], v[80:81], 1.0
	v_mov_b32_e32 v80, 0x38a5384a
	v_mov_b32_e32 v81, 0xbf874742
	v_fmac_f64_e32 v[80:81], 0, v[64:65]
	v_mov_b32_e32 v82, 0x3a321174
	v_mov_b32_e32 v83, 0xbff4853b
	v_fmac_f64_e32 v[82:83], v[64:65], v[80:81]
	;; [unrolled: 3-line block ×9, first 2 shown]
	v_fmac_f64_e32 v[84:85], v[64:65], v[80:81]
	v_mov_b32_e32 v80, 0xbd748cb5
	v_mov_b32_e32 v81, 0x40ae54cd
	v_fmac_f64_e32 v[80:81], v[64:65], v[84:85]
	v_mov_b32_e32 v84, 0xbdefd63e
	v_mov_b32_e32 v85, 0x40bc4877
	;; [unrolled: 3-line block ×4, first 2 shown]
	v_fma_f64 v[68:69], v[64:65], v[68:69], 1.0
	v_fmac_f64_e32 v[84:85], v[64:65], v[80:81]
	v_div_scale_f64 v[80:81], s[2:3], v[66:67], v[66:67], v[68:69]
	v_rcp_f64_e32 v[86:87], v[80:81]
	v_mov_b32_e32 v97, 0x406e402f
	v_fmac_f64_e32 v[96:97], v[64:65], v[84:85]
	s_mov_b32 s2, 0x9037ab78
	v_fma_f64 v[64:65], -v[80:81], v[86:87], 1.0
	v_fmac_f64_e32 v[86:87], v[86:87], v[64:65]
	v_fma_f64 v[64:65], -v[80:81], v[86:87], 1.0
	v_fmac_f64_e32 v[86:87], v[86:87], v[64:65]
	v_div_scale_f64 v[64:65], vcc, v[68:69], v[66:67], v[68:69]
	v_mul_f64 v[84:85], v[64:65], v[86:87]
	v_fma_f64 v[64:65], -v[80:81], v[84:85], v[64:65]
	s_mov_b32 s3, 0x3e21eeb6
	s_nop 0
	v_div_fmas_f64 v[64:65], v[64:65], v[86:87], v[84:85]
	s_mov_b32 s8, 0x46cc5e42
	v_div_fixup_f64 v[64:65], v[64:65], v[66:67], v[68:69]
	v_mul_f64 v[66:67], v[48:49], v[48:49]
	s_mov_b32 s9, 0xbda907db
	v_mov_b64_e32 v[86:87], s[2:3]
	s_mov_b32 s10, 0xa17f65f6
	v_mul_f64 v[68:69], v[66:67], 0.5
	v_fma_f64 v[98:99], s[8:9], v[66:67], v[86:87]
	s_mov_b32 s11, 0xbe927e4f
	s_mov_b32 s12, 0x19f4ec90
	v_add_f64 v[80:81], -v[68:69], 1.0
	v_fma_f64 v[98:99], v[66:67], v[98:99], s[10:11]
	s_mov_b32 s13, 0x3efa01a0
	s_mov_b32 s14, 0x16c16967
	v_add_f64 v[84:85], -v[80:81], 1.0
	v_fma_f64 v[98:99], v[66:67], v[98:99], s[12:13]
	s_mov_b32 s15, 0xbf56c16c
	s_mov_b32 s16, 0x55555555
	v_add_f64 v[68:69], v[84:85], -v[68:69]
	v_fma_f64 v[98:99], v[66:67], v[98:99], s[14:15]
	s_mov_b32 s17, 0x3fa55555
	v_mul_f64 v[84:85], v[66:67], v[66:67]
	v_fma_f64 v[98:99], v[66:67], v[98:99], s[16:17]
	v_fma_f64 v[68:69], v[48:49], -v[50:51], v[68:69]
	s_mov_b32 s2, 0xb42fdfa7
	v_fmac_f64_e32 v[68:69], v[84:85], v[98:99]
	s_mov_b32 s3, 0xbe5ae600
	s_mov_b32 s18, 0xf9a43bb8
	v_add_f64 v[68:69], v[80:81], v[68:69]
	s_mov_b32 s19, 0x3de5e0b2
	v_mov_b64_e32 v[80:81], s[2:3]
	s_mov_b32 s22, 0x796cde01
	v_fma_f64 v[84:85], s[18:19], v[66:67], v[80:81]
	s_mov_b32 s23, 0x3ec71de3
	s_mov_b32 s24, 0x19e83e5c
	v_fma_f64 v[84:85], v[66:67], v[84:85], s[22:23]
	s_mov_b32 s25, 0xbf2a01a0
	;; [unrolled: 3-line block ×3, first 2 shown]
	v_fma_f64 v[84:85], v[66:67], v[84:85], s[26:27]
	v_mul_f64 v[98:99], v[48:49], -v[66:67]
	v_mul_f64 v[100:101], v[50:51], 0.5
	v_fmac_f64_e32 v[100:101], v[98:99], v[84:85]
	v_fma_f64 v[50:51], v[66:67], v[100:101], -v[50:51]
	s_mov_b32 s29, 0xbfc55555
	s_mov_b32 s28, s16
	v_fmac_f64_e32 v[50:51], s[28:29], v[98:99]
	v_add_f64 v[48:49], v[48:49], -v[50:51]
	v_and_b32_e32 v50, 1, v7
	v_lshlrev_b32_e32 v7, 30, v7
	v_cmp_eq_u32_e32 vcc, 0, v50
	v_xor_b32_e32 v7, v7, v39
	s_mov_b32 s30, 0
	v_cndmask_b32_e32 v66, v68, v48, vcc
	v_cndmask_b32_e32 v48, v69, v49, vcc
	v_and_b32_e32 v7, 0x80000000, v7
	s_mov_b32 s31, 0x40140000
	v_xor_b32_e32 v7, v48, v7
	v_div_scale_f64 v[48:49], s[2:3], v[34:35], v[34:35], s[30:31]
	v_rcp_f64_e32 v[50:51], v[48:49]
	s_movk_i32 s21, 0x1f8
	v_cmp_class_f64_e64 s[2:3], v[38:39], s21
	v_mov_b32_e32 v98, 0x7ff80000
	s_nop 0
	v_cndmask_b32_e64 v38, 0, v66, s[2:3]
	v_fma_f64 v[66:67], -v[48:49], v[50:51], 1.0
	v_fmac_f64_e32 v[50:51], v[50:51], v[66:67]
	v_fma_f64 v[66:67], -v[48:49], v[50:51], 1.0
	v_fmac_f64_e32 v[50:51], v[50:51], v[66:67]
	v_div_scale_f64 v[66:67], vcc, s[30:31], v[34:35], s[30:31]
	v_mul_f64 v[68:69], v[66:67], v[50:51]
	v_fma_f64 v[48:49], -v[48:49], v[68:69], v[66:67]
	v_div_scale_f64 v[66:67], s[34:35], v[96:97], v[96:97], v[82:83]
	v_rcp_f64_e32 v[84:85], v[66:67]
	v_div_fmas_f64 v[48:49], v[48:49], v[50:51], v[68:69]
	v_div_fixup_f64 v[48:49], v[48:49], v[34:35], s[30:31]
	v_cndmask_b32_e64 v39, v98, v7, s[2:3]
	v_fma_f64 v[50:51], -v[66:67], v[84:85], 1.0
	v_fmac_f64_e32 v[84:85], v[84:85], v[50:51]
	v_fma_f64 v[50:51], -v[66:67], v[84:85], 1.0
	v_fmac_f64_e32 v[84:85], v[84:85], v[50:51]
	v_div_scale_f64 v[50:51], vcc, v[82:83], v[96:97], v[82:83]
	v_mul_f64 v[68:69], v[50:51], v[84:85]
	v_fma_f64 v[50:51], -v[66:67], v[68:69], v[50:51]
	s_nop 1
	v_div_fmas_f64 v[50:51], v[50:51], v[84:85], v[68:69]
	v_div_fixup_f64 v[50:51], v[50:51], v[96:97], v[82:83]
	v_mul_f64 v[48:49], v[48:49], v[50:51]
	v_mul_f64 v[50:51], v[52:53], v[52:53]
	v_mul_f64 v[66:67], v[50:51], 0.5
	v_fmac_f64_e32 v[86:87], s[8:9], v[50:51]
	v_add_f64 v[68:69], -v[66:67], 1.0
	v_fma_f64 v[84:85], v[50:51], v[86:87], s[10:11]
	v_add_f64 v[82:83], -v[68:69], 1.0
	v_fma_f64 v[84:85], v[50:51], v[84:85], s[12:13]
	v_add_f64 v[66:67], v[82:83], -v[66:67]
	v_fma_f64 v[84:85], v[50:51], v[84:85], s[14:15]
	v_mul_f64 v[82:83], v[50:51], v[50:51]
	v_fma_f64 v[84:85], v[50:51], v[84:85], s[16:17]
	v_fma_f64 v[66:67], v[52:53], -v[54:55], v[66:67]
	v_fmac_f64_e32 v[66:67], v[82:83], v[84:85]
	v_fmac_f64_e32 v[80:81], s[18:19], v[50:51]
	v_add_f64 v[66:67], v[68:69], v[66:67]
	v_fma_f64 v[68:69], v[50:51], v[80:81], s[22:23]
	v_fma_f64 v[68:69], v[50:51], v[68:69], s[24:25]
	;; [unrolled: 1-line block ×3, first 2 shown]
	v_mul_f64 v[80:81], v[52:53], -v[50:51]
	v_mul_f64 v[82:83], v[54:55], 0.5
	v_fmac_f64_e32 v[82:83], v[80:81], v[68:69]
	v_fma_f64 v[50:51], v[50:51], v[82:83], -v[54:55]
	v_fmac_f64_e32 v[50:51], s[28:29], v[80:81]
	v_add_f64 v[50:51], v[52:53], -v[50:51]
	v_xor_b32_e32 v7, 0x80000000, v51
	v_and_b32_e32 v51, 1, v71
	v_cmp_eq_u32_e32 vcc, 0, v51
	v_lshlrev_b32_e32 v51, 30, v71
	v_and_b32_e32 v51, 0x80000000, v51
	v_cndmask_b32_e32 v7, v7, v67, vcc
	v_cndmask_b32_e32 v50, v50, v66, vcc
	v_xor_b32_e32 v7, v7, v51
	v_cndmask_b32_e64 v50, 0, v50, s[2:3]
	v_cndmask_b32_e64 v51, v98, v7, s[2:3]
	s_mov_b32 s2, 0
	s_brev_b32 s3, 8
	v_cmp_gt_f64_e32 vcc, s[2:3], v[34:35]
	v_mul_f64 v[48:49], v[48:49], v[50:51]
	v_fmac_f64_e32 v[48:49], v[64:65], v[38:39]
	v_cndmask_b32_e64 v7, 0, 1, vcc
	v_lshlrev_b32_e32 v7, 8, v7
	v_ldexp_f64 v[34:35], v[34:35], v7
	v_rsq_f64_e32 v[38:39], v[34:35]
	v_mov_b32_e32 v7, 0xffffff80
	v_cndmask_b32_e32 v7, 0, v7, vcc
	s_mov_b32 s2, 0x33d43651
	v_mul_f64 v[50:51], v[34:35], v[38:39]
	v_mul_f64 v[38:39], v[38:39], 0.5
	v_fma_f64 v[52:53], -v[38:39], v[50:51], 0.5
	v_fmac_f64_e32 v[50:51], v[50:51], v[52:53]
	v_fma_f64 v[54:55], -v[50:51], v[50:51], v[34:35]
	v_fmac_f64_e32 v[38:39], v[38:39], v[52:53]
	v_fmac_f64_e32 v[50:51], v[54:55], v[38:39]
	v_fma_f64 v[52:53], -v[50:51], v[50:51], v[34:35]
	v_fmac_f64_e32 v[50:51], v[52:53], v[38:39]
	v_ldexp_f64 v[38:39], v[50:51], v7
	v_mov_b32_e32 v7, 0x260
	s_mov_b32 s3, 0x3fe98845
	v_cmp_class_f64_e32 vcc, v[34:35], v7
	v_mul_f64 v[48:49], v[48:49], s[2:3]
	s_nop 0
	v_cndmask_b32_e32 v35, v39, v35, vcc
	v_cndmask_b32_e32 v34, v38, v34, vcc
	v_div_scale_f64 v[38:39], s[2:3], v[34:35], v[34:35], v[48:49]
	v_rcp_f64_e32 v[50:51], v[38:39]
	s_nop 0
	v_fma_f64 v[52:53], -v[38:39], v[50:51], 1.0
	v_fmac_f64_e32 v[50:51], v[50:51], v[52:53]
	v_fma_f64 v[52:53], -v[38:39], v[50:51], 1.0
	v_fmac_f64_e32 v[50:51], v[50:51], v[52:53]
	v_div_scale_f64 v[52:53], vcc, v[48:49], v[34:35], v[48:49]
	v_mul_f64 v[54:55], v[52:53], v[50:51]
	v_fma_f64 v[38:39], -v[38:39], v[54:55], v[52:53]
	s_nop 1
	v_div_fmas_f64 v[38:39], v[38:39], v[50:51], v[54:55]
	v_div_fixup_f64 v[38:39], v[38:39], v[34:35], v[48:49]
.LBB0_229:
	s_or_b64 exec, exec, s[6:7]
.LBB0_230:
	s_or_b64 exec, exec, s[4:5]
	v_add_u32_e32 v7, 0x900, v5
	v_cmp_lt_i32_e32 vcc, v7, v4
                                        ; implicit-def: $vgpr34_vgpr35
	s_and_saveexec_b64 s[4:5], vcc
	s_cbranch_execz .LBB0_252
; %bb.231:
	s_mov_b32 s2, 0
	s_mov_b32 s3, 0x40140000
	s_waitcnt vmcnt(0) lgkmcnt(0)
	v_cmp_ge_f64_e32 vcc, s[2:3], v[30:31]
                                        ; implicit-def: $vgpr34_vgpr35
	s_and_saveexec_b64 s[2:3], vcc
	s_xor_b64 s[2:3], exec, s[2:3]
	s_cbranch_execz .LBB0_241
; %bb.232:
	v_mov_b32_e32 v34, 0
	v_cmp_neq_f64_e32 vcc, 0, v[30:31]
	v_mov_b32_e32 v35, 0xfff00000
	s_and_saveexec_b64 s[6:7], vcc
	s_cbranch_execz .LBB0_240
; %bb.233:
	v_mov_b32_e32 v34, 0
	v_cmp_ngt_f64_e32 vcc, 0, v[30:31]
	v_mov_b32_e32 v35, 0x7ff80000
	s_and_saveexec_b64 s[8:9], vcc
	s_cbranch_execz .LBB0_239
; %bb.234:
	s_mov_b32 s10, 0x88e368f1
	v_mul_f64 v[34:35], v[30:31], v[30:31]
	s_mov_b32 s11, 0x3ee4f8b5
	v_mul_f64 v[50:51], v[34:35], 0
	v_cmp_ngt_f64_e32 vcc, s[10:11], v[30:31]
                                        ; implicit-def: $vgpr48_vgpr49
	s_and_saveexec_b64 s[10:11], vcc
	s_xor_b64 s[10:11], exec, s[10:11]
	s_cbranch_execz .LBB0_236
; %bb.235:
	s_mov_b32 s12, 0xad1c8325
	s_mov_b32 s13, 0xc1f1dc53
	v_add_f64 v[48:49], v[50:51], s[12:13]
	v_mov_b32_e32 v52, 0xc772990d
	v_mov_b32_e32 v53, 0x427c7751
	s_mov_b32 s12, 0xa696b78c
	v_fmac_f64_e32 v[52:53], v[34:35], v[48:49]
	v_mov_b32_e32 v48, 0xe0d900f7
	v_mov_b32_e32 v49, 0xc2ec5614
	s_mov_b32 s13, 0x407f3902
	v_fmac_f64_e32 v[48:49], v[34:35], v[52:53]
	v_add_f64 v[52:53], v[50:51], s[12:13]
	v_mov_b32_e32 v54, 0x36a21a67
	v_mov_b32_e32 v55, 0x410536cb
	v_fmac_f64_e32 v[54:55], v[34:35], v[52:53]
	v_mov_b32_e32 v52, 0x2eac0634
	v_mov_b32_e32 v53, 0x41871934
	v_fmac_f64_e32 v[52:53], v[34:35], v[54:55]
	;; [unrolled: 3-line block ×6, first 2 shown]
	v_mov_b32_e32 v54, 0xc7b662cc
	v_mov_b32_e32 v55, 0x43b7be34
	s_mov_b32 s12, 0x80462bbb
	v_fmac_f64_e32 v[54:55], v[34:35], v[52:53]
	v_mov_b32_e32 v52, 0x69ff5fb4
	v_mov_b32_e32 v53, 0x43413ef8
	s_mov_b32 s13, 0xc01721fb
	v_fmac_f64_e32 v[52:53], v[34:35], v[48:49]
	v_add_f64 v[48:49], v[34:35], s[12:13]
	s_mov_b32 s12, 0xa621dd6f
	s_mov_b32 s13, 0xc03e78a4
	v_add_f64 v[64:65], v[34:35], s[12:13]
	v_mul_f64 v[48:49], v[48:49], v[64:65]
	v_mul_f64 v[48:49], v[48:49], v[52:53]
	v_div_scale_f64 v[52:53], s[12:13], v[54:55], v[54:55], v[48:49]
	v_rcp_f64_e32 v[64:65], v[52:53]
	s_nop 0
	v_fma_f64 v[66:67], -v[52:53], v[64:65], 1.0
	v_fmac_f64_e32 v[64:65], v[64:65], v[66:67]
	v_fma_f64 v[66:67], -v[52:53], v[64:65], 1.0
	v_fmac_f64_e32 v[64:65], v[64:65], v[66:67]
	v_div_scale_f64 v[66:67], vcc, v[48:49], v[54:55], v[48:49]
	v_mul_f64 v[68:69], v[66:67], v[64:65]
	v_fma_f64 v[52:53], -v[52:53], v[68:69], v[66:67]
	s_nop 1
	v_div_fmas_f64 v[52:53], v[52:53], v[64:65], v[68:69]
	v_div_fixup_f64 v[48:49], v[52:53], v[54:55], v[48:49]
.LBB0_236:
	s_andn2_saveexec_b64 s[10:11], s[10:11]
; %bb.237:
	s_mov_b32 s12, 0
	s_mov_b32 s13, 0xbfd00000
	v_fma_f64 v[48:49], v[34:35], s[12:13], 1.0
; %bb.238:
	s_or_b64 exec, exec, s[10:11]
	s_mov_b32 s10, 0xe896898f
	s_mov_b32 s11, 0x40ce7437
	v_add_f64 v[52:53], v[50:51], s[10:11]
	v_mov_b32_e32 v54, 0x32e48896
	v_mov_b32_e32 v55, 0xc16bf81f
	v_fmac_f64_e32 v[54:55], v[34:35], v[52:53]
	v_mov_b32_e32 v52, 0xf0284cdd
	v_mov_b32_e32 v53, 0x41f43f78
	v_fmac_f64_e32 v[52:53], v[34:35], v[54:55]
	;; [unrolled: 3-line block ×4, first 2 shown]
	v_mov_b32_e32 v54, 0xd1d8cc02
	v_mov_b32_e32 v55, 0xc328a121
	s_mov_b32 s10, 0x576dfcb6
	v_fmac_f64_e32 v[54:55], v[34:35], v[52:53]
	v_mov_b32_e32 v52, 0x660b4003
	v_mov_b32_e32 v53, 0x4363a94b
	s_mov_b32 s11, 0x40904522
	v_fmac_f64_e32 v[52:53], v[34:35], v[54:55]
	v_add_f64 v[50:51], v[50:51], s[10:11]
	v_mov_b32_e32 v54, 0xa907bc0c
	v_mov_b32_e32 v55, 0x41231b76
	v_fmac_f64_e32 v[54:55], v[34:35], v[50:51]
	v_mov_b32_e32 v50, 0x5164d101
	v_mov_b32_e32 v51, 0x41b00763
	v_fmac_f64_e32 v[50:51], v[34:35], v[54:55]
	;; [unrolled: 3-line block ×7, first 2 shown]
	v_div_scale_f64 v[34:35], s[10:11], v[50:51], v[50:51], v[54:55]
	v_rcp_f64_e32 v[52:53], v[34:35]
	s_mov_b32 s10, 0x55555555
	v_frexp_exp_i32_f64_e32 v7, v[30:31]
	v_frexp_mant_f64_e32 v[30:31], v[30:31]
	v_fma_f64 v[64:65], -v[34:35], v[52:53], 1.0
	v_fmac_f64_e32 v[52:53], v[52:53], v[64:65]
	v_fma_f64 v[64:65], -v[34:35], v[52:53], 1.0
	v_fmac_f64_e32 v[52:53], v[52:53], v[64:65]
	v_div_scale_f64 v[64:65], vcc, v[54:55], v[50:51], v[54:55]
	v_mul_f64 v[66:67], v[64:65], v[52:53]
	v_fma_f64 v[34:35], -v[34:35], v[66:67], v[64:65]
	s_mov_b32 s11, 0x3fe55555
	s_nop 0
	v_div_fmas_f64 v[34:35], v[34:35], v[52:53], v[66:67]
	v_div_fixup_f64 v[34:35], v[34:35], v[50:51], v[54:55]
	v_mov_b32_e32 v50, 0x3ff00000
	v_cmp_gt_f64_e32 vcc, s[10:11], v[30:31]
	s_mov_b32 s10, 0xbf559e2b
	s_mov_b32 s11, 0x3fc3ab76
	v_cndmask_b32_e64 v51, v50, 2.0, vcc
	v_mov_b32_e32 v50, 0
	v_mul_f64 v[30:31], v[30:31], v[50:51]
	v_add_f64 v[50:51], v[30:31], 1.0
	v_rcp_f64_e32 v[52:53], v[50:51]
	v_add_f64 v[64:65], v[50:51], -1.0
	v_add_f64 v[54:55], v[30:31], -1.0
	v_add_f64 v[30:31], v[30:31], -v[64:65]
	v_fma_f64 v[64:65], -v[50:51], v[52:53], 1.0
	v_fmac_f64_e32 v[52:53], v[64:65], v[52:53]
	v_fma_f64 v[64:65], -v[50:51], v[52:53], 1.0
	v_fmac_f64_e32 v[52:53], v[64:65], v[52:53]
	v_mul_f64 v[64:65], v[54:55], v[52:53]
	v_mul_f64 v[66:67], v[50:51], v[64:65]
	v_fma_f64 v[50:51], v[64:65], v[50:51], -v[66:67]
	v_fmac_f64_e32 v[50:51], v[64:65], v[30:31]
	v_add_f64 v[30:31], v[66:67], v[50:51]
	v_add_f64 v[68:69], v[54:55], -v[30:31]
	v_add_f64 v[66:67], v[30:31], -v[66:67]
	;; [unrolled: 1-line block ×5, first 2 shown]
	v_add_f64 v[30:31], v[50:51], v[30:31]
	v_add_f64 v[30:31], v[68:69], v[30:31]
	v_mul_f64 v[30:31], v[52:53], v[30:31]
	v_add_f64 v[50:51], v[64:65], v[30:31]
	v_add_f64 v[52:53], v[50:51], -v[64:65]
	v_add_f64 v[30:31], v[30:31], -v[52:53]
	v_mul_f64 v[52:53], v[50:51], v[50:51]
	v_mov_b32_e32 v54, 0x6b47b09a
	v_mov_b32_e32 v55, 0x3fc38538
	v_fmac_f64_e32 v[54:55], s[10:11], v[52:53]
	v_mov_b32_e32 v64, 0xd7f4df2e
	v_mov_b32_e32 v65, 0x3fc7474d
	v_fmac_f64_e32 v[64:65], v[52:53], v[54:55]
	;; [unrolled: 3-line block ×6, first 2 shown]
	v_ldexp_f64 v[54:55], v[50:51], 1
	v_mul_f64 v[50:51], v[50:51], v[52:53]
	v_mul_f64 v[50:51], v[50:51], v[64:65]
	v_add_f64 v[52:53], v[54:55], v[50:51]
	v_add_f64 v[54:55], v[52:53], -v[54:55]
	v_ldexp_f64 v[30:31], v[30:31], 1
	v_add_f64 v[50:51], v[50:51], -v[54:55]
	v_add_f64 v[30:31], v[30:31], v[50:51]
	v_add_f64 v[50:51], v[52:53], v[30:31]
	v_subbrev_co_u32_e32 v7, vcc, 0, v7, vcc
	v_add_f64 v[52:53], v[50:51], -v[52:53]
	s_mov_b32 s10, 0xfefa39ef
	v_add_f64 v[30:31], v[30:31], -v[52:53]
	v_cvt_f64_i32_e32 v[52:53], v7
	s_mov_b32 s11, 0x3fe62e42
	v_mul_f64 v[54:55], v[52:53], s[10:11]
	v_fma_f64 v[64:65], v[52:53], s[10:11], -v[54:55]
	s_mov_b32 s10, 0x3b39803f
	s_mov_b32 s11, 0x3c7abc9e
	v_fmac_f64_e32 v[64:65], s[10:11], v[52:53]
	v_add_f64 v[52:53], v[54:55], v[64:65]
	v_add_f64 v[54:55], v[52:53], -v[54:55]
	v_add_f64 v[54:55], v[64:65], -v[54:55]
	v_add_f64 v[64:65], v[52:53], v[50:51]
	v_add_f64 v[66:67], v[64:65], -v[52:53]
	v_add_f64 v[68:69], v[64:65], -v[66:67]
	;; [unrolled: 1-line block ×4, first 2 shown]
	v_add_f64 v[50:51], v[50:51], v[52:53]
	v_add_f64 v[52:53], v[54:55], v[30:31]
	v_add_f64 v[66:67], v[52:53], -v[54:55]
	v_add_f64 v[68:69], v[52:53], -v[66:67]
	v_add_f64 v[50:51], v[52:53], v[50:51]
	v_add_f64 v[54:55], v[54:55], -v[68:69]
	v_add_f64 v[30:31], v[30:31], -v[66:67]
	v_add_f64 v[52:53], v[64:65], v[50:51]
	v_add_f64 v[30:31], v[30:31], v[54:55]
	v_add_f64 v[54:55], v[52:53], -v[64:65]
	v_add_f64 v[50:51], v[50:51], -v[54:55]
	v_add_f64 v[30:31], v[30:31], v[50:51]
	s_mov_b32 s10, 0x6dc9c883
	v_add_f64 v[30:31], v[52:53], v[30:31]
	s_mov_b32 s11, 0x3fe45f30
	v_mul_f64 v[30:31], v[30:31], s[10:11]
	v_fmac_f64_e32 v[34:35], v[30:31], v[48:49]
.LBB0_239:
	s_or_b64 exec, exec, s[8:9]
.LBB0_240:
	s_or_b64 exec, exec, s[6:7]
                                        ; implicit-def: $vgpr30_vgpr31
.LBB0_241:
	s_andn2_saveexec_b64 s[6:7], s[2:3]
	s_cbranch_execz .LBB0_251
; %bb.242:
	s_mov_b32 s11, 0xbfe921fb
	s_mov_b32 s10, 0x54442d18
	;; [unrolled: 1-line block ×3, first 2 shown]
	v_add_f64 v[34:35], v[30:31], s[10:11]
	s_mov_b32 s3, 0x41d00000
	v_cmp_nlt_f64_e64 s[8:9], |v[34:35]|, s[2:3]
	v_trig_preop_f64 v[68:69], |v[34:35]|, 0
	v_trig_preop_f64 v[66:67], |v[34:35]|, 1
	;; [unrolled: 1-line block ×3, first 2 shown]
                                        ; implicit-def: $vgpr7
                                        ; implicit-def: $vgpr48_vgpr49
                                        ; implicit-def: $vgpr50_vgpr51
	s_and_saveexec_b64 s[2:3], s[8:9]
	s_xor_b64 s[12:13], exec, s[2:3]
	s_cbranch_execz .LBB0_244
; %bb.243:
	s_mov_b32 s2, 0
	s_mov_b32 s3, 0x7b000000
	s_movk_i32 s11, 0xff80
	v_and_b32_e32 v7, 0x7fffffff, v35
	v_ldexp_f64 v[48:49], |v[34:35]|, s11
	v_cmp_ge_f64_e64 vcc, |v[34:35]|, s[2:3]
	s_mov_b32 s2, 0
	s_mov_b32 s3, 0x7ff00000
	v_cndmask_b32_e32 v49, v7, v49, vcc
	v_cndmask_b32_e32 v48, v34, v48, vcc
	v_mul_f64 v[52:53], v[68:69], v[48:49]
	v_mul_f64 v[50:51], v[66:67], v[48:49]
	v_fma_f64 v[54:55], v[68:69], v[48:49], -v[52:53]
	v_add_f64 v[80:81], v[50:51], v[54:55]
	v_add_f64 v[82:83], v[52:53], v[80:81]
	v_ldexp_f64 v[84:85], v[82:83], -2
	v_fract_f64_e32 v[86:87], v[84:85]
	v_cmp_neq_f64_e64 vcc, |v[84:85]|, s[2:3]
	v_add_f64 v[52:53], v[82:83], -v[52:53]
	v_add_f64 v[52:53], v[80:81], -v[52:53]
	v_cndmask_b32_e32 v85, 0, v87, vcc
	v_cndmask_b32_e32 v84, 0, v86, vcc
	v_add_f64 v[86:87], v[80:81], -v[50:51]
	v_add_f64 v[54:55], v[54:55], -v[86:87]
	;; [unrolled: 1-line block ×4, first 2 shown]
	v_add_f64 v[54:55], v[54:55], v[86:87]
	v_fma_f64 v[50:51], v[66:67], v[48:49], -v[50:51]
	v_mul_f64 v[86:87], v[64:65], v[48:49]
	v_add_f64 v[98:99], v[86:87], v[50:51]
	v_add_f64 v[100:101], v[98:99], v[54:55]
	v_add_f64 v[82:83], v[100:101], -v[98:99]
	v_add_f64 v[54:55], v[54:55], -v[82:83]
	;; [unrolled: 1-line block ×4, first 2 shown]
	v_add_f64 v[54:55], v[54:55], v[82:83]
	v_add_f64 v[82:83], v[98:99], -v[86:87]
	v_add_f64 v[50:51], v[50:51], -v[82:83]
	;; [unrolled: 1-line block ×4, first 2 shown]
	v_add_f64 v[80:81], v[52:53], v[100:101]
	v_add_f64 v[50:51], v[50:51], v[82:83]
	v_add_f64 v[52:53], v[80:81], -v[52:53]
	v_add_f64 v[50:51], v[50:51], v[54:55]
	v_fma_f64 v[48:49], v[64:65], v[48:49], -v[86:87]
	v_add_f64 v[52:53], v[100:101], -v[52:53]
	v_add_f64 v[48:49], v[48:49], v[50:51]
	v_ldexp_f64 v[50:51], v[84:85], 2
	v_add_f64 v[48:49], v[52:53], v[48:49]
	v_add_f64 v[52:53], v[80:81], v[50:51]
	v_mov_b32_e32 v7, 0x40100000
	v_cmp_gt_f64_e32 vcc, 0, v[52:53]
	v_mov_b32_e32 v96, 0
	s_mov_b32 s11, 0x3ff921fb
	v_cndmask_b32_e32 v97, 0, v7, vcc
	v_add_f64 v[50:51], v[50:51], v[96:97]
	v_add_f64 v[52:53], v[80:81], v[50:51]
	v_cvt_i32_f64_e32 v7, v[52:53]
	v_cvt_f64_i32_e32 v[52:53], v7
	v_add_f64 v[50:51], v[50:51], -v[52:53]
	v_add_f64 v[52:53], v[80:81], v[50:51]
	v_add_f64 v[50:51], v[52:53], -v[50:51]
	v_add_f64 v[50:51], v[80:81], -v[50:51]
	v_add_f64 v[48:49], v[48:49], v[50:51]
	v_cmp_le_f64_e32 vcc, 0.5, v[52:53]
	v_mov_b32_e32 v50, 0x3ff00000
	s_nop 0
	v_cndmask_b32_e32 v97, 0, v50, vcc
	v_add_f64 v[50:51], v[52:53], -v[96:97]
	v_add_f64 v[52:53], v[50:51], v[48:49]
	v_addc_co_u32_e64 v7, s[2:3], 0, v7, vcc
	v_add_f64 v[50:51], v[52:53], -v[50:51]
	v_add_f64 v[48:49], v[48:49], -v[50:51]
	v_mul_f64 v[50:51], v[52:53], s[10:11]
	s_mov_b32 s2, 0x33145c07
	v_fma_f64 v[54:55], v[52:53], s[10:11], -v[50:51]
	s_mov_b32 s3, 0x3c91a626
	v_fmac_f64_e32 v[54:55], s[2:3], v[52:53]
	v_fmac_f64_e32 v[54:55], s[10:11], v[48:49]
	v_add_f64 v[48:49], v[50:51], v[54:55]
	v_add_f64 v[50:51], v[48:49], -v[50:51]
	v_add_f64 v[50:51], v[54:55], -v[50:51]
	s_andn2_saveexec_b64 s[2:3], s[12:13]
	s_cbranch_execz .LBB0_246
	s_branch .LBB0_245
.LBB0_244:
	s_andn2_saveexec_b64 s[2:3], s[12:13]
	s_cbranch_execz .LBB0_246
.LBB0_245:
	s_mov_b32 s10, 0x6dc9c883
	s_mov_b32 s11, 0x3fe45f30
	v_mul_f64 v[48:49], |v[34:35]|, s[10:11]
	s_mov_b32 s10, 0x54442d18
	v_rndne_f64_e32 v[52:53], v[48:49]
	s_mov_b32 s11, 0xbff921fb
	v_fma_f64 v[48:49], v[52:53], s[10:11], |v[34:35]|
	s_mov_b32 s11, 0xbc91a626
	s_mov_b32 s10, 0x33145c00
	v_mul_f64 v[54:55], v[52:53], s[10:11]
	v_add_f64 v[82:83], v[48:49], v[54:55]
	v_fma_f64 v[50:51], s[10:11], v[52:53], v[48:49]
	s_mov_b32 s11, 0x3c91a626
	v_add_f64 v[48:49], v[48:49], -v[82:83]
	v_fma_f64 v[80:81], s[10:11], v[52:53], v[54:55]
	v_add_f64 v[48:49], v[48:49], v[54:55]
	v_add_f64 v[54:55], v[82:83], -v[50:51]
	v_add_f64 v[48:49], v[54:55], v[48:49]
	s_mov_b32 s10, 0x252049c0
	v_add_f64 v[54:55], v[48:49], -v[80:81]
	s_mov_b32 s11, 0xb97b839a
	v_fmac_f64_e32 v[54:55], s[10:11], v[52:53]
	v_add_f64 v[48:49], v[50:51], v[54:55]
	v_add_f64 v[50:51], v[48:49], -v[50:51]
	v_add_f64 v[50:51], v[54:55], -v[50:51]
	v_cvt_i32_f64_e32 v7, v[52:53]
.LBB0_246:
	s_or_b64 exec, exec, s[2:3]
                                        ; implicit-def: $vgpr71
                                        ; implicit-def: $vgpr52_vgpr53
                                        ; implicit-def: $vgpr54_vgpr55
	s_and_saveexec_b64 s[2:3], s[8:9]
	s_xor_b64 s[8:9], exec, s[2:3]
	s_cbranch_execz .LBB0_248
; %bb.247:
	s_mov_b32 s2, 0
	s_mov_b32 s3, 0x7b000000
	s_movk_i32 s10, 0xff80
	v_and_b32_e32 v54, 0x7fffffff, v35
	v_ldexp_f64 v[52:53], |v[34:35]|, s10
	v_cmp_ge_f64_e64 vcc, |v[34:35]|, s[2:3]
	s_mov_b32 s2, 0
	s_mov_b32 s3, 0x7ff00000
	v_cndmask_b32_e32 v53, v54, v53, vcc
	v_cndmask_b32_e32 v52, v34, v52, vcc
	v_mul_f64 v[80:81], v[68:69], v[52:53]
	v_mul_f64 v[54:55], v[66:67], v[52:53]
	v_fma_f64 v[68:69], v[68:69], v[52:53], -v[80:81]
	v_add_f64 v[82:83], v[54:55], v[68:69]
	v_add_f64 v[84:85], v[80:81], v[82:83]
	v_ldexp_f64 v[86:87], v[84:85], -2
	v_fract_f64_e32 v[96:97], v[86:87]
	v_cmp_neq_f64_e64 vcc, |v[86:87]|, s[2:3]
	v_add_f64 v[80:81], v[84:85], -v[80:81]
	v_add_f64 v[80:81], v[82:83], -v[80:81]
	v_cndmask_b32_e32 v87, 0, v97, vcc
	v_cndmask_b32_e32 v86, 0, v96, vcc
	v_add_f64 v[96:97], v[82:83], -v[54:55]
	v_add_f64 v[68:69], v[68:69], -v[96:97]
	;; [unrolled: 1-line block ×4, first 2 shown]
	v_fma_f64 v[54:55], v[66:67], v[52:53], -v[54:55]
	v_mul_f64 v[66:67], v[64:65], v[52:53]
	v_add_f64 v[68:69], v[68:69], v[96:97]
	v_add_f64 v[96:97], v[66:67], v[54:55]
	;; [unrolled: 1-line block ×3, first 2 shown]
	v_add_f64 v[84:85], v[100:101], -v[96:97]
	v_add_f64 v[68:69], v[68:69], -v[84:85]
	;; [unrolled: 1-line block ×4, first 2 shown]
	v_add_f64 v[68:69], v[68:69], v[84:85]
	v_add_f64 v[84:85], v[96:97], -v[66:67]
	v_add_f64 v[54:55], v[54:55], -v[84:85]
	;; [unrolled: 1-line block ×4, first 2 shown]
	v_add_f64 v[54:55], v[54:55], v[84:85]
	v_add_f64 v[54:55], v[54:55], v[68:69]
	v_fma_f64 v[52:53], v[64:65], v[52:53], -v[66:67]
	v_add_f64 v[82:83], v[80:81], v[100:101]
	v_add_f64 v[52:53], v[52:53], v[54:55]
	v_ldexp_f64 v[54:55], v[86:87], 2
	v_add_f64 v[64:65], v[82:83], v[54:55]
	v_mov_b32_e32 v66, 0x40100000
	v_cmp_gt_f64_e32 vcc, 0, v[64:65]
	v_mov_b32_e32 v98, 0
	v_add_f64 v[80:81], v[82:83], -v[80:81]
	v_cndmask_b32_e32 v99, 0, v66, vcc
	v_add_f64 v[54:55], v[54:55], v[98:99]
	v_add_f64 v[64:65], v[82:83], v[54:55]
	v_cvt_i32_f64_e32 v66, v[64:65]
	v_cvt_f64_i32_e32 v[64:65], v66
	v_add_f64 v[54:55], v[54:55], -v[64:65]
	v_add_f64 v[64:65], v[82:83], v[54:55]
	v_add_f64 v[80:81], v[100:101], -v[80:81]
	v_add_f64 v[54:55], v[64:65], -v[54:55]
	v_add_f64 v[52:53], v[80:81], v[52:53]
	v_add_f64 v[54:55], v[82:83], -v[54:55]
	v_add_f64 v[52:53], v[52:53], v[54:55]
	v_cmp_le_f64_e32 vcc, 0.5, v[64:65]
	v_mov_b32_e32 v54, 0x3ff00000
	s_mov_b32 s10, 0x33145c07
	v_cndmask_b32_e32 v99, 0, v54, vcc
	v_addc_co_u32_e64 v71, s[2:3], 0, v66, vcc
	v_add_f64 v[54:55], v[64:65], -v[98:99]
	v_add_f64 v[64:65], v[54:55], v[52:53]
	s_mov_b32 s2, 0x54442d18
	v_add_f64 v[54:55], v[64:65], -v[54:55]
	s_mov_b32 s3, 0x3ff921fb
	v_add_f64 v[52:53], v[52:53], -v[54:55]
	v_mul_f64 v[54:55], v[64:65], s[2:3]
	v_fma_f64 v[66:67], v[64:65], s[2:3], -v[54:55]
	s_mov_b32 s11, 0x3c91a626
	v_fmac_f64_e32 v[66:67], s[10:11], v[64:65]
	v_fmac_f64_e32 v[66:67], s[2:3], v[52:53]
	v_add_f64 v[52:53], v[54:55], v[66:67]
	v_add_f64 v[54:55], v[52:53], -v[54:55]
	v_add_f64 v[54:55], v[66:67], -v[54:55]
	s_andn2_saveexec_b64 s[2:3], s[8:9]
	s_cbranch_execnz .LBB0_249
	s_branch .LBB0_250
.LBB0_248:
	s_andn2_saveexec_b64 s[2:3], s[8:9]
	s_cbranch_execz .LBB0_250
.LBB0_249:
	s_mov_b32 s8, 0x6dc9c883
	s_mov_b32 s9, 0x3fe45f30
	v_mul_f64 v[52:53], |v[34:35]|, s[8:9]
	s_mov_b32 s8, 0x54442d18
	v_rndne_f64_e32 v[64:65], v[52:53]
	s_mov_b32 s9, 0xbff921fb
	v_fma_f64 v[52:53], v[64:65], s[8:9], |v[34:35]|
	s_mov_b32 s9, 0xbc91a626
	s_mov_b32 s8, 0x33145c00
	v_mul_f64 v[66:67], v[64:65], s[8:9]
	v_add_f64 v[80:81], v[52:53], v[66:67]
	v_fma_f64 v[54:55], s[8:9], v[64:65], v[52:53]
	s_mov_b32 s9, 0x3c91a626
	v_add_f64 v[52:53], v[52:53], -v[80:81]
	v_fma_f64 v[68:69], s[8:9], v[64:65], v[66:67]
	v_add_f64 v[52:53], v[52:53], v[66:67]
	v_add_f64 v[66:67], v[80:81], -v[54:55]
	v_add_f64 v[52:53], v[66:67], v[52:53]
	s_mov_b32 s8, 0x252049c0
	v_add_f64 v[66:67], v[52:53], -v[68:69]
	s_mov_b32 s9, 0xb97b839a
	v_fmac_f64_e32 v[66:67], s[8:9], v[64:65]
	v_add_f64 v[52:53], v[54:55], v[66:67]
	v_add_f64 v[54:55], v[52:53], -v[54:55]
	v_add_f64 v[54:55], v[66:67], -v[54:55]
	v_cvt_i32_f64_e32 v71, v[64:65]
.LBB0_250:
	s_or_b64 exec, exec, s[2:3]
	s_mov_b32 s2, 0
	v_mul_f64 v[64:65], v[30:31], v[30:31]
	s_mov_b32 s3, 0x40390000
	v_div_scale_f64 v[66:67], s[8:9], v[64:65], v[64:65], s[2:3]
	v_rcp_f64_e32 v[68:69], v[66:67]
	v_mov_b32_e32 v84, 0xb1759c7f
	v_mov_b32_e32 v85, 0x408ac370
	;; [unrolled: 1-line block ×3, first 2 shown]
	v_fma_f64 v[80:81], -v[66:67], v[68:69], 1.0
	v_fmac_f64_e32 v[68:69], v[68:69], v[80:81]
	v_fma_f64 v[80:81], -v[66:67], v[68:69], 1.0
	v_fmac_f64_e32 v[68:69], v[68:69], v[80:81]
	v_div_scale_f64 v[80:81], vcc, s[2:3], v[64:65], s[2:3]
	v_mul_f64 v[82:83], v[80:81], v[68:69]
	v_fma_f64 v[66:67], -v[66:67], v[82:83], v[80:81]
	v_mov_b32_e32 v80, 0xab5454e3
	s_nop 0
	v_div_fmas_f64 v[66:67], v[66:67], v[68:69], v[82:83]
	v_div_fixup_f64 v[64:65], v[66:67], v[64:65], s[2:3]
	v_mov_b32_e32 v66, 0x983b6b27
	v_mov_b32_e32 v67, 0x3f4a1d30
	v_fmac_f64_e32 v[66:67], 0, v[64:65]
	v_mov_b32_e32 v68, 0xb35dd1cf
	v_mov_b32_e32 v69, 0x3fb534b0
	v_fmac_f64_e32 v[68:69], v[64:65], v[66:67]
	;; [unrolled: 3-line block ×7, first 2 shown]
	v_mov_b32_e32 v81, 0x3fb5ebc5
	v_fmac_f64_e32 v[80:81], v[64:65], v[66:67]
	v_mov_b32_e32 v66, 0xc9b3069f
	v_mov_b32_e32 v67, 0x3ff40e72
	v_fmac_f64_e32 v[66:67], v[64:65], v[80:81]
	v_mov_b32_e32 v80, 0xe68162bb
	;; [unrolled: 3-line block ×4, first 2 shown]
	v_mov_b32_e32 v81, 0x40153965
	v_fmac_f64_e32 v[80:81], v[64:65], v[66:67]
	v_fma_f64 v[66:67], v[64:65], v[80:81], 1.0
	v_mov_b32_e32 v80, 0x38a5384a
	v_mov_b32_e32 v81, 0xbf874742
	v_fmac_f64_e32 v[80:81], 0, v[64:65]
	v_mov_b32_e32 v82, 0x3a321174
	v_mov_b32_e32 v83, 0xbff4853b
	v_fmac_f64_e32 v[82:83], v[64:65], v[80:81]
	;; [unrolled: 3-line block ×9, first 2 shown]
	v_fmac_f64_e32 v[84:85], v[64:65], v[80:81]
	v_mov_b32_e32 v80, 0xbd748cb5
	v_mov_b32_e32 v81, 0x40ae54cd
	v_fmac_f64_e32 v[80:81], v[64:65], v[84:85]
	v_mov_b32_e32 v84, 0xbdefd63e
	v_mov_b32_e32 v85, 0x40bc4877
	;; [unrolled: 3-line block ×4, first 2 shown]
	v_fma_f64 v[68:69], v[64:65], v[68:69], 1.0
	v_fmac_f64_e32 v[84:85], v[64:65], v[80:81]
	v_div_scale_f64 v[80:81], s[2:3], v[66:67], v[66:67], v[68:69]
	v_rcp_f64_e32 v[86:87], v[80:81]
	v_mov_b32_e32 v97, 0x406e402f
	v_fmac_f64_e32 v[96:97], v[64:65], v[84:85]
	s_mov_b32 s2, 0x9037ab78
	v_fma_f64 v[64:65], -v[80:81], v[86:87], 1.0
	v_fmac_f64_e32 v[86:87], v[86:87], v[64:65]
	v_fma_f64 v[64:65], -v[80:81], v[86:87], 1.0
	v_fmac_f64_e32 v[86:87], v[86:87], v[64:65]
	v_div_scale_f64 v[64:65], vcc, v[68:69], v[66:67], v[68:69]
	v_mul_f64 v[84:85], v[64:65], v[86:87]
	v_fma_f64 v[64:65], -v[80:81], v[84:85], v[64:65]
	s_mov_b32 s3, 0x3e21eeb6
	s_nop 0
	v_div_fmas_f64 v[64:65], v[64:65], v[86:87], v[84:85]
	s_mov_b32 s8, 0x46cc5e42
	v_div_fixup_f64 v[64:65], v[64:65], v[66:67], v[68:69]
	v_mul_f64 v[66:67], v[48:49], v[48:49]
	s_mov_b32 s9, 0xbda907db
	v_mov_b64_e32 v[86:87], s[2:3]
	s_mov_b32 s10, 0xa17f65f6
	v_mul_f64 v[68:69], v[66:67], 0.5
	v_fma_f64 v[98:99], s[8:9], v[66:67], v[86:87]
	s_mov_b32 s11, 0xbe927e4f
	s_mov_b32 s12, 0x19f4ec90
	v_add_f64 v[80:81], -v[68:69], 1.0
	v_fma_f64 v[98:99], v[66:67], v[98:99], s[10:11]
	s_mov_b32 s13, 0x3efa01a0
	s_mov_b32 s14, 0x16c16967
	v_add_f64 v[84:85], -v[80:81], 1.0
	v_fma_f64 v[98:99], v[66:67], v[98:99], s[12:13]
	s_mov_b32 s15, 0xbf56c16c
	s_mov_b32 s16, 0x55555555
	v_add_f64 v[68:69], v[84:85], -v[68:69]
	v_fma_f64 v[98:99], v[66:67], v[98:99], s[14:15]
	s_mov_b32 s17, 0x3fa55555
	v_mul_f64 v[84:85], v[66:67], v[66:67]
	v_fma_f64 v[98:99], v[66:67], v[98:99], s[16:17]
	v_fma_f64 v[68:69], v[48:49], -v[50:51], v[68:69]
	s_mov_b32 s2, 0xb42fdfa7
	v_fmac_f64_e32 v[68:69], v[84:85], v[98:99]
	s_mov_b32 s3, 0xbe5ae600
	s_mov_b32 s18, 0xf9a43bb8
	v_add_f64 v[68:69], v[80:81], v[68:69]
	s_mov_b32 s19, 0x3de5e0b2
	v_mov_b64_e32 v[80:81], s[2:3]
	s_mov_b32 s22, 0x796cde01
	v_fma_f64 v[84:85], s[18:19], v[66:67], v[80:81]
	s_mov_b32 s23, 0x3ec71de3
	s_mov_b32 s24, 0x19e83e5c
	v_fma_f64 v[84:85], v[66:67], v[84:85], s[22:23]
	s_mov_b32 s25, 0xbf2a01a0
	;; [unrolled: 3-line block ×3, first 2 shown]
	v_fma_f64 v[84:85], v[66:67], v[84:85], s[26:27]
	v_mul_f64 v[98:99], v[48:49], -v[66:67]
	v_mul_f64 v[100:101], v[50:51], 0.5
	v_fmac_f64_e32 v[100:101], v[98:99], v[84:85]
	v_fma_f64 v[50:51], v[66:67], v[100:101], -v[50:51]
	s_mov_b32 s29, 0xbfc55555
	s_mov_b32 s28, s16
	v_fmac_f64_e32 v[50:51], s[28:29], v[98:99]
	v_add_f64 v[48:49], v[48:49], -v[50:51]
	v_and_b32_e32 v50, 1, v7
	v_lshlrev_b32_e32 v7, 30, v7
	v_cmp_eq_u32_e32 vcc, 0, v50
	v_xor_b32_e32 v7, v7, v35
	s_mov_b32 s30, 0
	v_cndmask_b32_e32 v66, v68, v48, vcc
	v_cndmask_b32_e32 v48, v69, v49, vcc
	v_and_b32_e32 v7, 0x80000000, v7
	s_mov_b32 s31, 0x40140000
	v_xor_b32_e32 v7, v48, v7
	v_div_scale_f64 v[48:49], s[2:3], v[30:31], v[30:31], s[30:31]
	v_rcp_f64_e32 v[50:51], v[48:49]
	s_movk_i32 s21, 0x1f8
	v_cmp_class_f64_e64 s[2:3], v[34:35], s21
	v_mov_b32_e32 v98, 0x7ff80000
	s_nop 0
	v_cndmask_b32_e64 v34, 0, v66, s[2:3]
	v_fma_f64 v[66:67], -v[48:49], v[50:51], 1.0
	v_fmac_f64_e32 v[50:51], v[50:51], v[66:67]
	v_fma_f64 v[66:67], -v[48:49], v[50:51], 1.0
	v_fmac_f64_e32 v[50:51], v[50:51], v[66:67]
	v_div_scale_f64 v[66:67], vcc, s[30:31], v[30:31], s[30:31]
	v_mul_f64 v[68:69], v[66:67], v[50:51]
	v_fma_f64 v[48:49], -v[48:49], v[68:69], v[66:67]
	v_div_scale_f64 v[66:67], s[34:35], v[96:97], v[96:97], v[82:83]
	v_rcp_f64_e32 v[84:85], v[66:67]
	v_div_fmas_f64 v[48:49], v[48:49], v[50:51], v[68:69]
	v_div_fixup_f64 v[48:49], v[48:49], v[30:31], s[30:31]
	v_cndmask_b32_e64 v35, v98, v7, s[2:3]
	v_fma_f64 v[50:51], -v[66:67], v[84:85], 1.0
	v_fmac_f64_e32 v[84:85], v[84:85], v[50:51]
	v_fma_f64 v[50:51], -v[66:67], v[84:85], 1.0
	v_fmac_f64_e32 v[84:85], v[84:85], v[50:51]
	v_div_scale_f64 v[50:51], vcc, v[82:83], v[96:97], v[82:83]
	v_mul_f64 v[68:69], v[50:51], v[84:85]
	v_fma_f64 v[50:51], -v[66:67], v[68:69], v[50:51]
	s_nop 1
	v_div_fmas_f64 v[50:51], v[50:51], v[84:85], v[68:69]
	v_div_fixup_f64 v[50:51], v[50:51], v[96:97], v[82:83]
	v_mul_f64 v[48:49], v[48:49], v[50:51]
	v_mul_f64 v[50:51], v[52:53], v[52:53]
	v_mul_f64 v[66:67], v[50:51], 0.5
	v_fmac_f64_e32 v[86:87], s[8:9], v[50:51]
	v_add_f64 v[68:69], -v[66:67], 1.0
	v_fma_f64 v[84:85], v[50:51], v[86:87], s[10:11]
	v_add_f64 v[82:83], -v[68:69], 1.0
	v_fma_f64 v[84:85], v[50:51], v[84:85], s[12:13]
	v_add_f64 v[66:67], v[82:83], -v[66:67]
	v_fma_f64 v[84:85], v[50:51], v[84:85], s[14:15]
	v_mul_f64 v[82:83], v[50:51], v[50:51]
	v_fma_f64 v[84:85], v[50:51], v[84:85], s[16:17]
	v_fma_f64 v[66:67], v[52:53], -v[54:55], v[66:67]
	v_fmac_f64_e32 v[66:67], v[82:83], v[84:85]
	v_fmac_f64_e32 v[80:81], s[18:19], v[50:51]
	v_add_f64 v[66:67], v[68:69], v[66:67]
	v_fma_f64 v[68:69], v[50:51], v[80:81], s[22:23]
	v_fma_f64 v[68:69], v[50:51], v[68:69], s[24:25]
	;; [unrolled: 1-line block ×3, first 2 shown]
	v_mul_f64 v[80:81], v[52:53], -v[50:51]
	v_mul_f64 v[82:83], v[54:55], 0.5
	v_fmac_f64_e32 v[82:83], v[80:81], v[68:69]
	v_fma_f64 v[50:51], v[50:51], v[82:83], -v[54:55]
	v_fmac_f64_e32 v[50:51], s[28:29], v[80:81]
	v_add_f64 v[50:51], v[52:53], -v[50:51]
	v_xor_b32_e32 v7, 0x80000000, v51
	v_and_b32_e32 v51, 1, v71
	v_cmp_eq_u32_e32 vcc, 0, v51
	v_lshlrev_b32_e32 v51, 30, v71
	v_and_b32_e32 v51, 0x80000000, v51
	v_cndmask_b32_e32 v7, v7, v67, vcc
	v_cndmask_b32_e32 v50, v50, v66, vcc
	v_xor_b32_e32 v7, v7, v51
	v_cndmask_b32_e64 v50, 0, v50, s[2:3]
	v_cndmask_b32_e64 v51, v98, v7, s[2:3]
	s_mov_b32 s2, 0
	s_brev_b32 s3, 8
	v_cmp_gt_f64_e32 vcc, s[2:3], v[30:31]
	v_mul_f64 v[48:49], v[48:49], v[50:51]
	v_fmac_f64_e32 v[48:49], v[64:65], v[34:35]
	v_cndmask_b32_e64 v7, 0, 1, vcc
	v_lshlrev_b32_e32 v7, 8, v7
	v_ldexp_f64 v[30:31], v[30:31], v7
	v_rsq_f64_e32 v[34:35], v[30:31]
	v_mov_b32_e32 v7, 0xffffff80
	v_cndmask_b32_e32 v7, 0, v7, vcc
	s_mov_b32 s2, 0x33d43651
	v_mul_f64 v[50:51], v[30:31], v[34:35]
	v_mul_f64 v[34:35], v[34:35], 0.5
	v_fma_f64 v[52:53], -v[34:35], v[50:51], 0.5
	v_fmac_f64_e32 v[50:51], v[50:51], v[52:53]
	v_fma_f64 v[54:55], -v[50:51], v[50:51], v[30:31]
	v_fmac_f64_e32 v[34:35], v[34:35], v[52:53]
	v_fmac_f64_e32 v[50:51], v[54:55], v[34:35]
	v_fma_f64 v[52:53], -v[50:51], v[50:51], v[30:31]
	v_fmac_f64_e32 v[50:51], v[52:53], v[34:35]
	v_ldexp_f64 v[34:35], v[50:51], v7
	v_mov_b32_e32 v7, 0x260
	s_mov_b32 s3, 0x3fe98845
	v_cmp_class_f64_e32 vcc, v[30:31], v7
	v_mul_f64 v[48:49], v[48:49], s[2:3]
	s_nop 0
	v_cndmask_b32_e32 v31, v35, v31, vcc
	v_cndmask_b32_e32 v30, v34, v30, vcc
	v_div_scale_f64 v[34:35], s[2:3], v[30:31], v[30:31], v[48:49]
	v_rcp_f64_e32 v[50:51], v[34:35]
	s_nop 0
	v_fma_f64 v[52:53], -v[34:35], v[50:51], 1.0
	v_fmac_f64_e32 v[50:51], v[50:51], v[52:53]
	v_fma_f64 v[52:53], -v[34:35], v[50:51], 1.0
	v_fmac_f64_e32 v[50:51], v[50:51], v[52:53]
	v_div_scale_f64 v[52:53], vcc, v[48:49], v[30:31], v[48:49]
	v_mul_f64 v[54:55], v[52:53], v[50:51]
	v_fma_f64 v[34:35], -v[34:35], v[54:55], v[52:53]
	s_nop 1
	v_div_fmas_f64 v[34:35], v[34:35], v[50:51], v[54:55]
	v_div_fixup_f64 v[34:35], v[34:35], v[30:31], v[48:49]
.LBB0_251:
	s_or_b64 exec, exec, s[6:7]
.LBB0_252:
	s_or_b64 exec, exec, s[4:5]
	v_add_u32_e32 v7, 0xa00, v5
	v_cmp_lt_i32_e32 vcc, v7, v4
                                        ; implicit-def: $vgpr30_vgpr31
	s_and_saveexec_b64 s[4:5], vcc
	s_cbranch_execz .LBB0_274
; %bb.253:
	s_mov_b32 s2, 0
	s_mov_b32 s3, 0x40140000
	s_waitcnt vmcnt(0) lgkmcnt(0)
	v_cmp_ge_f64_e32 vcc, s[2:3], v[26:27]
                                        ; implicit-def: $vgpr30_vgpr31
	s_and_saveexec_b64 s[2:3], vcc
	s_xor_b64 s[2:3], exec, s[2:3]
	s_cbranch_execz .LBB0_263
; %bb.254:
	v_mov_b32_e32 v30, 0
	v_cmp_neq_f64_e32 vcc, 0, v[26:27]
	v_mov_b32_e32 v31, 0xfff00000
	s_and_saveexec_b64 s[6:7], vcc
	s_cbranch_execz .LBB0_262
; %bb.255:
	v_mov_b32_e32 v30, 0
	v_cmp_ngt_f64_e32 vcc, 0, v[26:27]
	v_mov_b32_e32 v31, 0x7ff80000
	s_and_saveexec_b64 s[8:9], vcc
	s_cbranch_execz .LBB0_261
; %bb.256:
	s_mov_b32 s10, 0x88e368f1
	v_mul_f64 v[30:31], v[26:27], v[26:27]
	s_mov_b32 s11, 0x3ee4f8b5
	v_mul_f64 v[50:51], v[30:31], 0
	v_cmp_ngt_f64_e32 vcc, s[10:11], v[26:27]
                                        ; implicit-def: $vgpr48_vgpr49
	s_and_saveexec_b64 s[10:11], vcc
	s_xor_b64 s[10:11], exec, s[10:11]
	s_cbranch_execz .LBB0_258
; %bb.257:
	s_mov_b32 s12, 0xad1c8325
	s_mov_b32 s13, 0xc1f1dc53
	v_add_f64 v[48:49], v[50:51], s[12:13]
	v_mov_b32_e32 v52, 0xc772990d
	v_mov_b32_e32 v53, 0x427c7751
	s_mov_b32 s12, 0xa696b78c
	v_fmac_f64_e32 v[52:53], v[30:31], v[48:49]
	v_mov_b32_e32 v48, 0xe0d900f7
	v_mov_b32_e32 v49, 0xc2ec5614
	s_mov_b32 s13, 0x407f3902
	v_fmac_f64_e32 v[48:49], v[30:31], v[52:53]
	v_add_f64 v[52:53], v[50:51], s[12:13]
	v_mov_b32_e32 v54, 0x36a21a67
	v_mov_b32_e32 v55, 0x410536cb
	v_fmac_f64_e32 v[54:55], v[30:31], v[52:53]
	v_mov_b32_e32 v52, 0x2eac0634
	v_mov_b32_e32 v53, 0x41871934
	v_fmac_f64_e32 v[52:53], v[30:31], v[54:55]
	;; [unrolled: 3-line block ×6, first 2 shown]
	v_mov_b32_e32 v54, 0xc7b662cc
	v_mov_b32_e32 v55, 0x43b7be34
	s_mov_b32 s12, 0x80462bbb
	v_fmac_f64_e32 v[54:55], v[30:31], v[52:53]
	v_mov_b32_e32 v52, 0x69ff5fb4
	v_mov_b32_e32 v53, 0x43413ef8
	s_mov_b32 s13, 0xc01721fb
	v_fmac_f64_e32 v[52:53], v[30:31], v[48:49]
	v_add_f64 v[48:49], v[30:31], s[12:13]
	s_mov_b32 s12, 0xa621dd6f
	s_mov_b32 s13, 0xc03e78a4
	v_add_f64 v[64:65], v[30:31], s[12:13]
	v_mul_f64 v[48:49], v[48:49], v[64:65]
	v_mul_f64 v[48:49], v[48:49], v[52:53]
	v_div_scale_f64 v[52:53], s[12:13], v[54:55], v[54:55], v[48:49]
	v_rcp_f64_e32 v[64:65], v[52:53]
	s_nop 0
	v_fma_f64 v[66:67], -v[52:53], v[64:65], 1.0
	v_fmac_f64_e32 v[64:65], v[64:65], v[66:67]
	v_fma_f64 v[66:67], -v[52:53], v[64:65], 1.0
	v_fmac_f64_e32 v[64:65], v[64:65], v[66:67]
	v_div_scale_f64 v[66:67], vcc, v[48:49], v[54:55], v[48:49]
	v_mul_f64 v[68:69], v[66:67], v[64:65]
	v_fma_f64 v[52:53], -v[52:53], v[68:69], v[66:67]
	s_nop 1
	v_div_fmas_f64 v[52:53], v[52:53], v[64:65], v[68:69]
	v_div_fixup_f64 v[48:49], v[52:53], v[54:55], v[48:49]
.LBB0_258:
	s_andn2_saveexec_b64 s[10:11], s[10:11]
; %bb.259:
	s_mov_b32 s12, 0
	s_mov_b32 s13, 0xbfd00000
	v_fma_f64 v[48:49], v[30:31], s[12:13], 1.0
; %bb.260:
	s_or_b64 exec, exec, s[10:11]
	s_mov_b32 s10, 0xe896898f
	s_mov_b32 s11, 0x40ce7437
	v_add_f64 v[52:53], v[50:51], s[10:11]
	v_mov_b32_e32 v54, 0x32e48896
	v_mov_b32_e32 v55, 0xc16bf81f
	v_fmac_f64_e32 v[54:55], v[30:31], v[52:53]
	v_mov_b32_e32 v52, 0xf0284cdd
	v_mov_b32_e32 v53, 0x41f43f78
	v_fmac_f64_e32 v[52:53], v[30:31], v[54:55]
	;; [unrolled: 3-line block ×4, first 2 shown]
	v_mov_b32_e32 v54, 0xd1d8cc02
	v_mov_b32_e32 v55, 0xc328a121
	s_mov_b32 s10, 0x576dfcb6
	v_fmac_f64_e32 v[54:55], v[30:31], v[52:53]
	v_mov_b32_e32 v52, 0x660b4003
	v_mov_b32_e32 v53, 0x4363a94b
	s_mov_b32 s11, 0x40904522
	v_fmac_f64_e32 v[52:53], v[30:31], v[54:55]
	v_add_f64 v[50:51], v[50:51], s[10:11]
	v_mov_b32_e32 v54, 0xa907bc0c
	v_mov_b32_e32 v55, 0x41231b76
	v_fmac_f64_e32 v[54:55], v[30:31], v[50:51]
	v_mov_b32_e32 v50, 0x5164d101
	v_mov_b32_e32 v51, 0x41b00763
	v_fmac_f64_e32 v[50:51], v[30:31], v[54:55]
	v_mov_b32_e32 v54, 0x2b8664bc
	v_mov_b32_e32 v55, 0x42341ddb
	v_fmac_f64_e32 v[54:55], v[30:31], v[50:51]
	v_mov_b32_e32 v50, 0xc57e828e
	v_mov_b32_e32 v51, 0x42b275fc
	v_fmac_f64_e32 v[50:51], v[30:31], v[54:55]
	v_mov_b32_e32 v54, 0xdfeb596d
	v_mov_b32_e32 v55, 0x43268910
	v_fmac_f64_e32 v[54:55], v[30:31], v[50:51]
	v_mov_b32_e32 v50, 0xbcf9b5d0
	v_mov_b32_e32 v51, 0x438bd25f
	v_fmac_f64_e32 v[50:51], v[30:31], v[54:55]
	v_mov_b32_e32 v54, 0x5906367b
	v_mov_b32_e32 v55, 0xc3506d4b
	v_fmac_f64_e32 v[54:55], v[30:31], v[52:53]
	v_div_scale_f64 v[30:31], s[10:11], v[50:51], v[50:51], v[54:55]
	v_rcp_f64_e32 v[52:53], v[30:31]
	s_mov_b32 s10, 0x55555555
	v_frexp_exp_i32_f64_e32 v7, v[26:27]
	v_frexp_mant_f64_e32 v[26:27], v[26:27]
	v_fma_f64 v[64:65], -v[30:31], v[52:53], 1.0
	v_fmac_f64_e32 v[52:53], v[52:53], v[64:65]
	v_fma_f64 v[64:65], -v[30:31], v[52:53], 1.0
	v_fmac_f64_e32 v[52:53], v[52:53], v[64:65]
	v_div_scale_f64 v[64:65], vcc, v[54:55], v[50:51], v[54:55]
	v_mul_f64 v[66:67], v[64:65], v[52:53]
	v_fma_f64 v[30:31], -v[30:31], v[66:67], v[64:65]
	s_mov_b32 s11, 0x3fe55555
	s_nop 0
	v_div_fmas_f64 v[30:31], v[30:31], v[52:53], v[66:67]
	v_div_fixup_f64 v[30:31], v[30:31], v[50:51], v[54:55]
	v_mov_b32_e32 v50, 0x3ff00000
	v_cmp_gt_f64_e32 vcc, s[10:11], v[26:27]
	s_mov_b32 s10, 0xbf559e2b
	s_mov_b32 s11, 0x3fc3ab76
	v_cndmask_b32_e64 v51, v50, 2.0, vcc
	v_mov_b32_e32 v50, 0
	v_mul_f64 v[26:27], v[26:27], v[50:51]
	v_add_f64 v[50:51], v[26:27], 1.0
	v_rcp_f64_e32 v[52:53], v[50:51]
	v_add_f64 v[64:65], v[50:51], -1.0
	v_add_f64 v[54:55], v[26:27], -1.0
	v_add_f64 v[26:27], v[26:27], -v[64:65]
	v_fma_f64 v[64:65], -v[50:51], v[52:53], 1.0
	v_fmac_f64_e32 v[52:53], v[64:65], v[52:53]
	v_fma_f64 v[64:65], -v[50:51], v[52:53], 1.0
	v_fmac_f64_e32 v[52:53], v[64:65], v[52:53]
	v_mul_f64 v[64:65], v[54:55], v[52:53]
	v_mul_f64 v[66:67], v[50:51], v[64:65]
	v_fma_f64 v[50:51], v[64:65], v[50:51], -v[66:67]
	v_fmac_f64_e32 v[50:51], v[64:65], v[26:27]
	v_add_f64 v[26:27], v[66:67], v[50:51]
	v_add_f64 v[68:69], v[54:55], -v[26:27]
	v_add_f64 v[66:67], v[26:27], -v[66:67]
	;; [unrolled: 1-line block ×5, first 2 shown]
	v_add_f64 v[26:27], v[50:51], v[26:27]
	v_add_f64 v[26:27], v[68:69], v[26:27]
	v_mul_f64 v[26:27], v[52:53], v[26:27]
	v_add_f64 v[50:51], v[64:65], v[26:27]
	v_add_f64 v[52:53], v[50:51], -v[64:65]
	v_add_f64 v[26:27], v[26:27], -v[52:53]
	v_mul_f64 v[52:53], v[50:51], v[50:51]
	v_mov_b32_e32 v54, 0x6b47b09a
	v_mov_b32_e32 v55, 0x3fc38538
	v_fmac_f64_e32 v[54:55], s[10:11], v[52:53]
	v_mov_b32_e32 v64, 0xd7f4df2e
	v_mov_b32_e32 v65, 0x3fc7474d
	v_fmac_f64_e32 v[64:65], v[52:53], v[54:55]
	;; [unrolled: 3-line block ×6, first 2 shown]
	v_ldexp_f64 v[54:55], v[50:51], 1
	v_mul_f64 v[50:51], v[50:51], v[52:53]
	v_mul_f64 v[50:51], v[50:51], v[64:65]
	v_add_f64 v[52:53], v[54:55], v[50:51]
	v_add_f64 v[54:55], v[52:53], -v[54:55]
	v_ldexp_f64 v[26:27], v[26:27], 1
	v_add_f64 v[50:51], v[50:51], -v[54:55]
	v_add_f64 v[26:27], v[26:27], v[50:51]
	v_add_f64 v[50:51], v[52:53], v[26:27]
	v_subbrev_co_u32_e32 v7, vcc, 0, v7, vcc
	v_add_f64 v[52:53], v[50:51], -v[52:53]
	s_mov_b32 s10, 0xfefa39ef
	v_add_f64 v[26:27], v[26:27], -v[52:53]
	v_cvt_f64_i32_e32 v[52:53], v7
	s_mov_b32 s11, 0x3fe62e42
	v_mul_f64 v[54:55], v[52:53], s[10:11]
	v_fma_f64 v[64:65], v[52:53], s[10:11], -v[54:55]
	s_mov_b32 s10, 0x3b39803f
	s_mov_b32 s11, 0x3c7abc9e
	v_fmac_f64_e32 v[64:65], s[10:11], v[52:53]
	v_add_f64 v[52:53], v[54:55], v[64:65]
	v_add_f64 v[54:55], v[52:53], -v[54:55]
	v_add_f64 v[54:55], v[64:65], -v[54:55]
	v_add_f64 v[64:65], v[52:53], v[50:51]
	v_add_f64 v[66:67], v[64:65], -v[52:53]
	v_add_f64 v[68:69], v[64:65], -v[66:67]
	;; [unrolled: 1-line block ×4, first 2 shown]
	v_add_f64 v[50:51], v[50:51], v[52:53]
	v_add_f64 v[52:53], v[54:55], v[26:27]
	v_add_f64 v[66:67], v[52:53], -v[54:55]
	v_add_f64 v[68:69], v[52:53], -v[66:67]
	v_add_f64 v[50:51], v[52:53], v[50:51]
	v_add_f64 v[54:55], v[54:55], -v[68:69]
	v_add_f64 v[26:27], v[26:27], -v[66:67]
	v_add_f64 v[52:53], v[64:65], v[50:51]
	v_add_f64 v[26:27], v[26:27], v[54:55]
	v_add_f64 v[54:55], v[52:53], -v[64:65]
	v_add_f64 v[50:51], v[50:51], -v[54:55]
	v_add_f64 v[26:27], v[26:27], v[50:51]
	s_mov_b32 s10, 0x6dc9c883
	v_add_f64 v[26:27], v[52:53], v[26:27]
	s_mov_b32 s11, 0x3fe45f30
	v_mul_f64 v[26:27], v[26:27], s[10:11]
	v_fmac_f64_e32 v[30:31], v[26:27], v[48:49]
.LBB0_261:
	s_or_b64 exec, exec, s[8:9]
.LBB0_262:
	s_or_b64 exec, exec, s[6:7]
                                        ; implicit-def: $vgpr26_vgpr27
.LBB0_263:
	s_andn2_saveexec_b64 s[6:7], s[2:3]
	s_cbranch_execz .LBB0_273
; %bb.264:
	s_mov_b32 s11, 0xbfe921fb
	s_mov_b32 s10, 0x54442d18
	s_mov_b32 s2, 0
	v_add_f64 v[30:31], v[26:27], s[10:11]
	s_mov_b32 s3, 0x41d00000
	v_cmp_nlt_f64_e64 s[8:9], |v[30:31]|, s[2:3]
	v_trig_preop_f64 v[68:69], |v[30:31]|, 0
	v_trig_preop_f64 v[66:67], |v[30:31]|, 1
	;; [unrolled: 1-line block ×3, first 2 shown]
                                        ; implicit-def: $vgpr7
                                        ; implicit-def: $vgpr48_vgpr49
                                        ; implicit-def: $vgpr50_vgpr51
	s_and_saveexec_b64 s[2:3], s[8:9]
	s_xor_b64 s[12:13], exec, s[2:3]
	s_cbranch_execz .LBB0_266
; %bb.265:
	s_mov_b32 s2, 0
	s_mov_b32 s3, 0x7b000000
	s_movk_i32 s11, 0xff80
	v_and_b32_e32 v7, 0x7fffffff, v31
	v_ldexp_f64 v[48:49], |v[30:31]|, s11
	v_cmp_ge_f64_e64 vcc, |v[30:31]|, s[2:3]
	s_mov_b32 s2, 0
	s_mov_b32 s3, 0x7ff00000
	v_cndmask_b32_e32 v49, v7, v49, vcc
	v_cndmask_b32_e32 v48, v30, v48, vcc
	v_mul_f64 v[52:53], v[68:69], v[48:49]
	v_mul_f64 v[50:51], v[66:67], v[48:49]
	v_fma_f64 v[54:55], v[68:69], v[48:49], -v[52:53]
	v_add_f64 v[80:81], v[50:51], v[54:55]
	v_add_f64 v[82:83], v[52:53], v[80:81]
	v_ldexp_f64 v[84:85], v[82:83], -2
	v_fract_f64_e32 v[86:87], v[84:85]
	v_cmp_neq_f64_e64 vcc, |v[84:85]|, s[2:3]
	v_add_f64 v[52:53], v[82:83], -v[52:53]
	v_add_f64 v[52:53], v[80:81], -v[52:53]
	v_cndmask_b32_e32 v85, 0, v87, vcc
	v_cndmask_b32_e32 v84, 0, v86, vcc
	v_add_f64 v[86:87], v[80:81], -v[50:51]
	v_add_f64 v[54:55], v[54:55], -v[86:87]
	;; [unrolled: 1-line block ×4, first 2 shown]
	v_add_f64 v[54:55], v[54:55], v[86:87]
	v_fma_f64 v[50:51], v[66:67], v[48:49], -v[50:51]
	v_mul_f64 v[86:87], v[64:65], v[48:49]
	v_add_f64 v[98:99], v[86:87], v[50:51]
	v_add_f64 v[100:101], v[98:99], v[54:55]
	v_add_f64 v[82:83], v[100:101], -v[98:99]
	v_add_f64 v[54:55], v[54:55], -v[82:83]
	;; [unrolled: 1-line block ×4, first 2 shown]
	v_add_f64 v[54:55], v[54:55], v[82:83]
	v_add_f64 v[82:83], v[98:99], -v[86:87]
	v_add_f64 v[50:51], v[50:51], -v[82:83]
	;; [unrolled: 1-line block ×4, first 2 shown]
	v_add_f64 v[80:81], v[52:53], v[100:101]
	v_add_f64 v[50:51], v[50:51], v[82:83]
	v_add_f64 v[52:53], v[80:81], -v[52:53]
	v_add_f64 v[50:51], v[50:51], v[54:55]
	v_fma_f64 v[48:49], v[64:65], v[48:49], -v[86:87]
	v_add_f64 v[52:53], v[100:101], -v[52:53]
	v_add_f64 v[48:49], v[48:49], v[50:51]
	v_ldexp_f64 v[50:51], v[84:85], 2
	v_add_f64 v[48:49], v[52:53], v[48:49]
	v_add_f64 v[52:53], v[80:81], v[50:51]
	v_mov_b32_e32 v7, 0x40100000
	v_cmp_gt_f64_e32 vcc, 0, v[52:53]
	v_mov_b32_e32 v96, 0
	s_mov_b32 s11, 0x3ff921fb
	v_cndmask_b32_e32 v97, 0, v7, vcc
	v_add_f64 v[50:51], v[50:51], v[96:97]
	v_add_f64 v[52:53], v[80:81], v[50:51]
	v_cvt_i32_f64_e32 v7, v[52:53]
	v_cvt_f64_i32_e32 v[52:53], v7
	v_add_f64 v[50:51], v[50:51], -v[52:53]
	v_add_f64 v[52:53], v[80:81], v[50:51]
	v_add_f64 v[50:51], v[52:53], -v[50:51]
	v_add_f64 v[50:51], v[80:81], -v[50:51]
	v_add_f64 v[48:49], v[48:49], v[50:51]
	v_cmp_le_f64_e32 vcc, 0.5, v[52:53]
	v_mov_b32_e32 v50, 0x3ff00000
	s_nop 0
	v_cndmask_b32_e32 v97, 0, v50, vcc
	v_add_f64 v[50:51], v[52:53], -v[96:97]
	v_add_f64 v[52:53], v[50:51], v[48:49]
	v_addc_co_u32_e64 v7, s[2:3], 0, v7, vcc
	v_add_f64 v[50:51], v[52:53], -v[50:51]
	v_add_f64 v[48:49], v[48:49], -v[50:51]
	v_mul_f64 v[50:51], v[52:53], s[10:11]
	s_mov_b32 s2, 0x33145c07
	v_fma_f64 v[54:55], v[52:53], s[10:11], -v[50:51]
	s_mov_b32 s3, 0x3c91a626
	v_fmac_f64_e32 v[54:55], s[2:3], v[52:53]
	v_fmac_f64_e32 v[54:55], s[10:11], v[48:49]
	v_add_f64 v[48:49], v[50:51], v[54:55]
	v_add_f64 v[50:51], v[48:49], -v[50:51]
	v_add_f64 v[50:51], v[54:55], -v[50:51]
	s_andn2_saveexec_b64 s[2:3], s[12:13]
	s_cbranch_execz .LBB0_268
	s_branch .LBB0_267
.LBB0_266:
	s_andn2_saveexec_b64 s[2:3], s[12:13]
	s_cbranch_execz .LBB0_268
.LBB0_267:
	s_mov_b32 s10, 0x6dc9c883
	s_mov_b32 s11, 0x3fe45f30
	v_mul_f64 v[48:49], |v[30:31]|, s[10:11]
	s_mov_b32 s10, 0x54442d18
	v_rndne_f64_e32 v[52:53], v[48:49]
	s_mov_b32 s11, 0xbff921fb
	v_fma_f64 v[48:49], v[52:53], s[10:11], |v[30:31]|
	s_mov_b32 s11, 0xbc91a626
	s_mov_b32 s10, 0x33145c00
	v_mul_f64 v[54:55], v[52:53], s[10:11]
	v_add_f64 v[82:83], v[48:49], v[54:55]
	v_fma_f64 v[50:51], s[10:11], v[52:53], v[48:49]
	s_mov_b32 s11, 0x3c91a626
	v_add_f64 v[48:49], v[48:49], -v[82:83]
	v_fma_f64 v[80:81], s[10:11], v[52:53], v[54:55]
	v_add_f64 v[48:49], v[48:49], v[54:55]
	v_add_f64 v[54:55], v[82:83], -v[50:51]
	v_add_f64 v[48:49], v[54:55], v[48:49]
	s_mov_b32 s10, 0x252049c0
	v_add_f64 v[54:55], v[48:49], -v[80:81]
	s_mov_b32 s11, 0xb97b839a
	v_fmac_f64_e32 v[54:55], s[10:11], v[52:53]
	v_add_f64 v[48:49], v[50:51], v[54:55]
	v_add_f64 v[50:51], v[48:49], -v[50:51]
	v_add_f64 v[50:51], v[54:55], -v[50:51]
	v_cvt_i32_f64_e32 v7, v[52:53]
.LBB0_268:
	s_or_b64 exec, exec, s[2:3]
                                        ; implicit-def: $vgpr71
                                        ; implicit-def: $vgpr52_vgpr53
                                        ; implicit-def: $vgpr54_vgpr55
	s_and_saveexec_b64 s[2:3], s[8:9]
	s_xor_b64 s[8:9], exec, s[2:3]
	s_cbranch_execz .LBB0_270
; %bb.269:
	s_mov_b32 s2, 0
	s_mov_b32 s3, 0x7b000000
	s_movk_i32 s10, 0xff80
	v_and_b32_e32 v54, 0x7fffffff, v31
	v_ldexp_f64 v[52:53], |v[30:31]|, s10
	v_cmp_ge_f64_e64 vcc, |v[30:31]|, s[2:3]
	s_mov_b32 s2, 0
	s_mov_b32 s3, 0x7ff00000
	v_cndmask_b32_e32 v53, v54, v53, vcc
	v_cndmask_b32_e32 v52, v30, v52, vcc
	v_mul_f64 v[80:81], v[68:69], v[52:53]
	v_mul_f64 v[54:55], v[66:67], v[52:53]
	v_fma_f64 v[68:69], v[68:69], v[52:53], -v[80:81]
	v_add_f64 v[82:83], v[54:55], v[68:69]
	v_add_f64 v[84:85], v[80:81], v[82:83]
	v_ldexp_f64 v[86:87], v[84:85], -2
	v_fract_f64_e32 v[96:97], v[86:87]
	v_cmp_neq_f64_e64 vcc, |v[86:87]|, s[2:3]
	v_add_f64 v[80:81], v[84:85], -v[80:81]
	v_add_f64 v[80:81], v[82:83], -v[80:81]
	v_cndmask_b32_e32 v87, 0, v97, vcc
	v_cndmask_b32_e32 v86, 0, v96, vcc
	v_add_f64 v[96:97], v[82:83], -v[54:55]
	v_add_f64 v[68:69], v[68:69], -v[96:97]
	;; [unrolled: 1-line block ×4, first 2 shown]
	v_fma_f64 v[54:55], v[66:67], v[52:53], -v[54:55]
	v_mul_f64 v[66:67], v[64:65], v[52:53]
	v_add_f64 v[68:69], v[68:69], v[96:97]
	v_add_f64 v[96:97], v[66:67], v[54:55]
	;; [unrolled: 1-line block ×3, first 2 shown]
	v_add_f64 v[84:85], v[100:101], -v[96:97]
	v_add_f64 v[68:69], v[68:69], -v[84:85]
	v_add_f64 v[84:85], v[100:101], -v[84:85]
	v_add_f64 v[84:85], v[96:97], -v[84:85]
	v_add_f64 v[68:69], v[68:69], v[84:85]
	v_add_f64 v[84:85], v[96:97], -v[66:67]
	v_add_f64 v[54:55], v[54:55], -v[84:85]
	;; [unrolled: 1-line block ×4, first 2 shown]
	v_add_f64 v[54:55], v[54:55], v[84:85]
	v_add_f64 v[54:55], v[54:55], v[68:69]
	v_fma_f64 v[52:53], v[64:65], v[52:53], -v[66:67]
	v_add_f64 v[82:83], v[80:81], v[100:101]
	v_add_f64 v[52:53], v[52:53], v[54:55]
	v_ldexp_f64 v[54:55], v[86:87], 2
	v_add_f64 v[64:65], v[82:83], v[54:55]
	v_mov_b32_e32 v66, 0x40100000
	v_cmp_gt_f64_e32 vcc, 0, v[64:65]
	v_mov_b32_e32 v98, 0
	v_add_f64 v[80:81], v[82:83], -v[80:81]
	v_cndmask_b32_e32 v99, 0, v66, vcc
	v_add_f64 v[54:55], v[54:55], v[98:99]
	v_add_f64 v[64:65], v[82:83], v[54:55]
	v_cvt_i32_f64_e32 v66, v[64:65]
	v_cvt_f64_i32_e32 v[64:65], v66
	v_add_f64 v[54:55], v[54:55], -v[64:65]
	v_add_f64 v[64:65], v[82:83], v[54:55]
	v_add_f64 v[80:81], v[100:101], -v[80:81]
	v_add_f64 v[54:55], v[64:65], -v[54:55]
	v_add_f64 v[52:53], v[80:81], v[52:53]
	v_add_f64 v[54:55], v[82:83], -v[54:55]
	v_add_f64 v[52:53], v[52:53], v[54:55]
	v_cmp_le_f64_e32 vcc, 0.5, v[64:65]
	v_mov_b32_e32 v54, 0x3ff00000
	s_mov_b32 s10, 0x33145c07
	v_cndmask_b32_e32 v99, 0, v54, vcc
	v_addc_co_u32_e64 v71, s[2:3], 0, v66, vcc
	v_add_f64 v[54:55], v[64:65], -v[98:99]
	v_add_f64 v[64:65], v[54:55], v[52:53]
	s_mov_b32 s2, 0x54442d18
	v_add_f64 v[54:55], v[64:65], -v[54:55]
	s_mov_b32 s3, 0x3ff921fb
	v_add_f64 v[52:53], v[52:53], -v[54:55]
	v_mul_f64 v[54:55], v[64:65], s[2:3]
	v_fma_f64 v[66:67], v[64:65], s[2:3], -v[54:55]
	s_mov_b32 s11, 0x3c91a626
	v_fmac_f64_e32 v[66:67], s[10:11], v[64:65]
	v_fmac_f64_e32 v[66:67], s[2:3], v[52:53]
	v_add_f64 v[52:53], v[54:55], v[66:67]
	v_add_f64 v[54:55], v[52:53], -v[54:55]
	v_add_f64 v[54:55], v[66:67], -v[54:55]
	s_andn2_saveexec_b64 s[2:3], s[8:9]
	s_cbranch_execnz .LBB0_271
	s_branch .LBB0_272
.LBB0_270:
	s_andn2_saveexec_b64 s[2:3], s[8:9]
	s_cbranch_execz .LBB0_272
.LBB0_271:
	s_mov_b32 s8, 0x6dc9c883
	s_mov_b32 s9, 0x3fe45f30
	v_mul_f64 v[52:53], |v[30:31]|, s[8:9]
	s_mov_b32 s8, 0x54442d18
	v_rndne_f64_e32 v[64:65], v[52:53]
	s_mov_b32 s9, 0xbff921fb
	v_fma_f64 v[52:53], v[64:65], s[8:9], |v[30:31]|
	s_mov_b32 s9, 0xbc91a626
	s_mov_b32 s8, 0x33145c00
	v_mul_f64 v[66:67], v[64:65], s[8:9]
	v_add_f64 v[80:81], v[52:53], v[66:67]
	v_fma_f64 v[54:55], s[8:9], v[64:65], v[52:53]
	s_mov_b32 s9, 0x3c91a626
	v_add_f64 v[52:53], v[52:53], -v[80:81]
	v_fma_f64 v[68:69], s[8:9], v[64:65], v[66:67]
	v_add_f64 v[52:53], v[52:53], v[66:67]
	v_add_f64 v[66:67], v[80:81], -v[54:55]
	v_add_f64 v[52:53], v[66:67], v[52:53]
	s_mov_b32 s8, 0x252049c0
	v_add_f64 v[66:67], v[52:53], -v[68:69]
	s_mov_b32 s9, 0xb97b839a
	v_fmac_f64_e32 v[66:67], s[8:9], v[64:65]
	v_add_f64 v[52:53], v[54:55], v[66:67]
	v_add_f64 v[54:55], v[52:53], -v[54:55]
	v_add_f64 v[54:55], v[66:67], -v[54:55]
	v_cvt_i32_f64_e32 v71, v[64:65]
.LBB0_272:
	s_or_b64 exec, exec, s[2:3]
	s_mov_b32 s2, 0
	v_mul_f64 v[64:65], v[26:27], v[26:27]
	s_mov_b32 s3, 0x40390000
	v_div_scale_f64 v[66:67], s[8:9], v[64:65], v[64:65], s[2:3]
	v_rcp_f64_e32 v[68:69], v[66:67]
	v_mov_b32_e32 v84, 0xb1759c7f
	v_mov_b32_e32 v85, 0x408ac370
	;; [unrolled: 1-line block ×3, first 2 shown]
	v_fma_f64 v[80:81], -v[66:67], v[68:69], 1.0
	v_fmac_f64_e32 v[68:69], v[68:69], v[80:81]
	v_fma_f64 v[80:81], -v[66:67], v[68:69], 1.0
	v_fmac_f64_e32 v[68:69], v[68:69], v[80:81]
	v_div_scale_f64 v[80:81], vcc, s[2:3], v[64:65], s[2:3]
	v_mul_f64 v[82:83], v[80:81], v[68:69]
	v_fma_f64 v[66:67], -v[66:67], v[82:83], v[80:81]
	v_mov_b32_e32 v80, 0xab5454e3
	s_nop 0
	v_div_fmas_f64 v[66:67], v[66:67], v[68:69], v[82:83]
	v_div_fixup_f64 v[64:65], v[66:67], v[64:65], s[2:3]
	v_mov_b32_e32 v66, 0x983b6b27
	v_mov_b32_e32 v67, 0x3f4a1d30
	v_fmac_f64_e32 v[66:67], 0, v[64:65]
	v_mov_b32_e32 v68, 0xb35dd1cf
	v_mov_b32_e32 v69, 0x3fb534b0
	v_fmac_f64_e32 v[68:69], v[64:65], v[66:67]
	;; [unrolled: 3-line block ×7, first 2 shown]
	v_mov_b32_e32 v81, 0x3fb5ebc5
	v_fmac_f64_e32 v[80:81], v[64:65], v[66:67]
	v_mov_b32_e32 v66, 0xc9b3069f
	v_mov_b32_e32 v67, 0x3ff40e72
	v_fmac_f64_e32 v[66:67], v[64:65], v[80:81]
	v_mov_b32_e32 v80, 0xe68162bb
	;; [unrolled: 3-line block ×4, first 2 shown]
	v_mov_b32_e32 v81, 0x40153965
	v_fmac_f64_e32 v[80:81], v[64:65], v[66:67]
	v_fma_f64 v[66:67], v[64:65], v[80:81], 1.0
	v_mov_b32_e32 v80, 0x38a5384a
	v_mov_b32_e32 v81, 0xbf874742
	v_fmac_f64_e32 v[80:81], 0, v[64:65]
	v_mov_b32_e32 v82, 0x3a321174
	v_mov_b32_e32 v83, 0xbff4853b
	v_fmac_f64_e32 v[82:83], v[64:65], v[80:81]
	;; [unrolled: 3-line block ×9, first 2 shown]
	v_fmac_f64_e32 v[84:85], v[64:65], v[80:81]
	v_mov_b32_e32 v80, 0xbd748cb5
	v_mov_b32_e32 v81, 0x40ae54cd
	v_fmac_f64_e32 v[80:81], v[64:65], v[84:85]
	v_mov_b32_e32 v84, 0xbdefd63e
	v_mov_b32_e32 v85, 0x40bc4877
	;; [unrolled: 3-line block ×4, first 2 shown]
	v_fma_f64 v[68:69], v[64:65], v[68:69], 1.0
	v_fmac_f64_e32 v[84:85], v[64:65], v[80:81]
	v_div_scale_f64 v[80:81], s[2:3], v[66:67], v[66:67], v[68:69]
	v_rcp_f64_e32 v[86:87], v[80:81]
	v_mov_b32_e32 v97, 0x406e402f
	v_fmac_f64_e32 v[96:97], v[64:65], v[84:85]
	s_mov_b32 s2, 0x9037ab78
	v_fma_f64 v[64:65], -v[80:81], v[86:87], 1.0
	v_fmac_f64_e32 v[86:87], v[86:87], v[64:65]
	v_fma_f64 v[64:65], -v[80:81], v[86:87], 1.0
	v_fmac_f64_e32 v[86:87], v[86:87], v[64:65]
	v_div_scale_f64 v[64:65], vcc, v[68:69], v[66:67], v[68:69]
	v_mul_f64 v[84:85], v[64:65], v[86:87]
	v_fma_f64 v[64:65], -v[80:81], v[84:85], v[64:65]
	s_mov_b32 s3, 0x3e21eeb6
	s_nop 0
	v_div_fmas_f64 v[64:65], v[64:65], v[86:87], v[84:85]
	s_mov_b32 s8, 0x46cc5e42
	v_div_fixup_f64 v[64:65], v[64:65], v[66:67], v[68:69]
	v_mul_f64 v[66:67], v[48:49], v[48:49]
	s_mov_b32 s9, 0xbda907db
	v_mov_b64_e32 v[86:87], s[2:3]
	s_mov_b32 s10, 0xa17f65f6
	v_mul_f64 v[68:69], v[66:67], 0.5
	v_fma_f64 v[98:99], s[8:9], v[66:67], v[86:87]
	s_mov_b32 s11, 0xbe927e4f
	s_mov_b32 s12, 0x19f4ec90
	v_add_f64 v[80:81], -v[68:69], 1.0
	v_fma_f64 v[98:99], v[66:67], v[98:99], s[10:11]
	s_mov_b32 s13, 0x3efa01a0
	s_mov_b32 s14, 0x16c16967
	v_add_f64 v[84:85], -v[80:81], 1.0
	v_fma_f64 v[98:99], v[66:67], v[98:99], s[12:13]
	s_mov_b32 s15, 0xbf56c16c
	s_mov_b32 s16, 0x55555555
	v_add_f64 v[68:69], v[84:85], -v[68:69]
	v_fma_f64 v[98:99], v[66:67], v[98:99], s[14:15]
	s_mov_b32 s17, 0x3fa55555
	v_mul_f64 v[84:85], v[66:67], v[66:67]
	v_fma_f64 v[98:99], v[66:67], v[98:99], s[16:17]
	v_fma_f64 v[68:69], v[48:49], -v[50:51], v[68:69]
	s_mov_b32 s2, 0xb42fdfa7
	v_fmac_f64_e32 v[68:69], v[84:85], v[98:99]
	s_mov_b32 s3, 0xbe5ae600
	s_mov_b32 s18, 0xf9a43bb8
	v_add_f64 v[68:69], v[80:81], v[68:69]
	s_mov_b32 s19, 0x3de5e0b2
	v_mov_b64_e32 v[80:81], s[2:3]
	s_mov_b32 s22, 0x796cde01
	v_fma_f64 v[84:85], s[18:19], v[66:67], v[80:81]
	s_mov_b32 s23, 0x3ec71de3
	s_mov_b32 s24, 0x19e83e5c
	v_fma_f64 v[84:85], v[66:67], v[84:85], s[22:23]
	s_mov_b32 s25, 0xbf2a01a0
	s_mov_b32 s26, 0x11110bb3
	v_fma_f64 v[84:85], v[66:67], v[84:85], s[24:25]
	s_mov_b32 s27, 0x3f811111
	v_fma_f64 v[84:85], v[66:67], v[84:85], s[26:27]
	v_mul_f64 v[98:99], v[48:49], -v[66:67]
	v_mul_f64 v[100:101], v[50:51], 0.5
	v_fmac_f64_e32 v[100:101], v[98:99], v[84:85]
	v_fma_f64 v[50:51], v[66:67], v[100:101], -v[50:51]
	s_mov_b32 s29, 0xbfc55555
	s_mov_b32 s28, s16
	v_fmac_f64_e32 v[50:51], s[28:29], v[98:99]
	v_add_f64 v[48:49], v[48:49], -v[50:51]
	v_and_b32_e32 v50, 1, v7
	v_lshlrev_b32_e32 v7, 30, v7
	v_cmp_eq_u32_e32 vcc, 0, v50
	v_xor_b32_e32 v7, v7, v31
	s_mov_b32 s30, 0
	v_cndmask_b32_e32 v66, v68, v48, vcc
	v_cndmask_b32_e32 v48, v69, v49, vcc
	v_and_b32_e32 v7, 0x80000000, v7
	s_mov_b32 s31, 0x40140000
	v_xor_b32_e32 v7, v48, v7
	v_div_scale_f64 v[48:49], s[2:3], v[26:27], v[26:27], s[30:31]
	v_rcp_f64_e32 v[50:51], v[48:49]
	s_movk_i32 s21, 0x1f8
	v_cmp_class_f64_e64 s[2:3], v[30:31], s21
	v_mov_b32_e32 v98, 0x7ff80000
	s_nop 0
	v_cndmask_b32_e64 v30, 0, v66, s[2:3]
	v_fma_f64 v[66:67], -v[48:49], v[50:51], 1.0
	v_fmac_f64_e32 v[50:51], v[50:51], v[66:67]
	v_fma_f64 v[66:67], -v[48:49], v[50:51], 1.0
	v_fmac_f64_e32 v[50:51], v[50:51], v[66:67]
	v_div_scale_f64 v[66:67], vcc, s[30:31], v[26:27], s[30:31]
	v_mul_f64 v[68:69], v[66:67], v[50:51]
	v_fma_f64 v[48:49], -v[48:49], v[68:69], v[66:67]
	v_div_scale_f64 v[66:67], s[34:35], v[96:97], v[96:97], v[82:83]
	v_rcp_f64_e32 v[84:85], v[66:67]
	v_div_fmas_f64 v[48:49], v[48:49], v[50:51], v[68:69]
	v_div_fixup_f64 v[48:49], v[48:49], v[26:27], s[30:31]
	v_cndmask_b32_e64 v31, v98, v7, s[2:3]
	v_fma_f64 v[50:51], -v[66:67], v[84:85], 1.0
	v_fmac_f64_e32 v[84:85], v[84:85], v[50:51]
	v_fma_f64 v[50:51], -v[66:67], v[84:85], 1.0
	v_fmac_f64_e32 v[84:85], v[84:85], v[50:51]
	v_div_scale_f64 v[50:51], vcc, v[82:83], v[96:97], v[82:83]
	v_mul_f64 v[68:69], v[50:51], v[84:85]
	v_fma_f64 v[50:51], -v[66:67], v[68:69], v[50:51]
	s_nop 1
	v_div_fmas_f64 v[50:51], v[50:51], v[84:85], v[68:69]
	v_div_fixup_f64 v[50:51], v[50:51], v[96:97], v[82:83]
	v_mul_f64 v[48:49], v[48:49], v[50:51]
	v_mul_f64 v[50:51], v[52:53], v[52:53]
	v_mul_f64 v[66:67], v[50:51], 0.5
	v_fmac_f64_e32 v[86:87], s[8:9], v[50:51]
	v_add_f64 v[68:69], -v[66:67], 1.0
	v_fma_f64 v[84:85], v[50:51], v[86:87], s[10:11]
	v_add_f64 v[82:83], -v[68:69], 1.0
	v_fma_f64 v[84:85], v[50:51], v[84:85], s[12:13]
	v_add_f64 v[66:67], v[82:83], -v[66:67]
	v_fma_f64 v[84:85], v[50:51], v[84:85], s[14:15]
	v_mul_f64 v[82:83], v[50:51], v[50:51]
	v_fma_f64 v[84:85], v[50:51], v[84:85], s[16:17]
	v_fma_f64 v[66:67], v[52:53], -v[54:55], v[66:67]
	v_fmac_f64_e32 v[66:67], v[82:83], v[84:85]
	v_fmac_f64_e32 v[80:81], s[18:19], v[50:51]
	v_add_f64 v[66:67], v[68:69], v[66:67]
	v_fma_f64 v[68:69], v[50:51], v[80:81], s[22:23]
	v_fma_f64 v[68:69], v[50:51], v[68:69], s[24:25]
	;; [unrolled: 1-line block ×3, first 2 shown]
	v_mul_f64 v[80:81], v[52:53], -v[50:51]
	v_mul_f64 v[82:83], v[54:55], 0.5
	v_fmac_f64_e32 v[82:83], v[80:81], v[68:69]
	v_fma_f64 v[50:51], v[50:51], v[82:83], -v[54:55]
	v_fmac_f64_e32 v[50:51], s[28:29], v[80:81]
	v_add_f64 v[50:51], v[52:53], -v[50:51]
	v_xor_b32_e32 v7, 0x80000000, v51
	v_and_b32_e32 v51, 1, v71
	v_cmp_eq_u32_e32 vcc, 0, v51
	v_lshlrev_b32_e32 v51, 30, v71
	v_and_b32_e32 v51, 0x80000000, v51
	v_cndmask_b32_e32 v7, v7, v67, vcc
	v_cndmask_b32_e32 v50, v50, v66, vcc
	v_xor_b32_e32 v7, v7, v51
	v_cndmask_b32_e64 v50, 0, v50, s[2:3]
	v_cndmask_b32_e64 v51, v98, v7, s[2:3]
	s_mov_b32 s2, 0
	s_brev_b32 s3, 8
	v_cmp_gt_f64_e32 vcc, s[2:3], v[26:27]
	v_mul_f64 v[48:49], v[48:49], v[50:51]
	v_fmac_f64_e32 v[48:49], v[64:65], v[30:31]
	v_cndmask_b32_e64 v7, 0, 1, vcc
	v_lshlrev_b32_e32 v7, 8, v7
	v_ldexp_f64 v[26:27], v[26:27], v7
	v_rsq_f64_e32 v[30:31], v[26:27]
	v_mov_b32_e32 v7, 0xffffff80
	v_cndmask_b32_e32 v7, 0, v7, vcc
	s_mov_b32 s2, 0x33d43651
	v_mul_f64 v[50:51], v[26:27], v[30:31]
	v_mul_f64 v[30:31], v[30:31], 0.5
	v_fma_f64 v[52:53], -v[30:31], v[50:51], 0.5
	v_fmac_f64_e32 v[50:51], v[50:51], v[52:53]
	v_fma_f64 v[54:55], -v[50:51], v[50:51], v[26:27]
	v_fmac_f64_e32 v[30:31], v[30:31], v[52:53]
	v_fmac_f64_e32 v[50:51], v[54:55], v[30:31]
	v_fma_f64 v[52:53], -v[50:51], v[50:51], v[26:27]
	v_fmac_f64_e32 v[50:51], v[52:53], v[30:31]
	v_ldexp_f64 v[30:31], v[50:51], v7
	v_mov_b32_e32 v7, 0x260
	s_mov_b32 s3, 0x3fe98845
	v_cmp_class_f64_e32 vcc, v[26:27], v7
	v_mul_f64 v[48:49], v[48:49], s[2:3]
	s_nop 0
	v_cndmask_b32_e32 v27, v31, v27, vcc
	v_cndmask_b32_e32 v26, v30, v26, vcc
	v_div_scale_f64 v[30:31], s[2:3], v[26:27], v[26:27], v[48:49]
	v_rcp_f64_e32 v[50:51], v[30:31]
	s_nop 0
	v_fma_f64 v[52:53], -v[30:31], v[50:51], 1.0
	v_fmac_f64_e32 v[50:51], v[50:51], v[52:53]
	v_fma_f64 v[52:53], -v[30:31], v[50:51], 1.0
	v_fmac_f64_e32 v[50:51], v[50:51], v[52:53]
	v_div_scale_f64 v[52:53], vcc, v[48:49], v[26:27], v[48:49]
	v_mul_f64 v[54:55], v[52:53], v[50:51]
	v_fma_f64 v[30:31], -v[30:31], v[54:55], v[52:53]
	s_nop 1
	v_div_fmas_f64 v[30:31], v[30:31], v[50:51], v[54:55]
	v_div_fixup_f64 v[30:31], v[30:31], v[26:27], v[48:49]
.LBB0_273:
	s_or_b64 exec, exec, s[6:7]
.LBB0_274:
	s_or_b64 exec, exec, s[4:5]
	v_add_u32_e32 v7, 0xb00, v5
	v_cmp_lt_i32_e32 vcc, v7, v4
                                        ; implicit-def: $vgpr26_vgpr27
	s_and_saveexec_b64 s[4:5], vcc
	s_cbranch_execz .LBB0_296
; %bb.275:
	s_mov_b32 s2, 0
	s_mov_b32 s3, 0x40140000
	s_waitcnt vmcnt(0) lgkmcnt(0)
	v_cmp_ge_f64_e32 vcc, s[2:3], v[22:23]
                                        ; implicit-def: $vgpr26_vgpr27
	s_and_saveexec_b64 s[2:3], vcc
	s_xor_b64 s[2:3], exec, s[2:3]
	s_cbranch_execz .LBB0_285
; %bb.276:
	v_mov_b32_e32 v26, 0
	v_cmp_neq_f64_e32 vcc, 0, v[22:23]
	v_mov_b32_e32 v27, 0xfff00000
	s_and_saveexec_b64 s[6:7], vcc
	s_cbranch_execz .LBB0_284
; %bb.277:
	v_mov_b32_e32 v26, 0
	v_cmp_ngt_f64_e32 vcc, 0, v[22:23]
	v_mov_b32_e32 v27, 0x7ff80000
	s_and_saveexec_b64 s[8:9], vcc
	s_cbranch_execz .LBB0_283
; %bb.278:
	s_mov_b32 s10, 0x88e368f1
	v_mul_f64 v[26:27], v[22:23], v[22:23]
	s_mov_b32 s11, 0x3ee4f8b5
	v_mul_f64 v[50:51], v[26:27], 0
	v_cmp_ngt_f64_e32 vcc, s[10:11], v[22:23]
                                        ; implicit-def: $vgpr48_vgpr49
	s_and_saveexec_b64 s[10:11], vcc
	s_xor_b64 s[10:11], exec, s[10:11]
	s_cbranch_execz .LBB0_280
; %bb.279:
	s_mov_b32 s12, 0xad1c8325
	s_mov_b32 s13, 0xc1f1dc53
	v_add_f64 v[48:49], v[50:51], s[12:13]
	v_mov_b32_e32 v52, 0xc772990d
	v_mov_b32_e32 v53, 0x427c7751
	s_mov_b32 s12, 0xa696b78c
	v_fmac_f64_e32 v[52:53], v[26:27], v[48:49]
	v_mov_b32_e32 v48, 0xe0d900f7
	v_mov_b32_e32 v49, 0xc2ec5614
	s_mov_b32 s13, 0x407f3902
	v_fmac_f64_e32 v[48:49], v[26:27], v[52:53]
	v_add_f64 v[52:53], v[50:51], s[12:13]
	v_mov_b32_e32 v54, 0x36a21a67
	v_mov_b32_e32 v55, 0x410536cb
	v_fmac_f64_e32 v[54:55], v[26:27], v[52:53]
	v_mov_b32_e32 v52, 0x2eac0634
	v_mov_b32_e32 v53, 0x41871934
	v_fmac_f64_e32 v[52:53], v[26:27], v[54:55]
	;; [unrolled: 3-line block ×6, first 2 shown]
	v_mov_b32_e32 v54, 0xc7b662cc
	v_mov_b32_e32 v55, 0x43b7be34
	s_mov_b32 s12, 0x80462bbb
	v_fmac_f64_e32 v[54:55], v[26:27], v[52:53]
	v_mov_b32_e32 v52, 0x69ff5fb4
	v_mov_b32_e32 v53, 0x43413ef8
	s_mov_b32 s13, 0xc01721fb
	v_fmac_f64_e32 v[52:53], v[26:27], v[48:49]
	v_add_f64 v[48:49], v[26:27], s[12:13]
	s_mov_b32 s12, 0xa621dd6f
	s_mov_b32 s13, 0xc03e78a4
	v_add_f64 v[64:65], v[26:27], s[12:13]
	v_mul_f64 v[48:49], v[48:49], v[64:65]
	v_mul_f64 v[48:49], v[48:49], v[52:53]
	v_div_scale_f64 v[52:53], s[12:13], v[54:55], v[54:55], v[48:49]
	v_rcp_f64_e32 v[64:65], v[52:53]
	s_nop 0
	v_fma_f64 v[66:67], -v[52:53], v[64:65], 1.0
	v_fmac_f64_e32 v[64:65], v[64:65], v[66:67]
	v_fma_f64 v[66:67], -v[52:53], v[64:65], 1.0
	v_fmac_f64_e32 v[64:65], v[64:65], v[66:67]
	v_div_scale_f64 v[66:67], vcc, v[48:49], v[54:55], v[48:49]
	v_mul_f64 v[68:69], v[66:67], v[64:65]
	v_fma_f64 v[52:53], -v[52:53], v[68:69], v[66:67]
	s_nop 1
	v_div_fmas_f64 v[52:53], v[52:53], v[64:65], v[68:69]
	v_div_fixup_f64 v[48:49], v[52:53], v[54:55], v[48:49]
.LBB0_280:
	s_andn2_saveexec_b64 s[10:11], s[10:11]
; %bb.281:
	s_mov_b32 s12, 0
	s_mov_b32 s13, 0xbfd00000
	v_fma_f64 v[48:49], v[26:27], s[12:13], 1.0
; %bb.282:
	s_or_b64 exec, exec, s[10:11]
	s_mov_b32 s10, 0xe896898f
	s_mov_b32 s11, 0x40ce7437
	v_add_f64 v[52:53], v[50:51], s[10:11]
	v_mov_b32_e32 v54, 0x32e48896
	v_mov_b32_e32 v55, 0xc16bf81f
	v_fmac_f64_e32 v[54:55], v[26:27], v[52:53]
	v_mov_b32_e32 v52, 0xf0284cdd
	v_mov_b32_e32 v53, 0x41f43f78
	v_fmac_f64_e32 v[52:53], v[26:27], v[54:55]
	;; [unrolled: 3-line block ×4, first 2 shown]
	v_mov_b32_e32 v54, 0xd1d8cc02
	v_mov_b32_e32 v55, 0xc328a121
	s_mov_b32 s10, 0x576dfcb6
	v_fmac_f64_e32 v[54:55], v[26:27], v[52:53]
	v_mov_b32_e32 v52, 0x660b4003
	v_mov_b32_e32 v53, 0x4363a94b
	s_mov_b32 s11, 0x40904522
	v_fmac_f64_e32 v[52:53], v[26:27], v[54:55]
	v_add_f64 v[50:51], v[50:51], s[10:11]
	v_mov_b32_e32 v54, 0xa907bc0c
	v_mov_b32_e32 v55, 0x41231b76
	v_fmac_f64_e32 v[54:55], v[26:27], v[50:51]
	v_mov_b32_e32 v50, 0x5164d101
	v_mov_b32_e32 v51, 0x41b00763
	v_fmac_f64_e32 v[50:51], v[26:27], v[54:55]
	;; [unrolled: 3-line block ×7, first 2 shown]
	v_div_scale_f64 v[26:27], s[10:11], v[50:51], v[50:51], v[54:55]
	v_rcp_f64_e32 v[52:53], v[26:27]
	s_mov_b32 s10, 0x55555555
	v_frexp_exp_i32_f64_e32 v7, v[22:23]
	v_frexp_mant_f64_e32 v[22:23], v[22:23]
	v_fma_f64 v[64:65], -v[26:27], v[52:53], 1.0
	v_fmac_f64_e32 v[52:53], v[52:53], v[64:65]
	v_fma_f64 v[64:65], -v[26:27], v[52:53], 1.0
	v_fmac_f64_e32 v[52:53], v[52:53], v[64:65]
	v_div_scale_f64 v[64:65], vcc, v[54:55], v[50:51], v[54:55]
	v_mul_f64 v[66:67], v[64:65], v[52:53]
	v_fma_f64 v[26:27], -v[26:27], v[66:67], v[64:65]
	s_mov_b32 s11, 0x3fe55555
	s_nop 0
	v_div_fmas_f64 v[26:27], v[26:27], v[52:53], v[66:67]
	v_div_fixup_f64 v[26:27], v[26:27], v[50:51], v[54:55]
	v_mov_b32_e32 v50, 0x3ff00000
	v_cmp_gt_f64_e32 vcc, s[10:11], v[22:23]
	s_mov_b32 s10, 0xbf559e2b
	s_mov_b32 s11, 0x3fc3ab76
	v_cndmask_b32_e64 v51, v50, 2.0, vcc
	v_mov_b32_e32 v50, 0
	v_mul_f64 v[22:23], v[22:23], v[50:51]
	v_add_f64 v[50:51], v[22:23], 1.0
	v_rcp_f64_e32 v[52:53], v[50:51]
	v_add_f64 v[64:65], v[50:51], -1.0
	v_add_f64 v[54:55], v[22:23], -1.0
	v_add_f64 v[22:23], v[22:23], -v[64:65]
	v_fma_f64 v[64:65], -v[50:51], v[52:53], 1.0
	v_fmac_f64_e32 v[52:53], v[64:65], v[52:53]
	v_fma_f64 v[64:65], -v[50:51], v[52:53], 1.0
	v_fmac_f64_e32 v[52:53], v[64:65], v[52:53]
	v_mul_f64 v[64:65], v[54:55], v[52:53]
	v_mul_f64 v[66:67], v[50:51], v[64:65]
	v_fma_f64 v[50:51], v[64:65], v[50:51], -v[66:67]
	v_fmac_f64_e32 v[50:51], v[64:65], v[22:23]
	v_add_f64 v[22:23], v[66:67], v[50:51]
	v_add_f64 v[68:69], v[54:55], -v[22:23]
	v_add_f64 v[66:67], v[22:23], -v[66:67]
	;; [unrolled: 1-line block ×5, first 2 shown]
	v_add_f64 v[22:23], v[50:51], v[22:23]
	v_add_f64 v[22:23], v[68:69], v[22:23]
	v_mul_f64 v[22:23], v[52:53], v[22:23]
	v_add_f64 v[50:51], v[64:65], v[22:23]
	v_add_f64 v[52:53], v[50:51], -v[64:65]
	v_add_f64 v[22:23], v[22:23], -v[52:53]
	v_mul_f64 v[52:53], v[50:51], v[50:51]
	v_mov_b32_e32 v54, 0x6b47b09a
	v_mov_b32_e32 v55, 0x3fc38538
	v_fmac_f64_e32 v[54:55], s[10:11], v[52:53]
	v_mov_b32_e32 v64, 0xd7f4df2e
	v_mov_b32_e32 v65, 0x3fc7474d
	v_fmac_f64_e32 v[64:65], v[52:53], v[54:55]
	;; [unrolled: 3-line block ×6, first 2 shown]
	v_ldexp_f64 v[54:55], v[50:51], 1
	v_mul_f64 v[50:51], v[50:51], v[52:53]
	v_mul_f64 v[50:51], v[50:51], v[64:65]
	v_add_f64 v[52:53], v[54:55], v[50:51]
	v_add_f64 v[54:55], v[52:53], -v[54:55]
	v_ldexp_f64 v[22:23], v[22:23], 1
	v_add_f64 v[50:51], v[50:51], -v[54:55]
	v_add_f64 v[22:23], v[22:23], v[50:51]
	v_add_f64 v[50:51], v[52:53], v[22:23]
	v_subbrev_co_u32_e32 v7, vcc, 0, v7, vcc
	v_add_f64 v[52:53], v[50:51], -v[52:53]
	s_mov_b32 s10, 0xfefa39ef
	v_add_f64 v[22:23], v[22:23], -v[52:53]
	v_cvt_f64_i32_e32 v[52:53], v7
	s_mov_b32 s11, 0x3fe62e42
	v_mul_f64 v[54:55], v[52:53], s[10:11]
	v_fma_f64 v[64:65], v[52:53], s[10:11], -v[54:55]
	s_mov_b32 s10, 0x3b39803f
	s_mov_b32 s11, 0x3c7abc9e
	v_fmac_f64_e32 v[64:65], s[10:11], v[52:53]
	v_add_f64 v[52:53], v[54:55], v[64:65]
	v_add_f64 v[54:55], v[52:53], -v[54:55]
	v_add_f64 v[54:55], v[64:65], -v[54:55]
	v_add_f64 v[64:65], v[52:53], v[50:51]
	v_add_f64 v[66:67], v[64:65], -v[52:53]
	v_add_f64 v[68:69], v[64:65], -v[66:67]
	v_add_f64 v[52:53], v[52:53], -v[68:69]
	v_add_f64 v[50:51], v[50:51], -v[66:67]
	v_add_f64 v[50:51], v[50:51], v[52:53]
	v_add_f64 v[52:53], v[54:55], v[22:23]
	v_add_f64 v[66:67], v[52:53], -v[54:55]
	v_add_f64 v[68:69], v[52:53], -v[66:67]
	v_add_f64 v[50:51], v[52:53], v[50:51]
	v_add_f64 v[54:55], v[54:55], -v[68:69]
	v_add_f64 v[22:23], v[22:23], -v[66:67]
	v_add_f64 v[52:53], v[64:65], v[50:51]
	v_add_f64 v[22:23], v[22:23], v[54:55]
	v_add_f64 v[54:55], v[52:53], -v[64:65]
	v_add_f64 v[50:51], v[50:51], -v[54:55]
	v_add_f64 v[22:23], v[22:23], v[50:51]
	s_mov_b32 s10, 0x6dc9c883
	v_add_f64 v[22:23], v[52:53], v[22:23]
	s_mov_b32 s11, 0x3fe45f30
	v_mul_f64 v[22:23], v[22:23], s[10:11]
	v_fmac_f64_e32 v[26:27], v[22:23], v[48:49]
.LBB0_283:
	s_or_b64 exec, exec, s[8:9]
.LBB0_284:
	s_or_b64 exec, exec, s[6:7]
                                        ; implicit-def: $vgpr22_vgpr23
.LBB0_285:
	s_andn2_saveexec_b64 s[6:7], s[2:3]
	s_cbranch_execz .LBB0_295
; %bb.286:
	s_mov_b32 s11, 0xbfe921fb
	s_mov_b32 s10, 0x54442d18
	;; [unrolled: 1-line block ×3, first 2 shown]
	v_add_f64 v[26:27], v[22:23], s[10:11]
	s_mov_b32 s3, 0x41d00000
	v_cmp_nlt_f64_e64 s[8:9], |v[26:27]|, s[2:3]
	v_trig_preop_f64 v[68:69], |v[26:27]|, 0
	v_trig_preop_f64 v[66:67], |v[26:27]|, 1
	;; [unrolled: 1-line block ×3, first 2 shown]
                                        ; implicit-def: $vgpr7
                                        ; implicit-def: $vgpr48_vgpr49
                                        ; implicit-def: $vgpr50_vgpr51
	s_and_saveexec_b64 s[2:3], s[8:9]
	s_xor_b64 s[12:13], exec, s[2:3]
	s_cbranch_execz .LBB0_288
; %bb.287:
	s_mov_b32 s2, 0
	s_mov_b32 s3, 0x7b000000
	s_movk_i32 s11, 0xff80
	v_and_b32_e32 v7, 0x7fffffff, v27
	v_ldexp_f64 v[48:49], |v[26:27]|, s11
	v_cmp_ge_f64_e64 vcc, |v[26:27]|, s[2:3]
	s_mov_b32 s2, 0
	s_mov_b32 s3, 0x7ff00000
	v_cndmask_b32_e32 v49, v7, v49, vcc
	v_cndmask_b32_e32 v48, v26, v48, vcc
	v_mul_f64 v[52:53], v[68:69], v[48:49]
	v_mul_f64 v[50:51], v[66:67], v[48:49]
	v_fma_f64 v[54:55], v[68:69], v[48:49], -v[52:53]
	v_add_f64 v[80:81], v[50:51], v[54:55]
	v_add_f64 v[82:83], v[52:53], v[80:81]
	v_ldexp_f64 v[84:85], v[82:83], -2
	v_fract_f64_e32 v[86:87], v[84:85]
	v_cmp_neq_f64_e64 vcc, |v[84:85]|, s[2:3]
	v_add_f64 v[52:53], v[82:83], -v[52:53]
	v_add_f64 v[52:53], v[80:81], -v[52:53]
	v_cndmask_b32_e32 v85, 0, v87, vcc
	v_cndmask_b32_e32 v84, 0, v86, vcc
	v_add_f64 v[86:87], v[80:81], -v[50:51]
	v_add_f64 v[54:55], v[54:55], -v[86:87]
	;; [unrolled: 1-line block ×4, first 2 shown]
	v_add_f64 v[54:55], v[54:55], v[86:87]
	v_fma_f64 v[50:51], v[66:67], v[48:49], -v[50:51]
	v_mul_f64 v[86:87], v[64:65], v[48:49]
	v_add_f64 v[98:99], v[86:87], v[50:51]
	v_add_f64 v[100:101], v[98:99], v[54:55]
	v_add_f64 v[82:83], v[100:101], -v[98:99]
	v_add_f64 v[54:55], v[54:55], -v[82:83]
	;; [unrolled: 1-line block ×4, first 2 shown]
	v_add_f64 v[54:55], v[54:55], v[82:83]
	v_add_f64 v[82:83], v[98:99], -v[86:87]
	v_add_f64 v[50:51], v[50:51], -v[82:83]
	;; [unrolled: 1-line block ×4, first 2 shown]
	v_add_f64 v[80:81], v[52:53], v[100:101]
	v_add_f64 v[50:51], v[50:51], v[82:83]
	v_add_f64 v[52:53], v[80:81], -v[52:53]
	v_add_f64 v[50:51], v[50:51], v[54:55]
	v_fma_f64 v[48:49], v[64:65], v[48:49], -v[86:87]
	v_add_f64 v[52:53], v[100:101], -v[52:53]
	v_add_f64 v[48:49], v[48:49], v[50:51]
	v_ldexp_f64 v[50:51], v[84:85], 2
	v_add_f64 v[48:49], v[52:53], v[48:49]
	v_add_f64 v[52:53], v[80:81], v[50:51]
	v_mov_b32_e32 v7, 0x40100000
	v_cmp_gt_f64_e32 vcc, 0, v[52:53]
	v_mov_b32_e32 v96, 0
	s_mov_b32 s11, 0x3ff921fb
	v_cndmask_b32_e32 v97, 0, v7, vcc
	v_add_f64 v[50:51], v[50:51], v[96:97]
	v_add_f64 v[52:53], v[80:81], v[50:51]
	v_cvt_i32_f64_e32 v7, v[52:53]
	v_cvt_f64_i32_e32 v[52:53], v7
	v_add_f64 v[50:51], v[50:51], -v[52:53]
	v_add_f64 v[52:53], v[80:81], v[50:51]
	v_add_f64 v[50:51], v[52:53], -v[50:51]
	v_add_f64 v[50:51], v[80:81], -v[50:51]
	v_add_f64 v[48:49], v[48:49], v[50:51]
	v_cmp_le_f64_e32 vcc, 0.5, v[52:53]
	v_mov_b32_e32 v50, 0x3ff00000
	s_nop 0
	v_cndmask_b32_e32 v97, 0, v50, vcc
	v_add_f64 v[50:51], v[52:53], -v[96:97]
	v_add_f64 v[52:53], v[50:51], v[48:49]
	v_addc_co_u32_e64 v7, s[2:3], 0, v7, vcc
	v_add_f64 v[50:51], v[52:53], -v[50:51]
	v_add_f64 v[48:49], v[48:49], -v[50:51]
	v_mul_f64 v[50:51], v[52:53], s[10:11]
	s_mov_b32 s2, 0x33145c07
	v_fma_f64 v[54:55], v[52:53], s[10:11], -v[50:51]
	s_mov_b32 s3, 0x3c91a626
	v_fmac_f64_e32 v[54:55], s[2:3], v[52:53]
	v_fmac_f64_e32 v[54:55], s[10:11], v[48:49]
	v_add_f64 v[48:49], v[50:51], v[54:55]
	v_add_f64 v[50:51], v[48:49], -v[50:51]
	v_add_f64 v[50:51], v[54:55], -v[50:51]
	s_andn2_saveexec_b64 s[2:3], s[12:13]
	s_cbranch_execz .LBB0_290
	s_branch .LBB0_289
.LBB0_288:
	s_andn2_saveexec_b64 s[2:3], s[12:13]
	s_cbranch_execz .LBB0_290
.LBB0_289:
	s_mov_b32 s10, 0x6dc9c883
	s_mov_b32 s11, 0x3fe45f30
	v_mul_f64 v[48:49], |v[26:27]|, s[10:11]
	s_mov_b32 s10, 0x54442d18
	v_rndne_f64_e32 v[52:53], v[48:49]
	s_mov_b32 s11, 0xbff921fb
	v_fma_f64 v[48:49], v[52:53], s[10:11], |v[26:27]|
	s_mov_b32 s11, 0xbc91a626
	s_mov_b32 s10, 0x33145c00
	v_mul_f64 v[54:55], v[52:53], s[10:11]
	v_add_f64 v[82:83], v[48:49], v[54:55]
	v_fma_f64 v[50:51], s[10:11], v[52:53], v[48:49]
	s_mov_b32 s11, 0x3c91a626
	v_add_f64 v[48:49], v[48:49], -v[82:83]
	v_fma_f64 v[80:81], s[10:11], v[52:53], v[54:55]
	v_add_f64 v[48:49], v[48:49], v[54:55]
	v_add_f64 v[54:55], v[82:83], -v[50:51]
	v_add_f64 v[48:49], v[54:55], v[48:49]
	s_mov_b32 s10, 0x252049c0
	v_add_f64 v[54:55], v[48:49], -v[80:81]
	s_mov_b32 s11, 0xb97b839a
	v_fmac_f64_e32 v[54:55], s[10:11], v[52:53]
	v_add_f64 v[48:49], v[50:51], v[54:55]
	v_add_f64 v[50:51], v[48:49], -v[50:51]
	v_add_f64 v[50:51], v[54:55], -v[50:51]
	v_cvt_i32_f64_e32 v7, v[52:53]
.LBB0_290:
	s_or_b64 exec, exec, s[2:3]
                                        ; implicit-def: $vgpr71
                                        ; implicit-def: $vgpr52_vgpr53
                                        ; implicit-def: $vgpr54_vgpr55
	s_and_saveexec_b64 s[2:3], s[8:9]
	s_xor_b64 s[8:9], exec, s[2:3]
	s_cbranch_execz .LBB0_292
; %bb.291:
	s_mov_b32 s2, 0
	s_mov_b32 s3, 0x7b000000
	s_movk_i32 s10, 0xff80
	v_and_b32_e32 v54, 0x7fffffff, v27
	v_ldexp_f64 v[52:53], |v[26:27]|, s10
	v_cmp_ge_f64_e64 vcc, |v[26:27]|, s[2:3]
	s_mov_b32 s2, 0
	s_mov_b32 s3, 0x7ff00000
	v_cndmask_b32_e32 v53, v54, v53, vcc
	v_cndmask_b32_e32 v52, v26, v52, vcc
	v_mul_f64 v[80:81], v[68:69], v[52:53]
	v_mul_f64 v[54:55], v[66:67], v[52:53]
	v_fma_f64 v[68:69], v[68:69], v[52:53], -v[80:81]
	v_add_f64 v[82:83], v[54:55], v[68:69]
	v_add_f64 v[84:85], v[80:81], v[82:83]
	v_ldexp_f64 v[86:87], v[84:85], -2
	v_fract_f64_e32 v[96:97], v[86:87]
	v_cmp_neq_f64_e64 vcc, |v[86:87]|, s[2:3]
	v_add_f64 v[80:81], v[84:85], -v[80:81]
	v_add_f64 v[80:81], v[82:83], -v[80:81]
	v_cndmask_b32_e32 v87, 0, v97, vcc
	v_cndmask_b32_e32 v86, 0, v96, vcc
	v_add_f64 v[96:97], v[82:83], -v[54:55]
	v_add_f64 v[68:69], v[68:69], -v[96:97]
	;; [unrolled: 1-line block ×4, first 2 shown]
	v_fma_f64 v[54:55], v[66:67], v[52:53], -v[54:55]
	v_mul_f64 v[66:67], v[64:65], v[52:53]
	v_add_f64 v[68:69], v[68:69], v[96:97]
	v_add_f64 v[96:97], v[66:67], v[54:55]
	;; [unrolled: 1-line block ×3, first 2 shown]
	v_add_f64 v[84:85], v[100:101], -v[96:97]
	v_add_f64 v[68:69], v[68:69], -v[84:85]
	;; [unrolled: 1-line block ×4, first 2 shown]
	v_add_f64 v[68:69], v[68:69], v[84:85]
	v_add_f64 v[84:85], v[96:97], -v[66:67]
	v_add_f64 v[54:55], v[54:55], -v[84:85]
	;; [unrolled: 1-line block ×4, first 2 shown]
	v_add_f64 v[54:55], v[54:55], v[84:85]
	v_add_f64 v[54:55], v[54:55], v[68:69]
	v_fma_f64 v[52:53], v[64:65], v[52:53], -v[66:67]
	v_add_f64 v[82:83], v[80:81], v[100:101]
	v_add_f64 v[52:53], v[52:53], v[54:55]
	v_ldexp_f64 v[54:55], v[86:87], 2
	v_add_f64 v[64:65], v[82:83], v[54:55]
	v_mov_b32_e32 v66, 0x40100000
	v_cmp_gt_f64_e32 vcc, 0, v[64:65]
	v_mov_b32_e32 v98, 0
	v_add_f64 v[80:81], v[82:83], -v[80:81]
	v_cndmask_b32_e32 v99, 0, v66, vcc
	v_add_f64 v[54:55], v[54:55], v[98:99]
	v_add_f64 v[64:65], v[82:83], v[54:55]
	v_cvt_i32_f64_e32 v66, v[64:65]
	v_cvt_f64_i32_e32 v[64:65], v66
	v_add_f64 v[54:55], v[54:55], -v[64:65]
	v_add_f64 v[64:65], v[82:83], v[54:55]
	v_add_f64 v[80:81], v[100:101], -v[80:81]
	v_add_f64 v[54:55], v[64:65], -v[54:55]
	v_add_f64 v[52:53], v[80:81], v[52:53]
	v_add_f64 v[54:55], v[82:83], -v[54:55]
	v_add_f64 v[52:53], v[52:53], v[54:55]
	v_cmp_le_f64_e32 vcc, 0.5, v[64:65]
	v_mov_b32_e32 v54, 0x3ff00000
	s_mov_b32 s10, 0x33145c07
	v_cndmask_b32_e32 v99, 0, v54, vcc
	v_addc_co_u32_e64 v71, s[2:3], 0, v66, vcc
	v_add_f64 v[54:55], v[64:65], -v[98:99]
	v_add_f64 v[64:65], v[54:55], v[52:53]
	s_mov_b32 s2, 0x54442d18
	v_add_f64 v[54:55], v[64:65], -v[54:55]
	s_mov_b32 s3, 0x3ff921fb
	v_add_f64 v[52:53], v[52:53], -v[54:55]
	v_mul_f64 v[54:55], v[64:65], s[2:3]
	v_fma_f64 v[66:67], v[64:65], s[2:3], -v[54:55]
	s_mov_b32 s11, 0x3c91a626
	v_fmac_f64_e32 v[66:67], s[10:11], v[64:65]
	v_fmac_f64_e32 v[66:67], s[2:3], v[52:53]
	v_add_f64 v[52:53], v[54:55], v[66:67]
	v_add_f64 v[54:55], v[52:53], -v[54:55]
	v_add_f64 v[54:55], v[66:67], -v[54:55]
	s_andn2_saveexec_b64 s[2:3], s[8:9]
	s_cbranch_execnz .LBB0_293
	s_branch .LBB0_294
.LBB0_292:
	s_andn2_saveexec_b64 s[2:3], s[8:9]
	s_cbranch_execz .LBB0_294
.LBB0_293:
	s_mov_b32 s8, 0x6dc9c883
	s_mov_b32 s9, 0x3fe45f30
	v_mul_f64 v[52:53], |v[26:27]|, s[8:9]
	s_mov_b32 s8, 0x54442d18
	v_rndne_f64_e32 v[64:65], v[52:53]
	s_mov_b32 s9, 0xbff921fb
	v_fma_f64 v[52:53], v[64:65], s[8:9], |v[26:27]|
	s_mov_b32 s9, 0xbc91a626
	s_mov_b32 s8, 0x33145c00
	v_mul_f64 v[66:67], v[64:65], s[8:9]
	v_add_f64 v[80:81], v[52:53], v[66:67]
	v_fma_f64 v[54:55], s[8:9], v[64:65], v[52:53]
	s_mov_b32 s9, 0x3c91a626
	v_add_f64 v[52:53], v[52:53], -v[80:81]
	v_fma_f64 v[68:69], s[8:9], v[64:65], v[66:67]
	v_add_f64 v[52:53], v[52:53], v[66:67]
	v_add_f64 v[66:67], v[80:81], -v[54:55]
	v_add_f64 v[52:53], v[66:67], v[52:53]
	s_mov_b32 s8, 0x252049c0
	v_add_f64 v[66:67], v[52:53], -v[68:69]
	s_mov_b32 s9, 0xb97b839a
	v_fmac_f64_e32 v[66:67], s[8:9], v[64:65]
	v_add_f64 v[52:53], v[54:55], v[66:67]
	v_add_f64 v[54:55], v[52:53], -v[54:55]
	v_add_f64 v[54:55], v[66:67], -v[54:55]
	v_cvt_i32_f64_e32 v71, v[64:65]
.LBB0_294:
	s_or_b64 exec, exec, s[2:3]
	s_mov_b32 s2, 0
	v_mul_f64 v[64:65], v[22:23], v[22:23]
	s_mov_b32 s3, 0x40390000
	v_div_scale_f64 v[66:67], s[8:9], v[64:65], v[64:65], s[2:3]
	v_rcp_f64_e32 v[68:69], v[66:67]
	v_mov_b32_e32 v84, 0xb1759c7f
	v_mov_b32_e32 v85, 0x408ac370
	;; [unrolled: 1-line block ×3, first 2 shown]
	v_fma_f64 v[80:81], -v[66:67], v[68:69], 1.0
	v_fmac_f64_e32 v[68:69], v[68:69], v[80:81]
	v_fma_f64 v[80:81], -v[66:67], v[68:69], 1.0
	v_fmac_f64_e32 v[68:69], v[68:69], v[80:81]
	v_div_scale_f64 v[80:81], vcc, s[2:3], v[64:65], s[2:3]
	v_mul_f64 v[82:83], v[80:81], v[68:69]
	v_fma_f64 v[66:67], -v[66:67], v[82:83], v[80:81]
	v_mov_b32_e32 v80, 0xab5454e3
	s_nop 0
	v_div_fmas_f64 v[66:67], v[66:67], v[68:69], v[82:83]
	v_div_fixup_f64 v[64:65], v[66:67], v[64:65], s[2:3]
	v_mov_b32_e32 v66, 0x983b6b27
	v_mov_b32_e32 v67, 0x3f4a1d30
	v_fmac_f64_e32 v[66:67], 0, v[64:65]
	v_mov_b32_e32 v68, 0xb35dd1cf
	v_mov_b32_e32 v69, 0x3fb534b0
	v_fmac_f64_e32 v[68:69], v[64:65], v[66:67]
	;; [unrolled: 3-line block ×7, first 2 shown]
	v_mov_b32_e32 v81, 0x3fb5ebc5
	v_fmac_f64_e32 v[80:81], v[64:65], v[66:67]
	v_mov_b32_e32 v66, 0xc9b3069f
	v_mov_b32_e32 v67, 0x3ff40e72
	v_fmac_f64_e32 v[66:67], v[64:65], v[80:81]
	v_mov_b32_e32 v80, 0xe68162bb
	v_mov_b32_e32 v81, 0x4015e247
	v_fmac_f64_e32 v[80:81], v[64:65], v[66:67]
	v_mov_b32_e32 v66, 0xea1b21a1
	v_mov_b32_e32 v67, 0x40218618
	v_fmac_f64_e32 v[66:67], v[64:65], v[80:81]
	v_mov_b32_e32 v80, 0xed423a19
	v_mov_b32_e32 v81, 0x40153965
	v_fmac_f64_e32 v[80:81], v[64:65], v[66:67]
	v_fma_f64 v[66:67], v[64:65], v[80:81], 1.0
	v_mov_b32_e32 v80, 0x38a5384a
	v_mov_b32_e32 v81, 0xbf874742
	v_fmac_f64_e32 v[80:81], 0, v[64:65]
	v_mov_b32_e32 v82, 0x3a321174
	v_mov_b32_e32 v83, 0xbff4853b
	v_fmac_f64_e32 v[82:83], v[64:65], v[80:81]
	;; [unrolled: 3-line block ×9, first 2 shown]
	v_fmac_f64_e32 v[84:85], v[64:65], v[80:81]
	v_mov_b32_e32 v80, 0xbd748cb5
	v_mov_b32_e32 v81, 0x40ae54cd
	v_fmac_f64_e32 v[80:81], v[64:65], v[84:85]
	v_mov_b32_e32 v84, 0xbdefd63e
	v_mov_b32_e32 v85, 0x40bc4877
	;; [unrolled: 3-line block ×4, first 2 shown]
	v_fma_f64 v[68:69], v[64:65], v[68:69], 1.0
	v_fmac_f64_e32 v[84:85], v[64:65], v[80:81]
	v_div_scale_f64 v[80:81], s[2:3], v[66:67], v[66:67], v[68:69]
	v_rcp_f64_e32 v[86:87], v[80:81]
	v_mov_b32_e32 v97, 0x406e402f
	v_fmac_f64_e32 v[96:97], v[64:65], v[84:85]
	s_mov_b32 s2, 0x9037ab78
	v_fma_f64 v[64:65], -v[80:81], v[86:87], 1.0
	v_fmac_f64_e32 v[86:87], v[86:87], v[64:65]
	v_fma_f64 v[64:65], -v[80:81], v[86:87], 1.0
	v_fmac_f64_e32 v[86:87], v[86:87], v[64:65]
	v_div_scale_f64 v[64:65], vcc, v[68:69], v[66:67], v[68:69]
	v_mul_f64 v[84:85], v[64:65], v[86:87]
	v_fma_f64 v[64:65], -v[80:81], v[84:85], v[64:65]
	s_mov_b32 s3, 0x3e21eeb6
	s_nop 0
	v_div_fmas_f64 v[64:65], v[64:65], v[86:87], v[84:85]
	s_mov_b32 s8, 0x46cc5e42
	v_div_fixup_f64 v[64:65], v[64:65], v[66:67], v[68:69]
	v_mul_f64 v[66:67], v[48:49], v[48:49]
	s_mov_b32 s9, 0xbda907db
	v_mov_b64_e32 v[86:87], s[2:3]
	s_mov_b32 s10, 0xa17f65f6
	v_mul_f64 v[68:69], v[66:67], 0.5
	v_fma_f64 v[98:99], s[8:9], v[66:67], v[86:87]
	s_mov_b32 s11, 0xbe927e4f
	s_mov_b32 s12, 0x19f4ec90
	v_add_f64 v[80:81], -v[68:69], 1.0
	v_fma_f64 v[98:99], v[66:67], v[98:99], s[10:11]
	s_mov_b32 s13, 0x3efa01a0
	s_mov_b32 s14, 0x16c16967
	v_add_f64 v[84:85], -v[80:81], 1.0
	v_fma_f64 v[98:99], v[66:67], v[98:99], s[12:13]
	s_mov_b32 s15, 0xbf56c16c
	s_mov_b32 s16, 0x55555555
	v_add_f64 v[68:69], v[84:85], -v[68:69]
	v_fma_f64 v[98:99], v[66:67], v[98:99], s[14:15]
	s_mov_b32 s17, 0x3fa55555
	v_mul_f64 v[84:85], v[66:67], v[66:67]
	v_fma_f64 v[98:99], v[66:67], v[98:99], s[16:17]
	v_fma_f64 v[68:69], v[48:49], -v[50:51], v[68:69]
	s_mov_b32 s2, 0xb42fdfa7
	v_fmac_f64_e32 v[68:69], v[84:85], v[98:99]
	s_mov_b32 s3, 0xbe5ae600
	s_mov_b32 s18, 0xf9a43bb8
	v_add_f64 v[68:69], v[80:81], v[68:69]
	s_mov_b32 s19, 0x3de5e0b2
	v_mov_b64_e32 v[80:81], s[2:3]
	s_mov_b32 s22, 0x796cde01
	v_fma_f64 v[84:85], s[18:19], v[66:67], v[80:81]
	s_mov_b32 s23, 0x3ec71de3
	s_mov_b32 s24, 0x19e83e5c
	v_fma_f64 v[84:85], v[66:67], v[84:85], s[22:23]
	s_mov_b32 s25, 0xbf2a01a0
	;; [unrolled: 3-line block ×3, first 2 shown]
	v_fma_f64 v[84:85], v[66:67], v[84:85], s[26:27]
	v_mul_f64 v[98:99], v[48:49], -v[66:67]
	v_mul_f64 v[100:101], v[50:51], 0.5
	v_fmac_f64_e32 v[100:101], v[98:99], v[84:85]
	v_fma_f64 v[50:51], v[66:67], v[100:101], -v[50:51]
	s_mov_b32 s29, 0xbfc55555
	s_mov_b32 s28, s16
	v_fmac_f64_e32 v[50:51], s[28:29], v[98:99]
	v_add_f64 v[48:49], v[48:49], -v[50:51]
	v_and_b32_e32 v50, 1, v7
	v_lshlrev_b32_e32 v7, 30, v7
	v_cmp_eq_u32_e32 vcc, 0, v50
	v_xor_b32_e32 v7, v7, v27
	s_mov_b32 s30, 0
	v_cndmask_b32_e32 v66, v68, v48, vcc
	v_cndmask_b32_e32 v48, v69, v49, vcc
	v_and_b32_e32 v7, 0x80000000, v7
	s_mov_b32 s31, 0x40140000
	v_xor_b32_e32 v7, v48, v7
	v_div_scale_f64 v[48:49], s[2:3], v[22:23], v[22:23], s[30:31]
	v_rcp_f64_e32 v[50:51], v[48:49]
	s_movk_i32 s21, 0x1f8
	v_cmp_class_f64_e64 s[2:3], v[26:27], s21
	v_mov_b32_e32 v98, 0x7ff80000
	s_nop 0
	v_cndmask_b32_e64 v26, 0, v66, s[2:3]
	v_fma_f64 v[66:67], -v[48:49], v[50:51], 1.0
	v_fmac_f64_e32 v[50:51], v[50:51], v[66:67]
	v_fma_f64 v[66:67], -v[48:49], v[50:51], 1.0
	v_fmac_f64_e32 v[50:51], v[50:51], v[66:67]
	v_div_scale_f64 v[66:67], vcc, s[30:31], v[22:23], s[30:31]
	v_mul_f64 v[68:69], v[66:67], v[50:51]
	v_fma_f64 v[48:49], -v[48:49], v[68:69], v[66:67]
	v_div_scale_f64 v[66:67], s[34:35], v[96:97], v[96:97], v[82:83]
	v_rcp_f64_e32 v[84:85], v[66:67]
	v_div_fmas_f64 v[48:49], v[48:49], v[50:51], v[68:69]
	v_div_fixup_f64 v[48:49], v[48:49], v[22:23], s[30:31]
	v_cndmask_b32_e64 v27, v98, v7, s[2:3]
	v_fma_f64 v[50:51], -v[66:67], v[84:85], 1.0
	v_fmac_f64_e32 v[84:85], v[84:85], v[50:51]
	v_fma_f64 v[50:51], -v[66:67], v[84:85], 1.0
	v_fmac_f64_e32 v[84:85], v[84:85], v[50:51]
	v_div_scale_f64 v[50:51], vcc, v[82:83], v[96:97], v[82:83]
	v_mul_f64 v[68:69], v[50:51], v[84:85]
	v_fma_f64 v[50:51], -v[66:67], v[68:69], v[50:51]
	s_nop 1
	v_div_fmas_f64 v[50:51], v[50:51], v[84:85], v[68:69]
	v_div_fixup_f64 v[50:51], v[50:51], v[96:97], v[82:83]
	v_mul_f64 v[48:49], v[48:49], v[50:51]
	v_mul_f64 v[50:51], v[52:53], v[52:53]
	v_mul_f64 v[66:67], v[50:51], 0.5
	v_fmac_f64_e32 v[86:87], s[8:9], v[50:51]
	v_add_f64 v[68:69], -v[66:67], 1.0
	v_fma_f64 v[84:85], v[50:51], v[86:87], s[10:11]
	v_add_f64 v[82:83], -v[68:69], 1.0
	v_fma_f64 v[84:85], v[50:51], v[84:85], s[12:13]
	v_add_f64 v[66:67], v[82:83], -v[66:67]
	v_fma_f64 v[84:85], v[50:51], v[84:85], s[14:15]
	v_mul_f64 v[82:83], v[50:51], v[50:51]
	v_fma_f64 v[84:85], v[50:51], v[84:85], s[16:17]
	v_fma_f64 v[66:67], v[52:53], -v[54:55], v[66:67]
	v_fmac_f64_e32 v[66:67], v[82:83], v[84:85]
	v_fmac_f64_e32 v[80:81], s[18:19], v[50:51]
	v_add_f64 v[66:67], v[68:69], v[66:67]
	v_fma_f64 v[68:69], v[50:51], v[80:81], s[22:23]
	v_fma_f64 v[68:69], v[50:51], v[68:69], s[24:25]
	;; [unrolled: 1-line block ×3, first 2 shown]
	v_mul_f64 v[80:81], v[52:53], -v[50:51]
	v_mul_f64 v[82:83], v[54:55], 0.5
	v_fmac_f64_e32 v[82:83], v[80:81], v[68:69]
	v_fma_f64 v[50:51], v[50:51], v[82:83], -v[54:55]
	v_fmac_f64_e32 v[50:51], s[28:29], v[80:81]
	v_add_f64 v[50:51], v[52:53], -v[50:51]
	v_xor_b32_e32 v7, 0x80000000, v51
	v_and_b32_e32 v51, 1, v71
	v_cmp_eq_u32_e32 vcc, 0, v51
	v_lshlrev_b32_e32 v51, 30, v71
	v_and_b32_e32 v51, 0x80000000, v51
	v_cndmask_b32_e32 v7, v7, v67, vcc
	v_cndmask_b32_e32 v50, v50, v66, vcc
	v_xor_b32_e32 v7, v7, v51
	v_cndmask_b32_e64 v50, 0, v50, s[2:3]
	v_cndmask_b32_e64 v51, v98, v7, s[2:3]
	s_mov_b32 s2, 0
	s_brev_b32 s3, 8
	v_cmp_gt_f64_e32 vcc, s[2:3], v[22:23]
	v_mul_f64 v[48:49], v[48:49], v[50:51]
	v_fmac_f64_e32 v[48:49], v[64:65], v[26:27]
	v_cndmask_b32_e64 v7, 0, 1, vcc
	v_lshlrev_b32_e32 v7, 8, v7
	v_ldexp_f64 v[22:23], v[22:23], v7
	v_rsq_f64_e32 v[26:27], v[22:23]
	v_mov_b32_e32 v7, 0xffffff80
	v_cndmask_b32_e32 v7, 0, v7, vcc
	s_mov_b32 s2, 0x33d43651
	v_mul_f64 v[50:51], v[22:23], v[26:27]
	v_mul_f64 v[26:27], v[26:27], 0.5
	v_fma_f64 v[52:53], -v[26:27], v[50:51], 0.5
	v_fmac_f64_e32 v[50:51], v[50:51], v[52:53]
	v_fma_f64 v[54:55], -v[50:51], v[50:51], v[22:23]
	v_fmac_f64_e32 v[26:27], v[26:27], v[52:53]
	v_fmac_f64_e32 v[50:51], v[54:55], v[26:27]
	v_fma_f64 v[52:53], -v[50:51], v[50:51], v[22:23]
	v_fmac_f64_e32 v[50:51], v[52:53], v[26:27]
	v_ldexp_f64 v[26:27], v[50:51], v7
	v_mov_b32_e32 v7, 0x260
	s_mov_b32 s3, 0x3fe98845
	v_cmp_class_f64_e32 vcc, v[22:23], v7
	v_mul_f64 v[48:49], v[48:49], s[2:3]
	s_nop 0
	v_cndmask_b32_e32 v23, v27, v23, vcc
	v_cndmask_b32_e32 v22, v26, v22, vcc
	v_div_scale_f64 v[26:27], s[2:3], v[22:23], v[22:23], v[48:49]
	v_rcp_f64_e32 v[50:51], v[26:27]
	s_nop 0
	v_fma_f64 v[52:53], -v[26:27], v[50:51], 1.0
	v_fmac_f64_e32 v[50:51], v[50:51], v[52:53]
	v_fma_f64 v[52:53], -v[26:27], v[50:51], 1.0
	v_fmac_f64_e32 v[50:51], v[50:51], v[52:53]
	v_div_scale_f64 v[52:53], vcc, v[48:49], v[22:23], v[48:49]
	v_mul_f64 v[54:55], v[52:53], v[50:51]
	v_fma_f64 v[26:27], -v[26:27], v[54:55], v[52:53]
	s_nop 1
	v_div_fmas_f64 v[26:27], v[26:27], v[50:51], v[54:55]
	v_div_fixup_f64 v[26:27], v[26:27], v[22:23], v[48:49]
.LBB0_295:
	s_or_b64 exec, exec, s[6:7]
.LBB0_296:
	s_or_b64 exec, exec, s[4:5]
	v_or_b32_e32 v7, 0xc00, v5
	v_cmp_lt_i32_e32 vcc, v7, v4
                                        ; implicit-def: $vgpr22_vgpr23
	s_and_saveexec_b64 s[4:5], vcc
	s_cbranch_execz .LBB0_318
; %bb.297:
	s_mov_b32 s2, 0
	s_mov_b32 s3, 0x40140000
	s_waitcnt vmcnt(0) lgkmcnt(0)
	v_cmp_ge_f64_e32 vcc, s[2:3], v[18:19]
                                        ; implicit-def: $vgpr22_vgpr23
	s_and_saveexec_b64 s[2:3], vcc
	s_xor_b64 s[2:3], exec, s[2:3]
	s_cbranch_execz .LBB0_307
; %bb.298:
	v_mov_b32_e32 v22, 0
	v_cmp_neq_f64_e32 vcc, 0, v[18:19]
	v_mov_b32_e32 v23, 0xfff00000
	s_and_saveexec_b64 s[6:7], vcc
	s_cbranch_execz .LBB0_306
; %bb.299:
	v_mov_b32_e32 v22, 0
	v_cmp_ngt_f64_e32 vcc, 0, v[18:19]
	v_mov_b32_e32 v23, 0x7ff80000
	s_and_saveexec_b64 s[8:9], vcc
	s_cbranch_execz .LBB0_305
; %bb.300:
	s_mov_b32 s10, 0x88e368f1
	v_mul_f64 v[22:23], v[18:19], v[18:19]
	s_mov_b32 s11, 0x3ee4f8b5
	v_mul_f64 v[50:51], v[22:23], 0
	v_cmp_ngt_f64_e32 vcc, s[10:11], v[18:19]
                                        ; implicit-def: $vgpr48_vgpr49
	s_and_saveexec_b64 s[10:11], vcc
	s_xor_b64 s[10:11], exec, s[10:11]
	s_cbranch_execz .LBB0_302
; %bb.301:
	s_mov_b32 s12, 0xad1c8325
	s_mov_b32 s13, 0xc1f1dc53
	v_add_f64 v[48:49], v[50:51], s[12:13]
	v_mov_b32_e32 v52, 0xc772990d
	v_mov_b32_e32 v53, 0x427c7751
	s_mov_b32 s12, 0xa696b78c
	v_fmac_f64_e32 v[52:53], v[22:23], v[48:49]
	v_mov_b32_e32 v48, 0xe0d900f7
	v_mov_b32_e32 v49, 0xc2ec5614
	s_mov_b32 s13, 0x407f3902
	v_fmac_f64_e32 v[48:49], v[22:23], v[52:53]
	v_add_f64 v[52:53], v[50:51], s[12:13]
	v_mov_b32_e32 v54, 0x36a21a67
	v_mov_b32_e32 v55, 0x410536cb
	v_fmac_f64_e32 v[54:55], v[22:23], v[52:53]
	v_mov_b32_e32 v52, 0x2eac0634
	v_mov_b32_e32 v53, 0x41871934
	v_fmac_f64_e32 v[52:53], v[22:23], v[54:55]
	;; [unrolled: 3-line block ×6, first 2 shown]
	v_mov_b32_e32 v54, 0xc7b662cc
	v_mov_b32_e32 v55, 0x43b7be34
	s_mov_b32 s12, 0x80462bbb
	v_fmac_f64_e32 v[54:55], v[22:23], v[52:53]
	v_mov_b32_e32 v52, 0x69ff5fb4
	v_mov_b32_e32 v53, 0x43413ef8
	s_mov_b32 s13, 0xc01721fb
	v_fmac_f64_e32 v[52:53], v[22:23], v[48:49]
	v_add_f64 v[48:49], v[22:23], s[12:13]
	s_mov_b32 s12, 0xa621dd6f
	s_mov_b32 s13, 0xc03e78a4
	v_add_f64 v[64:65], v[22:23], s[12:13]
	v_mul_f64 v[48:49], v[48:49], v[64:65]
	v_mul_f64 v[48:49], v[48:49], v[52:53]
	v_div_scale_f64 v[52:53], s[12:13], v[54:55], v[54:55], v[48:49]
	v_rcp_f64_e32 v[64:65], v[52:53]
	s_nop 0
	v_fma_f64 v[66:67], -v[52:53], v[64:65], 1.0
	v_fmac_f64_e32 v[64:65], v[64:65], v[66:67]
	v_fma_f64 v[66:67], -v[52:53], v[64:65], 1.0
	v_fmac_f64_e32 v[64:65], v[64:65], v[66:67]
	v_div_scale_f64 v[66:67], vcc, v[48:49], v[54:55], v[48:49]
	v_mul_f64 v[68:69], v[66:67], v[64:65]
	v_fma_f64 v[52:53], -v[52:53], v[68:69], v[66:67]
	s_nop 1
	v_div_fmas_f64 v[52:53], v[52:53], v[64:65], v[68:69]
	v_div_fixup_f64 v[48:49], v[52:53], v[54:55], v[48:49]
.LBB0_302:
	s_andn2_saveexec_b64 s[10:11], s[10:11]
; %bb.303:
	s_mov_b32 s12, 0
	s_mov_b32 s13, 0xbfd00000
	v_fma_f64 v[48:49], v[22:23], s[12:13], 1.0
; %bb.304:
	s_or_b64 exec, exec, s[10:11]
	s_mov_b32 s10, 0xe896898f
	s_mov_b32 s11, 0x40ce7437
	v_add_f64 v[52:53], v[50:51], s[10:11]
	v_mov_b32_e32 v54, 0x32e48896
	v_mov_b32_e32 v55, 0xc16bf81f
	v_fmac_f64_e32 v[54:55], v[22:23], v[52:53]
	v_mov_b32_e32 v52, 0xf0284cdd
	v_mov_b32_e32 v53, 0x41f43f78
	v_fmac_f64_e32 v[52:53], v[22:23], v[54:55]
	;; [unrolled: 3-line block ×4, first 2 shown]
	v_mov_b32_e32 v54, 0xd1d8cc02
	v_mov_b32_e32 v55, 0xc328a121
	s_mov_b32 s10, 0x576dfcb6
	v_fmac_f64_e32 v[54:55], v[22:23], v[52:53]
	v_mov_b32_e32 v52, 0x660b4003
	v_mov_b32_e32 v53, 0x4363a94b
	s_mov_b32 s11, 0x40904522
	v_fmac_f64_e32 v[52:53], v[22:23], v[54:55]
	v_add_f64 v[50:51], v[50:51], s[10:11]
	v_mov_b32_e32 v54, 0xa907bc0c
	v_mov_b32_e32 v55, 0x41231b76
	v_fmac_f64_e32 v[54:55], v[22:23], v[50:51]
	v_mov_b32_e32 v50, 0x5164d101
	v_mov_b32_e32 v51, 0x41b00763
	v_fmac_f64_e32 v[50:51], v[22:23], v[54:55]
	;; [unrolled: 3-line block ×7, first 2 shown]
	v_div_scale_f64 v[22:23], s[10:11], v[50:51], v[50:51], v[54:55]
	v_rcp_f64_e32 v[52:53], v[22:23]
	s_mov_b32 s10, 0x55555555
	v_frexp_exp_i32_f64_e32 v7, v[18:19]
	v_frexp_mant_f64_e32 v[18:19], v[18:19]
	v_fma_f64 v[64:65], -v[22:23], v[52:53], 1.0
	v_fmac_f64_e32 v[52:53], v[52:53], v[64:65]
	v_fma_f64 v[64:65], -v[22:23], v[52:53], 1.0
	v_fmac_f64_e32 v[52:53], v[52:53], v[64:65]
	v_div_scale_f64 v[64:65], vcc, v[54:55], v[50:51], v[54:55]
	v_mul_f64 v[66:67], v[64:65], v[52:53]
	v_fma_f64 v[22:23], -v[22:23], v[66:67], v[64:65]
	s_mov_b32 s11, 0x3fe55555
	s_nop 0
	v_div_fmas_f64 v[22:23], v[22:23], v[52:53], v[66:67]
	v_div_fixup_f64 v[22:23], v[22:23], v[50:51], v[54:55]
	v_mov_b32_e32 v50, 0x3ff00000
	v_cmp_gt_f64_e32 vcc, s[10:11], v[18:19]
	s_mov_b32 s10, 0xbf559e2b
	s_mov_b32 s11, 0x3fc3ab76
	v_cndmask_b32_e64 v51, v50, 2.0, vcc
	v_mov_b32_e32 v50, 0
	v_mul_f64 v[18:19], v[18:19], v[50:51]
	v_add_f64 v[50:51], v[18:19], 1.0
	v_rcp_f64_e32 v[52:53], v[50:51]
	v_add_f64 v[64:65], v[50:51], -1.0
	v_add_f64 v[54:55], v[18:19], -1.0
	v_add_f64 v[18:19], v[18:19], -v[64:65]
	v_fma_f64 v[64:65], -v[50:51], v[52:53], 1.0
	v_fmac_f64_e32 v[52:53], v[64:65], v[52:53]
	v_fma_f64 v[64:65], -v[50:51], v[52:53], 1.0
	v_fmac_f64_e32 v[52:53], v[64:65], v[52:53]
	v_mul_f64 v[64:65], v[54:55], v[52:53]
	v_mul_f64 v[66:67], v[50:51], v[64:65]
	v_fma_f64 v[50:51], v[64:65], v[50:51], -v[66:67]
	v_fmac_f64_e32 v[50:51], v[64:65], v[18:19]
	v_add_f64 v[18:19], v[66:67], v[50:51]
	v_add_f64 v[68:69], v[54:55], -v[18:19]
	v_add_f64 v[66:67], v[18:19], -v[66:67]
	;; [unrolled: 1-line block ×5, first 2 shown]
	v_add_f64 v[18:19], v[50:51], v[18:19]
	v_add_f64 v[18:19], v[68:69], v[18:19]
	v_mul_f64 v[18:19], v[52:53], v[18:19]
	v_add_f64 v[50:51], v[64:65], v[18:19]
	v_add_f64 v[52:53], v[50:51], -v[64:65]
	v_add_f64 v[18:19], v[18:19], -v[52:53]
	v_mul_f64 v[52:53], v[50:51], v[50:51]
	v_mov_b32_e32 v54, 0x6b47b09a
	v_mov_b32_e32 v55, 0x3fc38538
	v_fmac_f64_e32 v[54:55], s[10:11], v[52:53]
	v_mov_b32_e32 v64, 0xd7f4df2e
	v_mov_b32_e32 v65, 0x3fc7474d
	v_fmac_f64_e32 v[64:65], v[52:53], v[54:55]
	;; [unrolled: 3-line block ×6, first 2 shown]
	v_ldexp_f64 v[54:55], v[50:51], 1
	v_mul_f64 v[50:51], v[50:51], v[52:53]
	v_mul_f64 v[50:51], v[50:51], v[64:65]
	v_add_f64 v[52:53], v[54:55], v[50:51]
	v_add_f64 v[54:55], v[52:53], -v[54:55]
	v_ldexp_f64 v[18:19], v[18:19], 1
	v_add_f64 v[50:51], v[50:51], -v[54:55]
	v_add_f64 v[18:19], v[18:19], v[50:51]
	v_add_f64 v[50:51], v[52:53], v[18:19]
	v_subbrev_co_u32_e32 v7, vcc, 0, v7, vcc
	v_add_f64 v[52:53], v[50:51], -v[52:53]
	s_mov_b32 s10, 0xfefa39ef
	v_add_f64 v[18:19], v[18:19], -v[52:53]
	v_cvt_f64_i32_e32 v[52:53], v7
	s_mov_b32 s11, 0x3fe62e42
	v_mul_f64 v[54:55], v[52:53], s[10:11]
	v_fma_f64 v[64:65], v[52:53], s[10:11], -v[54:55]
	s_mov_b32 s10, 0x3b39803f
	s_mov_b32 s11, 0x3c7abc9e
	v_fmac_f64_e32 v[64:65], s[10:11], v[52:53]
	v_add_f64 v[52:53], v[54:55], v[64:65]
	v_add_f64 v[54:55], v[52:53], -v[54:55]
	v_add_f64 v[54:55], v[64:65], -v[54:55]
	v_add_f64 v[64:65], v[52:53], v[50:51]
	v_add_f64 v[66:67], v[64:65], -v[52:53]
	v_add_f64 v[68:69], v[64:65], -v[66:67]
	;; [unrolled: 1-line block ×4, first 2 shown]
	v_add_f64 v[50:51], v[50:51], v[52:53]
	v_add_f64 v[52:53], v[54:55], v[18:19]
	v_add_f64 v[66:67], v[52:53], -v[54:55]
	v_add_f64 v[68:69], v[52:53], -v[66:67]
	v_add_f64 v[50:51], v[52:53], v[50:51]
	v_add_f64 v[54:55], v[54:55], -v[68:69]
	v_add_f64 v[18:19], v[18:19], -v[66:67]
	v_add_f64 v[52:53], v[64:65], v[50:51]
	v_add_f64 v[18:19], v[18:19], v[54:55]
	v_add_f64 v[54:55], v[52:53], -v[64:65]
	v_add_f64 v[50:51], v[50:51], -v[54:55]
	v_add_f64 v[18:19], v[18:19], v[50:51]
	s_mov_b32 s10, 0x6dc9c883
	v_add_f64 v[18:19], v[52:53], v[18:19]
	s_mov_b32 s11, 0x3fe45f30
	v_mul_f64 v[18:19], v[18:19], s[10:11]
	v_fmac_f64_e32 v[22:23], v[18:19], v[48:49]
.LBB0_305:
	s_or_b64 exec, exec, s[8:9]
.LBB0_306:
	s_or_b64 exec, exec, s[6:7]
                                        ; implicit-def: $vgpr18_vgpr19
.LBB0_307:
	s_andn2_saveexec_b64 s[6:7], s[2:3]
	s_cbranch_execz .LBB0_317
; %bb.308:
	s_mov_b32 s11, 0xbfe921fb
	s_mov_b32 s10, 0x54442d18
	;; [unrolled: 1-line block ×3, first 2 shown]
	v_add_f64 v[22:23], v[18:19], s[10:11]
	s_mov_b32 s3, 0x41d00000
	v_cmp_nlt_f64_e64 s[8:9], |v[22:23]|, s[2:3]
	v_trig_preop_f64 v[68:69], |v[22:23]|, 0
	v_trig_preop_f64 v[66:67], |v[22:23]|, 1
	;; [unrolled: 1-line block ×3, first 2 shown]
                                        ; implicit-def: $vgpr7
                                        ; implicit-def: $vgpr48_vgpr49
                                        ; implicit-def: $vgpr50_vgpr51
	s_and_saveexec_b64 s[2:3], s[8:9]
	s_xor_b64 s[12:13], exec, s[2:3]
	s_cbranch_execz .LBB0_310
; %bb.309:
	s_mov_b32 s2, 0
	s_mov_b32 s3, 0x7b000000
	s_movk_i32 s11, 0xff80
	v_and_b32_e32 v7, 0x7fffffff, v23
	v_ldexp_f64 v[48:49], |v[22:23]|, s11
	v_cmp_ge_f64_e64 vcc, |v[22:23]|, s[2:3]
	s_mov_b32 s2, 0
	s_mov_b32 s3, 0x7ff00000
	v_cndmask_b32_e32 v49, v7, v49, vcc
	v_cndmask_b32_e32 v48, v22, v48, vcc
	v_mul_f64 v[52:53], v[68:69], v[48:49]
	v_mul_f64 v[50:51], v[66:67], v[48:49]
	v_fma_f64 v[54:55], v[68:69], v[48:49], -v[52:53]
	v_add_f64 v[80:81], v[50:51], v[54:55]
	v_add_f64 v[82:83], v[52:53], v[80:81]
	v_ldexp_f64 v[84:85], v[82:83], -2
	v_fract_f64_e32 v[86:87], v[84:85]
	v_cmp_neq_f64_e64 vcc, |v[84:85]|, s[2:3]
	v_add_f64 v[52:53], v[82:83], -v[52:53]
	v_add_f64 v[52:53], v[80:81], -v[52:53]
	v_cndmask_b32_e32 v85, 0, v87, vcc
	v_cndmask_b32_e32 v84, 0, v86, vcc
	v_add_f64 v[86:87], v[80:81], -v[50:51]
	v_add_f64 v[54:55], v[54:55], -v[86:87]
	;; [unrolled: 1-line block ×4, first 2 shown]
	v_add_f64 v[54:55], v[54:55], v[86:87]
	v_fma_f64 v[50:51], v[66:67], v[48:49], -v[50:51]
	v_mul_f64 v[86:87], v[64:65], v[48:49]
	v_add_f64 v[98:99], v[86:87], v[50:51]
	v_add_f64 v[100:101], v[98:99], v[54:55]
	v_add_f64 v[82:83], v[100:101], -v[98:99]
	v_add_f64 v[54:55], v[54:55], -v[82:83]
	v_add_f64 v[82:83], v[100:101], -v[82:83]
	v_add_f64 v[82:83], v[98:99], -v[82:83]
	v_add_f64 v[54:55], v[54:55], v[82:83]
	v_add_f64 v[82:83], v[98:99], -v[86:87]
	v_add_f64 v[50:51], v[50:51], -v[82:83]
	;; [unrolled: 1-line block ×4, first 2 shown]
	v_add_f64 v[80:81], v[52:53], v[100:101]
	v_add_f64 v[50:51], v[50:51], v[82:83]
	v_add_f64 v[52:53], v[80:81], -v[52:53]
	v_add_f64 v[50:51], v[50:51], v[54:55]
	v_fma_f64 v[48:49], v[64:65], v[48:49], -v[86:87]
	v_add_f64 v[52:53], v[100:101], -v[52:53]
	v_add_f64 v[48:49], v[48:49], v[50:51]
	v_ldexp_f64 v[50:51], v[84:85], 2
	v_add_f64 v[48:49], v[52:53], v[48:49]
	v_add_f64 v[52:53], v[80:81], v[50:51]
	v_mov_b32_e32 v7, 0x40100000
	v_cmp_gt_f64_e32 vcc, 0, v[52:53]
	v_mov_b32_e32 v96, 0
	s_mov_b32 s11, 0x3ff921fb
	v_cndmask_b32_e32 v97, 0, v7, vcc
	v_add_f64 v[50:51], v[50:51], v[96:97]
	v_add_f64 v[52:53], v[80:81], v[50:51]
	v_cvt_i32_f64_e32 v7, v[52:53]
	v_cvt_f64_i32_e32 v[52:53], v7
	v_add_f64 v[50:51], v[50:51], -v[52:53]
	v_add_f64 v[52:53], v[80:81], v[50:51]
	v_add_f64 v[50:51], v[52:53], -v[50:51]
	v_add_f64 v[50:51], v[80:81], -v[50:51]
	v_add_f64 v[48:49], v[48:49], v[50:51]
	v_cmp_le_f64_e32 vcc, 0.5, v[52:53]
	v_mov_b32_e32 v50, 0x3ff00000
	s_nop 0
	v_cndmask_b32_e32 v97, 0, v50, vcc
	v_add_f64 v[50:51], v[52:53], -v[96:97]
	v_add_f64 v[52:53], v[50:51], v[48:49]
	v_addc_co_u32_e64 v7, s[2:3], 0, v7, vcc
	v_add_f64 v[50:51], v[52:53], -v[50:51]
	v_add_f64 v[48:49], v[48:49], -v[50:51]
	v_mul_f64 v[50:51], v[52:53], s[10:11]
	s_mov_b32 s2, 0x33145c07
	v_fma_f64 v[54:55], v[52:53], s[10:11], -v[50:51]
	s_mov_b32 s3, 0x3c91a626
	v_fmac_f64_e32 v[54:55], s[2:3], v[52:53]
	v_fmac_f64_e32 v[54:55], s[10:11], v[48:49]
	v_add_f64 v[48:49], v[50:51], v[54:55]
	v_add_f64 v[50:51], v[48:49], -v[50:51]
	v_add_f64 v[50:51], v[54:55], -v[50:51]
	s_andn2_saveexec_b64 s[2:3], s[12:13]
	s_cbranch_execz .LBB0_312
	s_branch .LBB0_311
.LBB0_310:
	s_andn2_saveexec_b64 s[2:3], s[12:13]
	s_cbranch_execz .LBB0_312
.LBB0_311:
	s_mov_b32 s10, 0x6dc9c883
	s_mov_b32 s11, 0x3fe45f30
	v_mul_f64 v[48:49], |v[22:23]|, s[10:11]
	s_mov_b32 s10, 0x54442d18
	v_rndne_f64_e32 v[52:53], v[48:49]
	s_mov_b32 s11, 0xbff921fb
	v_fma_f64 v[48:49], v[52:53], s[10:11], |v[22:23]|
	s_mov_b32 s11, 0xbc91a626
	s_mov_b32 s10, 0x33145c00
	v_mul_f64 v[54:55], v[52:53], s[10:11]
	v_add_f64 v[82:83], v[48:49], v[54:55]
	v_fma_f64 v[50:51], s[10:11], v[52:53], v[48:49]
	s_mov_b32 s11, 0x3c91a626
	v_add_f64 v[48:49], v[48:49], -v[82:83]
	v_fma_f64 v[80:81], s[10:11], v[52:53], v[54:55]
	v_add_f64 v[48:49], v[48:49], v[54:55]
	v_add_f64 v[54:55], v[82:83], -v[50:51]
	v_add_f64 v[48:49], v[54:55], v[48:49]
	s_mov_b32 s10, 0x252049c0
	v_add_f64 v[54:55], v[48:49], -v[80:81]
	s_mov_b32 s11, 0xb97b839a
	v_fmac_f64_e32 v[54:55], s[10:11], v[52:53]
	v_add_f64 v[48:49], v[50:51], v[54:55]
	v_add_f64 v[50:51], v[48:49], -v[50:51]
	v_add_f64 v[50:51], v[54:55], -v[50:51]
	v_cvt_i32_f64_e32 v7, v[52:53]
.LBB0_312:
	s_or_b64 exec, exec, s[2:3]
                                        ; implicit-def: $vgpr71
                                        ; implicit-def: $vgpr52_vgpr53
                                        ; implicit-def: $vgpr54_vgpr55
	s_and_saveexec_b64 s[2:3], s[8:9]
	s_xor_b64 s[8:9], exec, s[2:3]
	s_cbranch_execz .LBB0_314
; %bb.313:
	s_mov_b32 s2, 0
	s_mov_b32 s3, 0x7b000000
	s_movk_i32 s10, 0xff80
	v_and_b32_e32 v54, 0x7fffffff, v23
	v_ldexp_f64 v[52:53], |v[22:23]|, s10
	v_cmp_ge_f64_e64 vcc, |v[22:23]|, s[2:3]
	s_mov_b32 s2, 0
	s_mov_b32 s3, 0x7ff00000
	v_cndmask_b32_e32 v53, v54, v53, vcc
	v_cndmask_b32_e32 v52, v22, v52, vcc
	v_mul_f64 v[80:81], v[68:69], v[52:53]
	v_mul_f64 v[54:55], v[66:67], v[52:53]
	v_fma_f64 v[68:69], v[68:69], v[52:53], -v[80:81]
	v_add_f64 v[82:83], v[54:55], v[68:69]
	v_add_f64 v[84:85], v[80:81], v[82:83]
	v_ldexp_f64 v[86:87], v[84:85], -2
	v_fract_f64_e32 v[96:97], v[86:87]
	v_cmp_neq_f64_e64 vcc, |v[86:87]|, s[2:3]
	v_add_f64 v[80:81], v[84:85], -v[80:81]
	v_add_f64 v[80:81], v[82:83], -v[80:81]
	v_cndmask_b32_e32 v87, 0, v97, vcc
	v_cndmask_b32_e32 v86, 0, v96, vcc
	v_add_f64 v[96:97], v[82:83], -v[54:55]
	v_add_f64 v[68:69], v[68:69], -v[96:97]
	;; [unrolled: 1-line block ×4, first 2 shown]
	v_fma_f64 v[54:55], v[66:67], v[52:53], -v[54:55]
	v_mul_f64 v[66:67], v[64:65], v[52:53]
	v_add_f64 v[68:69], v[68:69], v[96:97]
	v_add_f64 v[96:97], v[66:67], v[54:55]
	;; [unrolled: 1-line block ×3, first 2 shown]
	v_add_f64 v[84:85], v[100:101], -v[96:97]
	v_add_f64 v[68:69], v[68:69], -v[84:85]
	;; [unrolled: 1-line block ×4, first 2 shown]
	v_add_f64 v[68:69], v[68:69], v[84:85]
	v_add_f64 v[84:85], v[96:97], -v[66:67]
	v_add_f64 v[54:55], v[54:55], -v[84:85]
	;; [unrolled: 1-line block ×4, first 2 shown]
	v_add_f64 v[54:55], v[54:55], v[84:85]
	v_add_f64 v[54:55], v[54:55], v[68:69]
	v_fma_f64 v[52:53], v[64:65], v[52:53], -v[66:67]
	v_add_f64 v[82:83], v[80:81], v[100:101]
	v_add_f64 v[52:53], v[52:53], v[54:55]
	v_ldexp_f64 v[54:55], v[86:87], 2
	v_add_f64 v[64:65], v[82:83], v[54:55]
	v_mov_b32_e32 v66, 0x40100000
	v_cmp_gt_f64_e32 vcc, 0, v[64:65]
	v_mov_b32_e32 v98, 0
	v_add_f64 v[80:81], v[82:83], -v[80:81]
	v_cndmask_b32_e32 v99, 0, v66, vcc
	v_add_f64 v[54:55], v[54:55], v[98:99]
	v_add_f64 v[64:65], v[82:83], v[54:55]
	v_cvt_i32_f64_e32 v66, v[64:65]
	v_cvt_f64_i32_e32 v[64:65], v66
	v_add_f64 v[54:55], v[54:55], -v[64:65]
	v_add_f64 v[64:65], v[82:83], v[54:55]
	v_add_f64 v[80:81], v[100:101], -v[80:81]
	v_add_f64 v[54:55], v[64:65], -v[54:55]
	v_add_f64 v[52:53], v[80:81], v[52:53]
	v_add_f64 v[54:55], v[82:83], -v[54:55]
	v_add_f64 v[52:53], v[52:53], v[54:55]
	v_cmp_le_f64_e32 vcc, 0.5, v[64:65]
	v_mov_b32_e32 v54, 0x3ff00000
	s_mov_b32 s10, 0x33145c07
	v_cndmask_b32_e32 v99, 0, v54, vcc
	v_addc_co_u32_e64 v71, s[2:3], 0, v66, vcc
	v_add_f64 v[54:55], v[64:65], -v[98:99]
	v_add_f64 v[64:65], v[54:55], v[52:53]
	s_mov_b32 s2, 0x54442d18
	v_add_f64 v[54:55], v[64:65], -v[54:55]
	s_mov_b32 s3, 0x3ff921fb
	v_add_f64 v[52:53], v[52:53], -v[54:55]
	v_mul_f64 v[54:55], v[64:65], s[2:3]
	v_fma_f64 v[66:67], v[64:65], s[2:3], -v[54:55]
	s_mov_b32 s11, 0x3c91a626
	v_fmac_f64_e32 v[66:67], s[10:11], v[64:65]
	v_fmac_f64_e32 v[66:67], s[2:3], v[52:53]
	v_add_f64 v[52:53], v[54:55], v[66:67]
	v_add_f64 v[54:55], v[52:53], -v[54:55]
	v_add_f64 v[54:55], v[66:67], -v[54:55]
	s_andn2_saveexec_b64 s[2:3], s[8:9]
	s_cbranch_execnz .LBB0_315
	s_branch .LBB0_316
.LBB0_314:
	s_andn2_saveexec_b64 s[2:3], s[8:9]
	s_cbranch_execz .LBB0_316
.LBB0_315:
	s_mov_b32 s8, 0x6dc9c883
	s_mov_b32 s9, 0x3fe45f30
	v_mul_f64 v[52:53], |v[22:23]|, s[8:9]
	s_mov_b32 s8, 0x54442d18
	v_rndne_f64_e32 v[64:65], v[52:53]
	s_mov_b32 s9, 0xbff921fb
	v_fma_f64 v[52:53], v[64:65], s[8:9], |v[22:23]|
	s_mov_b32 s9, 0xbc91a626
	s_mov_b32 s8, 0x33145c00
	v_mul_f64 v[66:67], v[64:65], s[8:9]
	v_add_f64 v[80:81], v[52:53], v[66:67]
	v_fma_f64 v[54:55], s[8:9], v[64:65], v[52:53]
	s_mov_b32 s9, 0x3c91a626
	v_add_f64 v[52:53], v[52:53], -v[80:81]
	v_fma_f64 v[68:69], s[8:9], v[64:65], v[66:67]
	v_add_f64 v[52:53], v[52:53], v[66:67]
	v_add_f64 v[66:67], v[80:81], -v[54:55]
	v_add_f64 v[52:53], v[66:67], v[52:53]
	s_mov_b32 s8, 0x252049c0
	v_add_f64 v[66:67], v[52:53], -v[68:69]
	s_mov_b32 s9, 0xb97b839a
	v_fmac_f64_e32 v[66:67], s[8:9], v[64:65]
	v_add_f64 v[52:53], v[54:55], v[66:67]
	v_add_f64 v[54:55], v[52:53], -v[54:55]
	v_add_f64 v[54:55], v[66:67], -v[54:55]
	v_cvt_i32_f64_e32 v71, v[64:65]
.LBB0_316:
	s_or_b64 exec, exec, s[2:3]
	s_mov_b32 s2, 0
	v_mul_f64 v[64:65], v[18:19], v[18:19]
	s_mov_b32 s3, 0x40390000
	v_div_scale_f64 v[66:67], s[8:9], v[64:65], v[64:65], s[2:3]
	v_rcp_f64_e32 v[68:69], v[66:67]
	v_mov_b32_e32 v84, 0xb1759c7f
	v_mov_b32_e32 v85, 0x408ac370
	;; [unrolled: 1-line block ×3, first 2 shown]
	v_fma_f64 v[80:81], -v[66:67], v[68:69], 1.0
	v_fmac_f64_e32 v[68:69], v[68:69], v[80:81]
	v_fma_f64 v[80:81], -v[66:67], v[68:69], 1.0
	v_fmac_f64_e32 v[68:69], v[68:69], v[80:81]
	v_div_scale_f64 v[80:81], vcc, s[2:3], v[64:65], s[2:3]
	v_mul_f64 v[82:83], v[80:81], v[68:69]
	v_fma_f64 v[66:67], -v[66:67], v[82:83], v[80:81]
	v_mov_b32_e32 v80, 0xab5454e3
	s_nop 0
	v_div_fmas_f64 v[66:67], v[66:67], v[68:69], v[82:83]
	v_div_fixup_f64 v[64:65], v[66:67], v[64:65], s[2:3]
	v_mov_b32_e32 v66, 0x983b6b27
	v_mov_b32_e32 v67, 0x3f4a1d30
	v_fmac_f64_e32 v[66:67], 0, v[64:65]
	v_mov_b32_e32 v68, 0xb35dd1cf
	v_mov_b32_e32 v69, 0x3fb534b0
	v_fmac_f64_e32 v[68:69], v[64:65], v[66:67]
	v_mov_b32_e32 v66, 0x4e680b98
	v_mov_b32_e32 v67, 0x3ff3d521
	v_fmac_f64_e32 v[66:67], v[64:65], v[68:69]
	v_mov_b32_e32 v68, 0xe97a0956
	v_mov_b32_e32 v69, 0x4015c9fb
	v_fmac_f64_e32 v[68:69], v[64:65], v[66:67]
	v_mov_b32_e32 v66, 0x69409888
	v_mov_b32_e32 v67, 0x40217e8c
	v_fmac_f64_e32 v[66:67], v[64:65], v[68:69]
	v_mov_b32_e32 v68, 0xa59425a1
	v_mov_b32_e32 v69, 0x40153684
	v_fmac_f64_e32 v[68:69], v[64:65], v[66:67]
	v_mov_b32_e32 v66, 0xce039737
	v_mov_b32_e32 v67, 0x3f4e4a80
	v_fmac_f64_e32 v[66:67], 0, v[64:65]
	v_mov_b32_e32 v81, 0x3fb5ebc5
	v_fmac_f64_e32 v[80:81], v[64:65], v[66:67]
	v_mov_b32_e32 v66, 0xc9b3069f
	v_mov_b32_e32 v67, 0x3ff40e72
	v_fmac_f64_e32 v[66:67], v[64:65], v[80:81]
	v_mov_b32_e32 v80, 0xe68162bb
	;; [unrolled: 3-line block ×4, first 2 shown]
	v_mov_b32_e32 v81, 0x40153965
	v_fmac_f64_e32 v[80:81], v[64:65], v[66:67]
	v_fma_f64 v[66:67], v[64:65], v[80:81], 1.0
	v_mov_b32_e32 v80, 0x38a5384a
	v_mov_b32_e32 v81, 0xbf874742
	v_fmac_f64_e32 v[80:81], 0, v[64:65]
	v_mov_b32_e32 v82, 0x3a321174
	v_mov_b32_e32 v83, 0xbff4853b
	v_fmac_f64_e32 v[82:83], v[64:65], v[80:81]
	;; [unrolled: 3-line block ×9, first 2 shown]
	v_fmac_f64_e32 v[84:85], v[64:65], v[80:81]
	v_mov_b32_e32 v80, 0xbd748cb5
	v_mov_b32_e32 v81, 0x40ae54cd
	v_fmac_f64_e32 v[80:81], v[64:65], v[84:85]
	v_mov_b32_e32 v84, 0xbdefd63e
	v_mov_b32_e32 v85, 0x40bc4877
	v_fmac_f64_e32 v[84:85], v[64:65], v[80:81]
	v_mov_b32_e32 v80, 0x1d733b11
	v_mov_b32_e32 v81, 0x40b72aba
	v_fmac_f64_e32 v[80:81], v[64:65], v[84:85]
	v_mov_b32_e32 v84, 0xc7319e82
	v_mov_b32_e32 v85, 0x40a01c2f
	v_fma_f64 v[68:69], v[64:65], v[68:69], 1.0
	v_fmac_f64_e32 v[84:85], v[64:65], v[80:81]
	v_div_scale_f64 v[80:81], s[2:3], v[66:67], v[66:67], v[68:69]
	v_rcp_f64_e32 v[86:87], v[80:81]
	v_mov_b32_e32 v97, 0x406e402f
	v_fmac_f64_e32 v[96:97], v[64:65], v[84:85]
	s_mov_b32 s2, 0x9037ab78
	v_fma_f64 v[64:65], -v[80:81], v[86:87], 1.0
	v_fmac_f64_e32 v[86:87], v[86:87], v[64:65]
	v_fma_f64 v[64:65], -v[80:81], v[86:87], 1.0
	v_fmac_f64_e32 v[86:87], v[86:87], v[64:65]
	v_div_scale_f64 v[64:65], vcc, v[68:69], v[66:67], v[68:69]
	v_mul_f64 v[84:85], v[64:65], v[86:87]
	v_fma_f64 v[64:65], -v[80:81], v[84:85], v[64:65]
	s_mov_b32 s3, 0x3e21eeb6
	s_nop 0
	v_div_fmas_f64 v[64:65], v[64:65], v[86:87], v[84:85]
	s_mov_b32 s8, 0x46cc5e42
	v_div_fixup_f64 v[64:65], v[64:65], v[66:67], v[68:69]
	v_mul_f64 v[66:67], v[48:49], v[48:49]
	s_mov_b32 s9, 0xbda907db
	v_mov_b64_e32 v[86:87], s[2:3]
	s_mov_b32 s10, 0xa17f65f6
	v_mul_f64 v[68:69], v[66:67], 0.5
	v_fma_f64 v[98:99], s[8:9], v[66:67], v[86:87]
	s_mov_b32 s11, 0xbe927e4f
	s_mov_b32 s12, 0x19f4ec90
	v_add_f64 v[80:81], -v[68:69], 1.0
	v_fma_f64 v[98:99], v[66:67], v[98:99], s[10:11]
	s_mov_b32 s13, 0x3efa01a0
	s_mov_b32 s14, 0x16c16967
	v_add_f64 v[84:85], -v[80:81], 1.0
	v_fma_f64 v[98:99], v[66:67], v[98:99], s[12:13]
	s_mov_b32 s15, 0xbf56c16c
	s_mov_b32 s16, 0x55555555
	v_add_f64 v[68:69], v[84:85], -v[68:69]
	v_fma_f64 v[98:99], v[66:67], v[98:99], s[14:15]
	s_mov_b32 s17, 0x3fa55555
	v_mul_f64 v[84:85], v[66:67], v[66:67]
	v_fma_f64 v[98:99], v[66:67], v[98:99], s[16:17]
	v_fma_f64 v[68:69], v[48:49], -v[50:51], v[68:69]
	s_mov_b32 s2, 0xb42fdfa7
	v_fmac_f64_e32 v[68:69], v[84:85], v[98:99]
	s_mov_b32 s3, 0xbe5ae600
	s_mov_b32 s18, 0xf9a43bb8
	v_add_f64 v[68:69], v[80:81], v[68:69]
	s_mov_b32 s19, 0x3de5e0b2
	v_mov_b64_e32 v[80:81], s[2:3]
	s_mov_b32 s22, 0x796cde01
	v_fma_f64 v[84:85], s[18:19], v[66:67], v[80:81]
	s_mov_b32 s23, 0x3ec71de3
	s_mov_b32 s24, 0x19e83e5c
	v_fma_f64 v[84:85], v[66:67], v[84:85], s[22:23]
	s_mov_b32 s25, 0xbf2a01a0
	;; [unrolled: 3-line block ×3, first 2 shown]
	v_fma_f64 v[84:85], v[66:67], v[84:85], s[26:27]
	v_mul_f64 v[98:99], v[48:49], -v[66:67]
	v_mul_f64 v[100:101], v[50:51], 0.5
	v_fmac_f64_e32 v[100:101], v[98:99], v[84:85]
	v_fma_f64 v[50:51], v[66:67], v[100:101], -v[50:51]
	s_mov_b32 s29, 0xbfc55555
	s_mov_b32 s28, s16
	v_fmac_f64_e32 v[50:51], s[28:29], v[98:99]
	v_add_f64 v[48:49], v[48:49], -v[50:51]
	v_and_b32_e32 v50, 1, v7
	v_lshlrev_b32_e32 v7, 30, v7
	v_cmp_eq_u32_e32 vcc, 0, v50
	v_xor_b32_e32 v7, v7, v23
	s_mov_b32 s30, 0
	v_cndmask_b32_e32 v66, v68, v48, vcc
	v_cndmask_b32_e32 v48, v69, v49, vcc
	v_and_b32_e32 v7, 0x80000000, v7
	s_mov_b32 s31, 0x40140000
	v_xor_b32_e32 v7, v48, v7
	v_div_scale_f64 v[48:49], s[2:3], v[18:19], v[18:19], s[30:31]
	v_rcp_f64_e32 v[50:51], v[48:49]
	s_movk_i32 s21, 0x1f8
	v_cmp_class_f64_e64 s[2:3], v[22:23], s21
	v_mov_b32_e32 v98, 0x7ff80000
	s_nop 0
	v_cndmask_b32_e64 v22, 0, v66, s[2:3]
	v_fma_f64 v[66:67], -v[48:49], v[50:51], 1.0
	v_fmac_f64_e32 v[50:51], v[50:51], v[66:67]
	v_fma_f64 v[66:67], -v[48:49], v[50:51], 1.0
	v_fmac_f64_e32 v[50:51], v[50:51], v[66:67]
	v_div_scale_f64 v[66:67], vcc, s[30:31], v[18:19], s[30:31]
	v_mul_f64 v[68:69], v[66:67], v[50:51]
	v_fma_f64 v[48:49], -v[48:49], v[68:69], v[66:67]
	v_div_scale_f64 v[66:67], s[34:35], v[96:97], v[96:97], v[82:83]
	v_rcp_f64_e32 v[84:85], v[66:67]
	v_div_fmas_f64 v[48:49], v[48:49], v[50:51], v[68:69]
	v_div_fixup_f64 v[48:49], v[48:49], v[18:19], s[30:31]
	v_cndmask_b32_e64 v23, v98, v7, s[2:3]
	v_fma_f64 v[50:51], -v[66:67], v[84:85], 1.0
	v_fmac_f64_e32 v[84:85], v[84:85], v[50:51]
	v_fma_f64 v[50:51], -v[66:67], v[84:85], 1.0
	v_fmac_f64_e32 v[84:85], v[84:85], v[50:51]
	v_div_scale_f64 v[50:51], vcc, v[82:83], v[96:97], v[82:83]
	v_mul_f64 v[68:69], v[50:51], v[84:85]
	v_fma_f64 v[50:51], -v[66:67], v[68:69], v[50:51]
	s_nop 1
	v_div_fmas_f64 v[50:51], v[50:51], v[84:85], v[68:69]
	v_div_fixup_f64 v[50:51], v[50:51], v[96:97], v[82:83]
	v_mul_f64 v[48:49], v[48:49], v[50:51]
	v_mul_f64 v[50:51], v[52:53], v[52:53]
	v_mul_f64 v[66:67], v[50:51], 0.5
	v_fmac_f64_e32 v[86:87], s[8:9], v[50:51]
	v_add_f64 v[68:69], -v[66:67], 1.0
	v_fma_f64 v[84:85], v[50:51], v[86:87], s[10:11]
	v_add_f64 v[82:83], -v[68:69], 1.0
	v_fma_f64 v[84:85], v[50:51], v[84:85], s[12:13]
	v_add_f64 v[66:67], v[82:83], -v[66:67]
	v_fma_f64 v[84:85], v[50:51], v[84:85], s[14:15]
	v_mul_f64 v[82:83], v[50:51], v[50:51]
	v_fma_f64 v[84:85], v[50:51], v[84:85], s[16:17]
	v_fma_f64 v[66:67], v[52:53], -v[54:55], v[66:67]
	v_fmac_f64_e32 v[66:67], v[82:83], v[84:85]
	v_fmac_f64_e32 v[80:81], s[18:19], v[50:51]
	v_add_f64 v[66:67], v[68:69], v[66:67]
	v_fma_f64 v[68:69], v[50:51], v[80:81], s[22:23]
	v_fma_f64 v[68:69], v[50:51], v[68:69], s[24:25]
	;; [unrolled: 1-line block ×3, first 2 shown]
	v_mul_f64 v[80:81], v[52:53], -v[50:51]
	v_mul_f64 v[82:83], v[54:55], 0.5
	v_fmac_f64_e32 v[82:83], v[80:81], v[68:69]
	v_fma_f64 v[50:51], v[50:51], v[82:83], -v[54:55]
	v_fmac_f64_e32 v[50:51], s[28:29], v[80:81]
	v_add_f64 v[50:51], v[52:53], -v[50:51]
	v_xor_b32_e32 v7, 0x80000000, v51
	v_and_b32_e32 v51, 1, v71
	v_cmp_eq_u32_e32 vcc, 0, v51
	v_lshlrev_b32_e32 v51, 30, v71
	v_and_b32_e32 v51, 0x80000000, v51
	v_cndmask_b32_e32 v7, v7, v67, vcc
	v_cndmask_b32_e32 v50, v50, v66, vcc
	v_xor_b32_e32 v7, v7, v51
	v_cndmask_b32_e64 v50, 0, v50, s[2:3]
	v_cndmask_b32_e64 v51, v98, v7, s[2:3]
	s_mov_b32 s2, 0
	s_brev_b32 s3, 8
	v_cmp_gt_f64_e32 vcc, s[2:3], v[18:19]
	v_mul_f64 v[48:49], v[48:49], v[50:51]
	v_fmac_f64_e32 v[48:49], v[64:65], v[22:23]
	v_cndmask_b32_e64 v7, 0, 1, vcc
	v_lshlrev_b32_e32 v7, 8, v7
	v_ldexp_f64 v[18:19], v[18:19], v7
	v_rsq_f64_e32 v[22:23], v[18:19]
	v_mov_b32_e32 v7, 0xffffff80
	v_cndmask_b32_e32 v7, 0, v7, vcc
	s_mov_b32 s2, 0x33d43651
	v_mul_f64 v[50:51], v[18:19], v[22:23]
	v_mul_f64 v[22:23], v[22:23], 0.5
	v_fma_f64 v[52:53], -v[22:23], v[50:51], 0.5
	v_fmac_f64_e32 v[50:51], v[50:51], v[52:53]
	v_fma_f64 v[54:55], -v[50:51], v[50:51], v[18:19]
	v_fmac_f64_e32 v[22:23], v[22:23], v[52:53]
	v_fmac_f64_e32 v[50:51], v[54:55], v[22:23]
	v_fma_f64 v[52:53], -v[50:51], v[50:51], v[18:19]
	v_fmac_f64_e32 v[50:51], v[52:53], v[22:23]
	v_ldexp_f64 v[22:23], v[50:51], v7
	v_mov_b32_e32 v7, 0x260
	s_mov_b32 s3, 0x3fe98845
	v_cmp_class_f64_e32 vcc, v[18:19], v7
	v_mul_f64 v[48:49], v[48:49], s[2:3]
	s_nop 0
	v_cndmask_b32_e32 v19, v23, v19, vcc
	v_cndmask_b32_e32 v18, v22, v18, vcc
	v_div_scale_f64 v[22:23], s[2:3], v[18:19], v[18:19], v[48:49]
	v_rcp_f64_e32 v[50:51], v[22:23]
	s_nop 0
	v_fma_f64 v[52:53], -v[22:23], v[50:51], 1.0
	v_fmac_f64_e32 v[50:51], v[50:51], v[52:53]
	v_fma_f64 v[52:53], -v[22:23], v[50:51], 1.0
	v_fmac_f64_e32 v[50:51], v[50:51], v[52:53]
	v_div_scale_f64 v[52:53], vcc, v[48:49], v[18:19], v[48:49]
	v_mul_f64 v[54:55], v[52:53], v[50:51]
	v_fma_f64 v[22:23], -v[22:23], v[54:55], v[52:53]
	s_nop 1
	v_div_fmas_f64 v[22:23], v[22:23], v[50:51], v[54:55]
	v_div_fixup_f64 v[22:23], v[22:23], v[18:19], v[48:49]
.LBB0_317:
	s_or_b64 exec, exec, s[6:7]
.LBB0_318:
	s_or_b64 exec, exec, s[4:5]
	v_add_u32_e32 v7, 0xd00, v5
	v_cmp_lt_i32_e32 vcc, v7, v4
                                        ; implicit-def: $vgpr18_vgpr19
	s_and_saveexec_b64 s[4:5], vcc
	s_cbranch_execz .LBB0_340
; %bb.319:
	s_mov_b32 s2, 0
	s_mov_b32 s3, 0x40140000
	s_waitcnt vmcnt(0) lgkmcnt(0)
	v_cmp_ge_f64_e32 vcc, s[2:3], v[14:15]
                                        ; implicit-def: $vgpr18_vgpr19
	s_and_saveexec_b64 s[2:3], vcc
	s_xor_b64 s[2:3], exec, s[2:3]
	s_cbranch_execz .LBB0_329
; %bb.320:
	v_mov_b32_e32 v18, 0
	v_cmp_neq_f64_e32 vcc, 0, v[14:15]
	v_mov_b32_e32 v19, 0xfff00000
	s_and_saveexec_b64 s[6:7], vcc
	s_cbranch_execz .LBB0_328
; %bb.321:
	v_mov_b32_e32 v18, 0
	v_cmp_ngt_f64_e32 vcc, 0, v[14:15]
	v_mov_b32_e32 v19, 0x7ff80000
	s_and_saveexec_b64 s[8:9], vcc
	s_cbranch_execz .LBB0_327
; %bb.322:
	s_mov_b32 s10, 0x88e368f1
	v_mul_f64 v[18:19], v[14:15], v[14:15]
	s_mov_b32 s11, 0x3ee4f8b5
	v_mul_f64 v[50:51], v[18:19], 0
	v_cmp_ngt_f64_e32 vcc, s[10:11], v[14:15]
                                        ; implicit-def: $vgpr48_vgpr49
	s_and_saveexec_b64 s[10:11], vcc
	s_xor_b64 s[10:11], exec, s[10:11]
	s_cbranch_execz .LBB0_324
; %bb.323:
	s_mov_b32 s12, 0xad1c8325
	s_mov_b32 s13, 0xc1f1dc53
	v_add_f64 v[48:49], v[50:51], s[12:13]
	v_mov_b32_e32 v52, 0xc772990d
	v_mov_b32_e32 v53, 0x427c7751
	s_mov_b32 s12, 0xa696b78c
	v_fmac_f64_e32 v[52:53], v[18:19], v[48:49]
	v_mov_b32_e32 v48, 0xe0d900f7
	v_mov_b32_e32 v49, 0xc2ec5614
	s_mov_b32 s13, 0x407f3902
	v_fmac_f64_e32 v[48:49], v[18:19], v[52:53]
	v_add_f64 v[52:53], v[50:51], s[12:13]
	v_mov_b32_e32 v54, 0x36a21a67
	v_mov_b32_e32 v55, 0x410536cb
	v_fmac_f64_e32 v[54:55], v[18:19], v[52:53]
	v_mov_b32_e32 v52, 0x2eac0634
	v_mov_b32_e32 v53, 0x41871934
	v_fmac_f64_e32 v[52:53], v[18:19], v[54:55]
	;; [unrolled: 3-line block ×6, first 2 shown]
	v_mov_b32_e32 v54, 0xc7b662cc
	v_mov_b32_e32 v55, 0x43b7be34
	s_mov_b32 s12, 0x80462bbb
	v_fmac_f64_e32 v[54:55], v[18:19], v[52:53]
	v_mov_b32_e32 v52, 0x69ff5fb4
	v_mov_b32_e32 v53, 0x43413ef8
	s_mov_b32 s13, 0xc01721fb
	v_fmac_f64_e32 v[52:53], v[18:19], v[48:49]
	v_add_f64 v[48:49], v[18:19], s[12:13]
	s_mov_b32 s12, 0xa621dd6f
	s_mov_b32 s13, 0xc03e78a4
	v_add_f64 v[64:65], v[18:19], s[12:13]
	v_mul_f64 v[48:49], v[48:49], v[64:65]
	v_mul_f64 v[48:49], v[48:49], v[52:53]
	v_div_scale_f64 v[52:53], s[12:13], v[54:55], v[54:55], v[48:49]
	v_rcp_f64_e32 v[64:65], v[52:53]
	s_nop 0
	v_fma_f64 v[66:67], -v[52:53], v[64:65], 1.0
	v_fmac_f64_e32 v[64:65], v[64:65], v[66:67]
	v_fma_f64 v[66:67], -v[52:53], v[64:65], 1.0
	v_fmac_f64_e32 v[64:65], v[64:65], v[66:67]
	v_div_scale_f64 v[66:67], vcc, v[48:49], v[54:55], v[48:49]
	v_mul_f64 v[68:69], v[66:67], v[64:65]
	v_fma_f64 v[52:53], -v[52:53], v[68:69], v[66:67]
	s_nop 1
	v_div_fmas_f64 v[52:53], v[52:53], v[64:65], v[68:69]
	v_div_fixup_f64 v[48:49], v[52:53], v[54:55], v[48:49]
.LBB0_324:
	s_andn2_saveexec_b64 s[10:11], s[10:11]
; %bb.325:
	s_mov_b32 s12, 0
	s_mov_b32 s13, 0xbfd00000
	v_fma_f64 v[48:49], v[18:19], s[12:13], 1.0
; %bb.326:
	s_or_b64 exec, exec, s[10:11]
	s_mov_b32 s10, 0xe896898f
	s_mov_b32 s11, 0x40ce7437
	v_add_f64 v[52:53], v[50:51], s[10:11]
	v_mov_b32_e32 v54, 0x32e48896
	v_mov_b32_e32 v55, 0xc16bf81f
	v_fmac_f64_e32 v[54:55], v[18:19], v[52:53]
	v_mov_b32_e32 v52, 0xf0284cdd
	v_mov_b32_e32 v53, 0x41f43f78
	v_fmac_f64_e32 v[52:53], v[18:19], v[54:55]
	;; [unrolled: 3-line block ×4, first 2 shown]
	v_mov_b32_e32 v54, 0xd1d8cc02
	v_mov_b32_e32 v55, 0xc328a121
	s_mov_b32 s10, 0x576dfcb6
	v_fmac_f64_e32 v[54:55], v[18:19], v[52:53]
	v_mov_b32_e32 v52, 0x660b4003
	v_mov_b32_e32 v53, 0x4363a94b
	s_mov_b32 s11, 0x40904522
	v_fmac_f64_e32 v[52:53], v[18:19], v[54:55]
	v_add_f64 v[50:51], v[50:51], s[10:11]
	v_mov_b32_e32 v54, 0xa907bc0c
	v_mov_b32_e32 v55, 0x41231b76
	v_fmac_f64_e32 v[54:55], v[18:19], v[50:51]
	v_mov_b32_e32 v50, 0x5164d101
	v_mov_b32_e32 v51, 0x41b00763
	v_fmac_f64_e32 v[50:51], v[18:19], v[54:55]
	v_mov_b32_e32 v54, 0x2b8664bc
	v_mov_b32_e32 v55, 0x42341ddb
	v_fmac_f64_e32 v[54:55], v[18:19], v[50:51]
	v_mov_b32_e32 v50, 0xc57e828e
	v_mov_b32_e32 v51, 0x42b275fc
	v_fmac_f64_e32 v[50:51], v[18:19], v[54:55]
	v_mov_b32_e32 v54, 0xdfeb596d
	v_mov_b32_e32 v55, 0x43268910
	v_fmac_f64_e32 v[54:55], v[18:19], v[50:51]
	v_mov_b32_e32 v50, 0xbcf9b5d0
	v_mov_b32_e32 v51, 0x438bd25f
	v_fmac_f64_e32 v[50:51], v[18:19], v[54:55]
	v_mov_b32_e32 v54, 0x5906367b
	v_mov_b32_e32 v55, 0xc3506d4b
	v_fmac_f64_e32 v[54:55], v[18:19], v[52:53]
	v_div_scale_f64 v[18:19], s[10:11], v[50:51], v[50:51], v[54:55]
	v_rcp_f64_e32 v[52:53], v[18:19]
	s_mov_b32 s10, 0x55555555
	v_frexp_exp_i32_f64_e32 v7, v[14:15]
	v_frexp_mant_f64_e32 v[14:15], v[14:15]
	v_fma_f64 v[64:65], -v[18:19], v[52:53], 1.0
	v_fmac_f64_e32 v[52:53], v[52:53], v[64:65]
	v_fma_f64 v[64:65], -v[18:19], v[52:53], 1.0
	v_fmac_f64_e32 v[52:53], v[52:53], v[64:65]
	v_div_scale_f64 v[64:65], vcc, v[54:55], v[50:51], v[54:55]
	v_mul_f64 v[66:67], v[64:65], v[52:53]
	v_fma_f64 v[18:19], -v[18:19], v[66:67], v[64:65]
	s_mov_b32 s11, 0x3fe55555
	s_nop 0
	v_div_fmas_f64 v[18:19], v[18:19], v[52:53], v[66:67]
	v_div_fixup_f64 v[18:19], v[18:19], v[50:51], v[54:55]
	v_mov_b32_e32 v50, 0x3ff00000
	v_cmp_gt_f64_e32 vcc, s[10:11], v[14:15]
	s_mov_b32 s10, 0xbf559e2b
	s_mov_b32 s11, 0x3fc3ab76
	v_cndmask_b32_e64 v51, v50, 2.0, vcc
	v_mov_b32_e32 v50, 0
	v_mul_f64 v[14:15], v[14:15], v[50:51]
	v_add_f64 v[50:51], v[14:15], 1.0
	v_rcp_f64_e32 v[52:53], v[50:51]
	v_add_f64 v[64:65], v[50:51], -1.0
	v_add_f64 v[54:55], v[14:15], -1.0
	v_add_f64 v[14:15], v[14:15], -v[64:65]
	v_fma_f64 v[64:65], -v[50:51], v[52:53], 1.0
	v_fmac_f64_e32 v[52:53], v[64:65], v[52:53]
	v_fma_f64 v[64:65], -v[50:51], v[52:53], 1.0
	v_fmac_f64_e32 v[52:53], v[64:65], v[52:53]
	v_mul_f64 v[64:65], v[54:55], v[52:53]
	v_mul_f64 v[66:67], v[50:51], v[64:65]
	v_fma_f64 v[50:51], v[64:65], v[50:51], -v[66:67]
	v_fmac_f64_e32 v[50:51], v[64:65], v[14:15]
	v_add_f64 v[14:15], v[66:67], v[50:51]
	v_add_f64 v[68:69], v[54:55], -v[14:15]
	v_add_f64 v[66:67], v[14:15], -v[66:67]
	;; [unrolled: 1-line block ×5, first 2 shown]
	v_add_f64 v[14:15], v[50:51], v[14:15]
	v_add_f64 v[14:15], v[68:69], v[14:15]
	v_mul_f64 v[14:15], v[52:53], v[14:15]
	v_add_f64 v[50:51], v[64:65], v[14:15]
	v_add_f64 v[52:53], v[50:51], -v[64:65]
	v_add_f64 v[14:15], v[14:15], -v[52:53]
	v_mul_f64 v[52:53], v[50:51], v[50:51]
	v_mov_b32_e32 v54, 0x6b47b09a
	v_mov_b32_e32 v55, 0x3fc38538
	v_fmac_f64_e32 v[54:55], s[10:11], v[52:53]
	v_mov_b32_e32 v64, 0xd7f4df2e
	v_mov_b32_e32 v65, 0x3fc7474d
	v_fmac_f64_e32 v[64:65], v[52:53], v[54:55]
	;; [unrolled: 3-line block ×6, first 2 shown]
	v_ldexp_f64 v[54:55], v[50:51], 1
	v_mul_f64 v[50:51], v[50:51], v[52:53]
	v_mul_f64 v[50:51], v[50:51], v[64:65]
	v_add_f64 v[52:53], v[54:55], v[50:51]
	v_add_f64 v[54:55], v[52:53], -v[54:55]
	v_ldexp_f64 v[14:15], v[14:15], 1
	v_add_f64 v[50:51], v[50:51], -v[54:55]
	v_add_f64 v[14:15], v[14:15], v[50:51]
	v_add_f64 v[50:51], v[52:53], v[14:15]
	v_subbrev_co_u32_e32 v7, vcc, 0, v7, vcc
	v_add_f64 v[52:53], v[50:51], -v[52:53]
	s_mov_b32 s10, 0xfefa39ef
	v_add_f64 v[14:15], v[14:15], -v[52:53]
	v_cvt_f64_i32_e32 v[52:53], v7
	s_mov_b32 s11, 0x3fe62e42
	v_mul_f64 v[54:55], v[52:53], s[10:11]
	v_fma_f64 v[64:65], v[52:53], s[10:11], -v[54:55]
	s_mov_b32 s10, 0x3b39803f
	s_mov_b32 s11, 0x3c7abc9e
	v_fmac_f64_e32 v[64:65], s[10:11], v[52:53]
	v_add_f64 v[52:53], v[54:55], v[64:65]
	v_add_f64 v[54:55], v[52:53], -v[54:55]
	v_add_f64 v[54:55], v[64:65], -v[54:55]
	v_add_f64 v[64:65], v[52:53], v[50:51]
	v_add_f64 v[66:67], v[64:65], -v[52:53]
	v_add_f64 v[68:69], v[64:65], -v[66:67]
	;; [unrolled: 1-line block ×4, first 2 shown]
	v_add_f64 v[50:51], v[50:51], v[52:53]
	v_add_f64 v[52:53], v[54:55], v[14:15]
	v_add_f64 v[66:67], v[52:53], -v[54:55]
	v_add_f64 v[68:69], v[52:53], -v[66:67]
	v_add_f64 v[50:51], v[52:53], v[50:51]
	v_add_f64 v[54:55], v[54:55], -v[68:69]
	v_add_f64 v[14:15], v[14:15], -v[66:67]
	v_add_f64 v[52:53], v[64:65], v[50:51]
	v_add_f64 v[14:15], v[14:15], v[54:55]
	v_add_f64 v[54:55], v[52:53], -v[64:65]
	v_add_f64 v[50:51], v[50:51], -v[54:55]
	v_add_f64 v[14:15], v[14:15], v[50:51]
	s_mov_b32 s10, 0x6dc9c883
	v_add_f64 v[14:15], v[52:53], v[14:15]
	s_mov_b32 s11, 0x3fe45f30
	v_mul_f64 v[14:15], v[14:15], s[10:11]
	v_fmac_f64_e32 v[18:19], v[14:15], v[48:49]
.LBB0_327:
	s_or_b64 exec, exec, s[8:9]
.LBB0_328:
	s_or_b64 exec, exec, s[6:7]
                                        ; implicit-def: $vgpr14_vgpr15
.LBB0_329:
	s_andn2_saveexec_b64 s[6:7], s[2:3]
	s_cbranch_execz .LBB0_339
; %bb.330:
	s_mov_b32 s11, 0xbfe921fb
	s_mov_b32 s10, 0x54442d18
	;; [unrolled: 1-line block ×3, first 2 shown]
	v_add_f64 v[18:19], v[14:15], s[10:11]
	s_mov_b32 s3, 0x41d00000
	v_cmp_nlt_f64_e64 s[8:9], |v[18:19]|, s[2:3]
	v_trig_preop_f64 v[68:69], |v[18:19]|, 0
	v_trig_preop_f64 v[66:67], |v[18:19]|, 1
	;; [unrolled: 1-line block ×3, first 2 shown]
                                        ; implicit-def: $vgpr7
                                        ; implicit-def: $vgpr48_vgpr49
                                        ; implicit-def: $vgpr50_vgpr51
	s_and_saveexec_b64 s[2:3], s[8:9]
	s_xor_b64 s[12:13], exec, s[2:3]
	s_cbranch_execz .LBB0_332
; %bb.331:
	s_mov_b32 s2, 0
	s_mov_b32 s3, 0x7b000000
	s_movk_i32 s11, 0xff80
	v_and_b32_e32 v7, 0x7fffffff, v19
	v_ldexp_f64 v[48:49], |v[18:19]|, s11
	v_cmp_ge_f64_e64 vcc, |v[18:19]|, s[2:3]
	s_mov_b32 s2, 0
	s_mov_b32 s3, 0x7ff00000
	v_cndmask_b32_e32 v49, v7, v49, vcc
	v_cndmask_b32_e32 v48, v18, v48, vcc
	v_mul_f64 v[52:53], v[68:69], v[48:49]
	v_mul_f64 v[50:51], v[66:67], v[48:49]
	v_fma_f64 v[54:55], v[68:69], v[48:49], -v[52:53]
	v_add_f64 v[80:81], v[50:51], v[54:55]
	v_add_f64 v[82:83], v[52:53], v[80:81]
	v_ldexp_f64 v[84:85], v[82:83], -2
	v_fract_f64_e32 v[86:87], v[84:85]
	v_cmp_neq_f64_e64 vcc, |v[84:85]|, s[2:3]
	v_add_f64 v[52:53], v[82:83], -v[52:53]
	v_add_f64 v[52:53], v[80:81], -v[52:53]
	v_cndmask_b32_e32 v85, 0, v87, vcc
	v_cndmask_b32_e32 v84, 0, v86, vcc
	v_add_f64 v[86:87], v[80:81], -v[50:51]
	v_add_f64 v[54:55], v[54:55], -v[86:87]
	;; [unrolled: 1-line block ×4, first 2 shown]
	v_add_f64 v[54:55], v[54:55], v[86:87]
	v_fma_f64 v[50:51], v[66:67], v[48:49], -v[50:51]
	v_mul_f64 v[86:87], v[64:65], v[48:49]
	v_add_f64 v[98:99], v[86:87], v[50:51]
	v_add_f64 v[100:101], v[98:99], v[54:55]
	v_add_f64 v[82:83], v[100:101], -v[98:99]
	v_add_f64 v[54:55], v[54:55], -v[82:83]
	;; [unrolled: 1-line block ×4, first 2 shown]
	v_add_f64 v[54:55], v[54:55], v[82:83]
	v_add_f64 v[82:83], v[98:99], -v[86:87]
	v_add_f64 v[50:51], v[50:51], -v[82:83]
	;; [unrolled: 1-line block ×4, first 2 shown]
	v_add_f64 v[80:81], v[52:53], v[100:101]
	v_add_f64 v[50:51], v[50:51], v[82:83]
	v_add_f64 v[52:53], v[80:81], -v[52:53]
	v_add_f64 v[50:51], v[50:51], v[54:55]
	v_fma_f64 v[48:49], v[64:65], v[48:49], -v[86:87]
	v_add_f64 v[52:53], v[100:101], -v[52:53]
	v_add_f64 v[48:49], v[48:49], v[50:51]
	v_ldexp_f64 v[50:51], v[84:85], 2
	v_add_f64 v[48:49], v[52:53], v[48:49]
	v_add_f64 v[52:53], v[80:81], v[50:51]
	v_mov_b32_e32 v7, 0x40100000
	v_cmp_gt_f64_e32 vcc, 0, v[52:53]
	v_mov_b32_e32 v96, 0
	s_mov_b32 s11, 0x3ff921fb
	v_cndmask_b32_e32 v97, 0, v7, vcc
	v_add_f64 v[50:51], v[50:51], v[96:97]
	v_add_f64 v[52:53], v[80:81], v[50:51]
	v_cvt_i32_f64_e32 v7, v[52:53]
	v_cvt_f64_i32_e32 v[52:53], v7
	v_add_f64 v[50:51], v[50:51], -v[52:53]
	v_add_f64 v[52:53], v[80:81], v[50:51]
	v_add_f64 v[50:51], v[52:53], -v[50:51]
	v_add_f64 v[50:51], v[80:81], -v[50:51]
	v_add_f64 v[48:49], v[48:49], v[50:51]
	v_cmp_le_f64_e32 vcc, 0.5, v[52:53]
	v_mov_b32_e32 v50, 0x3ff00000
	s_nop 0
	v_cndmask_b32_e32 v97, 0, v50, vcc
	v_add_f64 v[50:51], v[52:53], -v[96:97]
	v_add_f64 v[52:53], v[50:51], v[48:49]
	v_addc_co_u32_e64 v7, s[2:3], 0, v7, vcc
	v_add_f64 v[50:51], v[52:53], -v[50:51]
	v_add_f64 v[48:49], v[48:49], -v[50:51]
	v_mul_f64 v[50:51], v[52:53], s[10:11]
	s_mov_b32 s2, 0x33145c07
	v_fma_f64 v[54:55], v[52:53], s[10:11], -v[50:51]
	s_mov_b32 s3, 0x3c91a626
	v_fmac_f64_e32 v[54:55], s[2:3], v[52:53]
	v_fmac_f64_e32 v[54:55], s[10:11], v[48:49]
	v_add_f64 v[48:49], v[50:51], v[54:55]
	v_add_f64 v[50:51], v[48:49], -v[50:51]
	v_add_f64 v[50:51], v[54:55], -v[50:51]
	s_andn2_saveexec_b64 s[2:3], s[12:13]
	s_cbranch_execz .LBB0_334
	s_branch .LBB0_333
.LBB0_332:
	s_andn2_saveexec_b64 s[2:3], s[12:13]
	s_cbranch_execz .LBB0_334
.LBB0_333:
	s_mov_b32 s10, 0x6dc9c883
	s_mov_b32 s11, 0x3fe45f30
	v_mul_f64 v[48:49], |v[18:19]|, s[10:11]
	s_mov_b32 s10, 0x54442d18
	v_rndne_f64_e32 v[52:53], v[48:49]
	s_mov_b32 s11, 0xbff921fb
	v_fma_f64 v[48:49], v[52:53], s[10:11], |v[18:19]|
	s_mov_b32 s11, 0xbc91a626
	s_mov_b32 s10, 0x33145c00
	v_mul_f64 v[54:55], v[52:53], s[10:11]
	v_add_f64 v[82:83], v[48:49], v[54:55]
	v_fma_f64 v[50:51], s[10:11], v[52:53], v[48:49]
	s_mov_b32 s11, 0x3c91a626
	v_add_f64 v[48:49], v[48:49], -v[82:83]
	v_fma_f64 v[80:81], s[10:11], v[52:53], v[54:55]
	v_add_f64 v[48:49], v[48:49], v[54:55]
	v_add_f64 v[54:55], v[82:83], -v[50:51]
	v_add_f64 v[48:49], v[54:55], v[48:49]
	s_mov_b32 s10, 0x252049c0
	v_add_f64 v[54:55], v[48:49], -v[80:81]
	s_mov_b32 s11, 0xb97b839a
	v_fmac_f64_e32 v[54:55], s[10:11], v[52:53]
	v_add_f64 v[48:49], v[50:51], v[54:55]
	v_add_f64 v[50:51], v[48:49], -v[50:51]
	v_add_f64 v[50:51], v[54:55], -v[50:51]
	v_cvt_i32_f64_e32 v7, v[52:53]
.LBB0_334:
	s_or_b64 exec, exec, s[2:3]
                                        ; implicit-def: $vgpr71
                                        ; implicit-def: $vgpr52_vgpr53
                                        ; implicit-def: $vgpr54_vgpr55
	s_and_saveexec_b64 s[2:3], s[8:9]
	s_xor_b64 s[8:9], exec, s[2:3]
	s_cbranch_execz .LBB0_336
; %bb.335:
	s_mov_b32 s2, 0
	s_mov_b32 s3, 0x7b000000
	s_movk_i32 s10, 0xff80
	v_and_b32_e32 v54, 0x7fffffff, v19
	v_ldexp_f64 v[52:53], |v[18:19]|, s10
	v_cmp_ge_f64_e64 vcc, |v[18:19]|, s[2:3]
	s_mov_b32 s2, 0
	s_mov_b32 s3, 0x7ff00000
	v_cndmask_b32_e32 v53, v54, v53, vcc
	v_cndmask_b32_e32 v52, v18, v52, vcc
	v_mul_f64 v[80:81], v[68:69], v[52:53]
	v_mul_f64 v[54:55], v[66:67], v[52:53]
	v_fma_f64 v[68:69], v[68:69], v[52:53], -v[80:81]
	v_add_f64 v[82:83], v[54:55], v[68:69]
	v_add_f64 v[84:85], v[80:81], v[82:83]
	v_ldexp_f64 v[86:87], v[84:85], -2
	v_fract_f64_e32 v[96:97], v[86:87]
	v_cmp_neq_f64_e64 vcc, |v[86:87]|, s[2:3]
	v_add_f64 v[80:81], v[84:85], -v[80:81]
	v_add_f64 v[80:81], v[82:83], -v[80:81]
	v_cndmask_b32_e32 v87, 0, v97, vcc
	v_cndmask_b32_e32 v86, 0, v96, vcc
	v_add_f64 v[96:97], v[82:83], -v[54:55]
	v_add_f64 v[68:69], v[68:69], -v[96:97]
	;; [unrolled: 1-line block ×4, first 2 shown]
	v_fma_f64 v[54:55], v[66:67], v[52:53], -v[54:55]
	v_mul_f64 v[66:67], v[64:65], v[52:53]
	v_add_f64 v[68:69], v[68:69], v[96:97]
	v_add_f64 v[96:97], v[66:67], v[54:55]
	;; [unrolled: 1-line block ×3, first 2 shown]
	v_add_f64 v[84:85], v[100:101], -v[96:97]
	v_add_f64 v[68:69], v[68:69], -v[84:85]
	;; [unrolled: 1-line block ×4, first 2 shown]
	v_add_f64 v[68:69], v[68:69], v[84:85]
	v_add_f64 v[84:85], v[96:97], -v[66:67]
	v_add_f64 v[54:55], v[54:55], -v[84:85]
	;; [unrolled: 1-line block ×4, first 2 shown]
	v_add_f64 v[54:55], v[54:55], v[84:85]
	v_add_f64 v[54:55], v[54:55], v[68:69]
	v_fma_f64 v[52:53], v[64:65], v[52:53], -v[66:67]
	v_add_f64 v[82:83], v[80:81], v[100:101]
	v_add_f64 v[52:53], v[52:53], v[54:55]
	v_ldexp_f64 v[54:55], v[86:87], 2
	v_add_f64 v[64:65], v[82:83], v[54:55]
	v_mov_b32_e32 v66, 0x40100000
	v_cmp_gt_f64_e32 vcc, 0, v[64:65]
	v_mov_b32_e32 v98, 0
	v_add_f64 v[80:81], v[82:83], -v[80:81]
	v_cndmask_b32_e32 v99, 0, v66, vcc
	v_add_f64 v[54:55], v[54:55], v[98:99]
	v_add_f64 v[64:65], v[82:83], v[54:55]
	v_cvt_i32_f64_e32 v66, v[64:65]
	v_cvt_f64_i32_e32 v[64:65], v66
	v_add_f64 v[54:55], v[54:55], -v[64:65]
	v_add_f64 v[64:65], v[82:83], v[54:55]
	v_add_f64 v[80:81], v[100:101], -v[80:81]
	v_add_f64 v[54:55], v[64:65], -v[54:55]
	v_add_f64 v[52:53], v[80:81], v[52:53]
	v_add_f64 v[54:55], v[82:83], -v[54:55]
	v_add_f64 v[52:53], v[52:53], v[54:55]
	v_cmp_le_f64_e32 vcc, 0.5, v[64:65]
	v_mov_b32_e32 v54, 0x3ff00000
	s_mov_b32 s10, 0x33145c07
	v_cndmask_b32_e32 v99, 0, v54, vcc
	v_addc_co_u32_e64 v71, s[2:3], 0, v66, vcc
	v_add_f64 v[54:55], v[64:65], -v[98:99]
	v_add_f64 v[64:65], v[54:55], v[52:53]
	s_mov_b32 s2, 0x54442d18
	v_add_f64 v[54:55], v[64:65], -v[54:55]
	s_mov_b32 s3, 0x3ff921fb
	v_add_f64 v[52:53], v[52:53], -v[54:55]
	v_mul_f64 v[54:55], v[64:65], s[2:3]
	v_fma_f64 v[66:67], v[64:65], s[2:3], -v[54:55]
	s_mov_b32 s11, 0x3c91a626
	v_fmac_f64_e32 v[66:67], s[10:11], v[64:65]
	v_fmac_f64_e32 v[66:67], s[2:3], v[52:53]
	v_add_f64 v[52:53], v[54:55], v[66:67]
	v_add_f64 v[54:55], v[52:53], -v[54:55]
	v_add_f64 v[54:55], v[66:67], -v[54:55]
	s_andn2_saveexec_b64 s[2:3], s[8:9]
	s_cbranch_execnz .LBB0_337
	s_branch .LBB0_338
.LBB0_336:
	s_andn2_saveexec_b64 s[2:3], s[8:9]
	s_cbranch_execz .LBB0_338
.LBB0_337:
	s_mov_b32 s8, 0x6dc9c883
	s_mov_b32 s9, 0x3fe45f30
	v_mul_f64 v[52:53], |v[18:19]|, s[8:9]
	s_mov_b32 s8, 0x54442d18
	v_rndne_f64_e32 v[64:65], v[52:53]
	s_mov_b32 s9, 0xbff921fb
	v_fma_f64 v[52:53], v[64:65], s[8:9], |v[18:19]|
	s_mov_b32 s9, 0xbc91a626
	s_mov_b32 s8, 0x33145c00
	v_mul_f64 v[66:67], v[64:65], s[8:9]
	v_add_f64 v[80:81], v[52:53], v[66:67]
	v_fma_f64 v[54:55], s[8:9], v[64:65], v[52:53]
	s_mov_b32 s9, 0x3c91a626
	v_add_f64 v[52:53], v[52:53], -v[80:81]
	v_fma_f64 v[68:69], s[8:9], v[64:65], v[66:67]
	v_add_f64 v[52:53], v[52:53], v[66:67]
	v_add_f64 v[66:67], v[80:81], -v[54:55]
	v_add_f64 v[52:53], v[66:67], v[52:53]
	s_mov_b32 s8, 0x252049c0
	v_add_f64 v[66:67], v[52:53], -v[68:69]
	s_mov_b32 s9, 0xb97b839a
	v_fmac_f64_e32 v[66:67], s[8:9], v[64:65]
	v_add_f64 v[52:53], v[54:55], v[66:67]
	v_add_f64 v[54:55], v[52:53], -v[54:55]
	v_add_f64 v[54:55], v[66:67], -v[54:55]
	v_cvt_i32_f64_e32 v71, v[64:65]
.LBB0_338:
	s_or_b64 exec, exec, s[2:3]
	s_mov_b32 s2, 0
	v_mul_f64 v[64:65], v[14:15], v[14:15]
	s_mov_b32 s3, 0x40390000
	v_div_scale_f64 v[66:67], s[8:9], v[64:65], v[64:65], s[2:3]
	v_rcp_f64_e32 v[68:69], v[66:67]
	v_mov_b32_e32 v84, 0xb1759c7f
	v_mov_b32_e32 v85, 0x408ac370
	;; [unrolled: 1-line block ×3, first 2 shown]
	v_fma_f64 v[80:81], -v[66:67], v[68:69], 1.0
	v_fmac_f64_e32 v[68:69], v[68:69], v[80:81]
	v_fma_f64 v[80:81], -v[66:67], v[68:69], 1.0
	v_fmac_f64_e32 v[68:69], v[68:69], v[80:81]
	v_div_scale_f64 v[80:81], vcc, s[2:3], v[64:65], s[2:3]
	v_mul_f64 v[82:83], v[80:81], v[68:69]
	v_fma_f64 v[66:67], -v[66:67], v[82:83], v[80:81]
	v_mov_b32_e32 v80, 0xab5454e3
	s_nop 0
	v_div_fmas_f64 v[66:67], v[66:67], v[68:69], v[82:83]
	v_div_fixup_f64 v[64:65], v[66:67], v[64:65], s[2:3]
	v_mov_b32_e32 v66, 0x983b6b27
	v_mov_b32_e32 v67, 0x3f4a1d30
	v_fmac_f64_e32 v[66:67], 0, v[64:65]
	v_mov_b32_e32 v68, 0xb35dd1cf
	v_mov_b32_e32 v69, 0x3fb534b0
	v_fmac_f64_e32 v[68:69], v[64:65], v[66:67]
	;; [unrolled: 3-line block ×7, first 2 shown]
	v_mov_b32_e32 v81, 0x3fb5ebc5
	v_fmac_f64_e32 v[80:81], v[64:65], v[66:67]
	v_mov_b32_e32 v66, 0xc9b3069f
	v_mov_b32_e32 v67, 0x3ff40e72
	v_fmac_f64_e32 v[66:67], v[64:65], v[80:81]
	v_mov_b32_e32 v80, 0xe68162bb
	v_mov_b32_e32 v81, 0x4015e247
	v_fmac_f64_e32 v[80:81], v[64:65], v[66:67]
	v_mov_b32_e32 v66, 0xea1b21a1
	v_mov_b32_e32 v67, 0x40218618
	v_fmac_f64_e32 v[66:67], v[64:65], v[80:81]
	v_mov_b32_e32 v80, 0xed423a19
	v_mov_b32_e32 v81, 0x40153965
	v_fmac_f64_e32 v[80:81], v[64:65], v[66:67]
	v_fma_f64 v[66:67], v[64:65], v[80:81], 1.0
	v_mov_b32_e32 v80, 0x38a5384a
	v_mov_b32_e32 v81, 0xbf874742
	v_fmac_f64_e32 v[80:81], 0, v[64:65]
	v_mov_b32_e32 v82, 0x3a321174
	v_mov_b32_e32 v83, 0xbff4853b
	v_fmac_f64_e32 v[82:83], v[64:65], v[80:81]
	;; [unrolled: 3-line block ×9, first 2 shown]
	v_fmac_f64_e32 v[84:85], v[64:65], v[80:81]
	v_mov_b32_e32 v80, 0xbd748cb5
	v_mov_b32_e32 v81, 0x40ae54cd
	v_fmac_f64_e32 v[80:81], v[64:65], v[84:85]
	v_mov_b32_e32 v84, 0xbdefd63e
	v_mov_b32_e32 v85, 0x40bc4877
	;; [unrolled: 3-line block ×4, first 2 shown]
	v_fma_f64 v[68:69], v[64:65], v[68:69], 1.0
	v_fmac_f64_e32 v[84:85], v[64:65], v[80:81]
	v_div_scale_f64 v[80:81], s[2:3], v[66:67], v[66:67], v[68:69]
	v_rcp_f64_e32 v[86:87], v[80:81]
	v_mov_b32_e32 v97, 0x406e402f
	v_fmac_f64_e32 v[96:97], v[64:65], v[84:85]
	s_mov_b32 s2, 0x9037ab78
	v_fma_f64 v[64:65], -v[80:81], v[86:87], 1.0
	v_fmac_f64_e32 v[86:87], v[86:87], v[64:65]
	v_fma_f64 v[64:65], -v[80:81], v[86:87], 1.0
	v_fmac_f64_e32 v[86:87], v[86:87], v[64:65]
	v_div_scale_f64 v[64:65], vcc, v[68:69], v[66:67], v[68:69]
	v_mul_f64 v[84:85], v[64:65], v[86:87]
	v_fma_f64 v[64:65], -v[80:81], v[84:85], v[64:65]
	s_mov_b32 s3, 0x3e21eeb6
	s_nop 0
	v_div_fmas_f64 v[64:65], v[64:65], v[86:87], v[84:85]
	s_mov_b32 s8, 0x46cc5e42
	v_div_fixup_f64 v[64:65], v[64:65], v[66:67], v[68:69]
	v_mul_f64 v[66:67], v[48:49], v[48:49]
	s_mov_b32 s9, 0xbda907db
	v_mov_b64_e32 v[86:87], s[2:3]
	s_mov_b32 s10, 0xa17f65f6
	v_mul_f64 v[68:69], v[66:67], 0.5
	v_fma_f64 v[98:99], s[8:9], v[66:67], v[86:87]
	s_mov_b32 s11, 0xbe927e4f
	s_mov_b32 s12, 0x19f4ec90
	v_add_f64 v[80:81], -v[68:69], 1.0
	v_fma_f64 v[98:99], v[66:67], v[98:99], s[10:11]
	s_mov_b32 s13, 0x3efa01a0
	s_mov_b32 s14, 0x16c16967
	v_add_f64 v[84:85], -v[80:81], 1.0
	v_fma_f64 v[98:99], v[66:67], v[98:99], s[12:13]
	s_mov_b32 s15, 0xbf56c16c
	s_mov_b32 s16, 0x55555555
	v_add_f64 v[68:69], v[84:85], -v[68:69]
	v_fma_f64 v[98:99], v[66:67], v[98:99], s[14:15]
	s_mov_b32 s17, 0x3fa55555
	v_mul_f64 v[84:85], v[66:67], v[66:67]
	v_fma_f64 v[98:99], v[66:67], v[98:99], s[16:17]
	v_fma_f64 v[68:69], v[48:49], -v[50:51], v[68:69]
	s_mov_b32 s2, 0xb42fdfa7
	v_fmac_f64_e32 v[68:69], v[84:85], v[98:99]
	s_mov_b32 s3, 0xbe5ae600
	s_mov_b32 s18, 0xf9a43bb8
	v_add_f64 v[68:69], v[80:81], v[68:69]
	s_mov_b32 s19, 0x3de5e0b2
	v_mov_b64_e32 v[80:81], s[2:3]
	s_mov_b32 s22, 0x796cde01
	v_fma_f64 v[84:85], s[18:19], v[66:67], v[80:81]
	s_mov_b32 s23, 0x3ec71de3
	s_mov_b32 s24, 0x19e83e5c
	v_fma_f64 v[84:85], v[66:67], v[84:85], s[22:23]
	s_mov_b32 s25, 0xbf2a01a0
	;; [unrolled: 3-line block ×3, first 2 shown]
	v_fma_f64 v[84:85], v[66:67], v[84:85], s[26:27]
	v_mul_f64 v[98:99], v[48:49], -v[66:67]
	v_mul_f64 v[100:101], v[50:51], 0.5
	v_fmac_f64_e32 v[100:101], v[98:99], v[84:85]
	v_fma_f64 v[50:51], v[66:67], v[100:101], -v[50:51]
	s_mov_b32 s29, 0xbfc55555
	s_mov_b32 s28, s16
	v_fmac_f64_e32 v[50:51], s[28:29], v[98:99]
	v_add_f64 v[48:49], v[48:49], -v[50:51]
	v_and_b32_e32 v50, 1, v7
	v_lshlrev_b32_e32 v7, 30, v7
	v_cmp_eq_u32_e32 vcc, 0, v50
	v_xor_b32_e32 v7, v7, v19
	s_mov_b32 s30, 0
	v_cndmask_b32_e32 v66, v68, v48, vcc
	v_cndmask_b32_e32 v48, v69, v49, vcc
	v_and_b32_e32 v7, 0x80000000, v7
	s_mov_b32 s31, 0x40140000
	v_xor_b32_e32 v7, v48, v7
	v_div_scale_f64 v[48:49], s[2:3], v[14:15], v[14:15], s[30:31]
	v_rcp_f64_e32 v[50:51], v[48:49]
	s_movk_i32 s21, 0x1f8
	v_cmp_class_f64_e64 s[2:3], v[18:19], s21
	v_mov_b32_e32 v98, 0x7ff80000
	s_nop 0
	v_cndmask_b32_e64 v18, 0, v66, s[2:3]
	v_fma_f64 v[66:67], -v[48:49], v[50:51], 1.0
	v_fmac_f64_e32 v[50:51], v[50:51], v[66:67]
	v_fma_f64 v[66:67], -v[48:49], v[50:51], 1.0
	v_fmac_f64_e32 v[50:51], v[50:51], v[66:67]
	v_div_scale_f64 v[66:67], vcc, s[30:31], v[14:15], s[30:31]
	v_mul_f64 v[68:69], v[66:67], v[50:51]
	v_fma_f64 v[48:49], -v[48:49], v[68:69], v[66:67]
	v_div_scale_f64 v[66:67], s[34:35], v[96:97], v[96:97], v[82:83]
	v_rcp_f64_e32 v[84:85], v[66:67]
	v_div_fmas_f64 v[48:49], v[48:49], v[50:51], v[68:69]
	v_div_fixup_f64 v[48:49], v[48:49], v[14:15], s[30:31]
	v_cndmask_b32_e64 v19, v98, v7, s[2:3]
	v_fma_f64 v[50:51], -v[66:67], v[84:85], 1.0
	v_fmac_f64_e32 v[84:85], v[84:85], v[50:51]
	v_fma_f64 v[50:51], -v[66:67], v[84:85], 1.0
	v_fmac_f64_e32 v[84:85], v[84:85], v[50:51]
	v_div_scale_f64 v[50:51], vcc, v[82:83], v[96:97], v[82:83]
	v_mul_f64 v[68:69], v[50:51], v[84:85]
	v_fma_f64 v[50:51], -v[66:67], v[68:69], v[50:51]
	s_nop 1
	v_div_fmas_f64 v[50:51], v[50:51], v[84:85], v[68:69]
	v_div_fixup_f64 v[50:51], v[50:51], v[96:97], v[82:83]
	v_mul_f64 v[48:49], v[48:49], v[50:51]
	v_mul_f64 v[50:51], v[52:53], v[52:53]
	v_mul_f64 v[66:67], v[50:51], 0.5
	v_fmac_f64_e32 v[86:87], s[8:9], v[50:51]
	v_add_f64 v[68:69], -v[66:67], 1.0
	v_fma_f64 v[84:85], v[50:51], v[86:87], s[10:11]
	v_add_f64 v[82:83], -v[68:69], 1.0
	v_fma_f64 v[84:85], v[50:51], v[84:85], s[12:13]
	v_add_f64 v[66:67], v[82:83], -v[66:67]
	v_fma_f64 v[84:85], v[50:51], v[84:85], s[14:15]
	v_mul_f64 v[82:83], v[50:51], v[50:51]
	v_fma_f64 v[84:85], v[50:51], v[84:85], s[16:17]
	v_fma_f64 v[66:67], v[52:53], -v[54:55], v[66:67]
	v_fmac_f64_e32 v[66:67], v[82:83], v[84:85]
	v_fmac_f64_e32 v[80:81], s[18:19], v[50:51]
	v_add_f64 v[66:67], v[68:69], v[66:67]
	v_fma_f64 v[68:69], v[50:51], v[80:81], s[22:23]
	v_fma_f64 v[68:69], v[50:51], v[68:69], s[24:25]
	;; [unrolled: 1-line block ×3, first 2 shown]
	v_mul_f64 v[80:81], v[52:53], -v[50:51]
	v_mul_f64 v[82:83], v[54:55], 0.5
	v_fmac_f64_e32 v[82:83], v[80:81], v[68:69]
	v_fma_f64 v[50:51], v[50:51], v[82:83], -v[54:55]
	v_fmac_f64_e32 v[50:51], s[28:29], v[80:81]
	v_add_f64 v[50:51], v[52:53], -v[50:51]
	v_xor_b32_e32 v7, 0x80000000, v51
	v_and_b32_e32 v51, 1, v71
	v_cmp_eq_u32_e32 vcc, 0, v51
	v_lshlrev_b32_e32 v51, 30, v71
	v_and_b32_e32 v51, 0x80000000, v51
	v_cndmask_b32_e32 v7, v7, v67, vcc
	v_cndmask_b32_e32 v50, v50, v66, vcc
	v_xor_b32_e32 v7, v7, v51
	v_cndmask_b32_e64 v50, 0, v50, s[2:3]
	v_cndmask_b32_e64 v51, v98, v7, s[2:3]
	s_mov_b32 s2, 0
	s_brev_b32 s3, 8
	v_cmp_gt_f64_e32 vcc, s[2:3], v[14:15]
	v_mul_f64 v[48:49], v[48:49], v[50:51]
	v_fmac_f64_e32 v[48:49], v[64:65], v[18:19]
	v_cndmask_b32_e64 v7, 0, 1, vcc
	v_lshlrev_b32_e32 v7, 8, v7
	v_ldexp_f64 v[14:15], v[14:15], v7
	v_rsq_f64_e32 v[18:19], v[14:15]
	v_mov_b32_e32 v7, 0xffffff80
	v_cndmask_b32_e32 v7, 0, v7, vcc
	s_mov_b32 s2, 0x33d43651
	v_mul_f64 v[50:51], v[14:15], v[18:19]
	v_mul_f64 v[18:19], v[18:19], 0.5
	v_fma_f64 v[52:53], -v[18:19], v[50:51], 0.5
	v_fmac_f64_e32 v[50:51], v[50:51], v[52:53]
	v_fma_f64 v[54:55], -v[50:51], v[50:51], v[14:15]
	v_fmac_f64_e32 v[18:19], v[18:19], v[52:53]
	v_fmac_f64_e32 v[50:51], v[54:55], v[18:19]
	v_fma_f64 v[52:53], -v[50:51], v[50:51], v[14:15]
	v_fmac_f64_e32 v[50:51], v[52:53], v[18:19]
	v_ldexp_f64 v[18:19], v[50:51], v7
	v_mov_b32_e32 v7, 0x260
	s_mov_b32 s3, 0x3fe98845
	v_cmp_class_f64_e32 vcc, v[14:15], v7
	v_mul_f64 v[48:49], v[48:49], s[2:3]
	s_nop 0
	v_cndmask_b32_e32 v15, v19, v15, vcc
	v_cndmask_b32_e32 v14, v18, v14, vcc
	v_div_scale_f64 v[18:19], s[2:3], v[14:15], v[14:15], v[48:49]
	v_rcp_f64_e32 v[50:51], v[18:19]
	s_nop 0
	v_fma_f64 v[52:53], -v[18:19], v[50:51], 1.0
	v_fmac_f64_e32 v[50:51], v[50:51], v[52:53]
	v_fma_f64 v[52:53], -v[18:19], v[50:51], 1.0
	v_fmac_f64_e32 v[50:51], v[50:51], v[52:53]
	v_div_scale_f64 v[52:53], vcc, v[48:49], v[14:15], v[48:49]
	v_mul_f64 v[54:55], v[52:53], v[50:51]
	v_fma_f64 v[18:19], -v[18:19], v[54:55], v[52:53]
	s_nop 1
	v_div_fmas_f64 v[18:19], v[18:19], v[50:51], v[54:55]
	v_div_fixup_f64 v[18:19], v[18:19], v[14:15], v[48:49]
.LBB0_339:
	s_or_b64 exec, exec, s[6:7]
.LBB0_340:
	s_or_b64 exec, exec, s[4:5]
	v_add_u32_e32 v7, 0xe00, v5
	v_cmp_lt_i32_e32 vcc, v7, v4
                                        ; implicit-def: $vgpr14_vgpr15
	s_and_saveexec_b64 s[4:5], vcc
	s_cbranch_execz .LBB0_362
; %bb.341:
	s_mov_b32 s2, 0
	s_mov_b32 s3, 0x40140000
	s_waitcnt vmcnt(0) lgkmcnt(0)
	v_cmp_ge_f64_e32 vcc, s[2:3], v[10:11]
                                        ; implicit-def: $vgpr14_vgpr15
	s_and_saveexec_b64 s[2:3], vcc
	s_xor_b64 s[2:3], exec, s[2:3]
	s_cbranch_execz .LBB0_351
; %bb.342:
	v_mov_b32_e32 v14, 0
	v_cmp_neq_f64_e32 vcc, 0, v[10:11]
	v_mov_b32_e32 v15, 0xfff00000
	s_and_saveexec_b64 s[6:7], vcc
	s_cbranch_execz .LBB0_350
; %bb.343:
	v_mov_b32_e32 v14, 0
	v_cmp_ngt_f64_e32 vcc, 0, v[10:11]
	v_mov_b32_e32 v15, 0x7ff80000
	s_and_saveexec_b64 s[8:9], vcc
	s_cbranch_execz .LBB0_349
; %bb.344:
	s_mov_b32 s10, 0x88e368f1
	v_mul_f64 v[14:15], v[10:11], v[10:11]
	s_mov_b32 s11, 0x3ee4f8b5
	v_mul_f64 v[50:51], v[14:15], 0
	v_cmp_ngt_f64_e32 vcc, s[10:11], v[10:11]
                                        ; implicit-def: $vgpr48_vgpr49
	s_and_saveexec_b64 s[10:11], vcc
	s_xor_b64 s[10:11], exec, s[10:11]
	s_cbranch_execz .LBB0_346
; %bb.345:
	s_mov_b32 s12, 0xad1c8325
	s_mov_b32 s13, 0xc1f1dc53
	v_add_f64 v[48:49], v[50:51], s[12:13]
	v_mov_b32_e32 v52, 0xc772990d
	v_mov_b32_e32 v53, 0x427c7751
	s_mov_b32 s12, 0xa696b78c
	v_fmac_f64_e32 v[52:53], v[14:15], v[48:49]
	v_mov_b32_e32 v48, 0xe0d900f7
	v_mov_b32_e32 v49, 0xc2ec5614
	s_mov_b32 s13, 0x407f3902
	v_fmac_f64_e32 v[48:49], v[14:15], v[52:53]
	v_add_f64 v[52:53], v[50:51], s[12:13]
	v_mov_b32_e32 v54, 0x36a21a67
	v_mov_b32_e32 v55, 0x410536cb
	v_fmac_f64_e32 v[54:55], v[14:15], v[52:53]
	v_mov_b32_e32 v52, 0x2eac0634
	v_mov_b32_e32 v53, 0x41871934
	v_fmac_f64_e32 v[52:53], v[14:15], v[54:55]
	;; [unrolled: 3-line block ×6, first 2 shown]
	v_mov_b32_e32 v54, 0xc7b662cc
	v_mov_b32_e32 v55, 0x43b7be34
	s_mov_b32 s12, 0x80462bbb
	v_fmac_f64_e32 v[54:55], v[14:15], v[52:53]
	v_mov_b32_e32 v52, 0x69ff5fb4
	v_mov_b32_e32 v53, 0x43413ef8
	s_mov_b32 s13, 0xc01721fb
	v_fmac_f64_e32 v[52:53], v[14:15], v[48:49]
	v_add_f64 v[48:49], v[14:15], s[12:13]
	s_mov_b32 s12, 0xa621dd6f
	s_mov_b32 s13, 0xc03e78a4
	v_add_f64 v[64:65], v[14:15], s[12:13]
	v_mul_f64 v[48:49], v[48:49], v[64:65]
	v_mul_f64 v[48:49], v[48:49], v[52:53]
	v_div_scale_f64 v[52:53], s[12:13], v[54:55], v[54:55], v[48:49]
	v_rcp_f64_e32 v[64:65], v[52:53]
	s_nop 0
	v_fma_f64 v[66:67], -v[52:53], v[64:65], 1.0
	v_fmac_f64_e32 v[64:65], v[64:65], v[66:67]
	v_fma_f64 v[66:67], -v[52:53], v[64:65], 1.0
	v_fmac_f64_e32 v[64:65], v[64:65], v[66:67]
	v_div_scale_f64 v[66:67], vcc, v[48:49], v[54:55], v[48:49]
	v_mul_f64 v[68:69], v[66:67], v[64:65]
	v_fma_f64 v[52:53], -v[52:53], v[68:69], v[66:67]
	s_nop 1
	v_div_fmas_f64 v[52:53], v[52:53], v[64:65], v[68:69]
	v_div_fixup_f64 v[48:49], v[52:53], v[54:55], v[48:49]
.LBB0_346:
	s_andn2_saveexec_b64 s[10:11], s[10:11]
; %bb.347:
	s_mov_b32 s12, 0
	s_mov_b32 s13, 0xbfd00000
	v_fma_f64 v[48:49], v[14:15], s[12:13], 1.0
; %bb.348:
	s_or_b64 exec, exec, s[10:11]
	s_mov_b32 s10, 0xe896898f
	s_mov_b32 s11, 0x40ce7437
	v_add_f64 v[52:53], v[50:51], s[10:11]
	v_mov_b32_e32 v54, 0x32e48896
	v_mov_b32_e32 v55, 0xc16bf81f
	v_fmac_f64_e32 v[54:55], v[14:15], v[52:53]
	v_mov_b32_e32 v52, 0xf0284cdd
	v_mov_b32_e32 v53, 0x41f43f78
	v_fmac_f64_e32 v[52:53], v[14:15], v[54:55]
	;; [unrolled: 3-line block ×4, first 2 shown]
	v_mov_b32_e32 v54, 0xd1d8cc02
	v_mov_b32_e32 v55, 0xc328a121
	s_mov_b32 s10, 0x576dfcb6
	v_fmac_f64_e32 v[54:55], v[14:15], v[52:53]
	v_mov_b32_e32 v52, 0x660b4003
	v_mov_b32_e32 v53, 0x4363a94b
	s_mov_b32 s11, 0x40904522
	v_fmac_f64_e32 v[52:53], v[14:15], v[54:55]
	v_add_f64 v[50:51], v[50:51], s[10:11]
	v_mov_b32_e32 v54, 0xa907bc0c
	v_mov_b32_e32 v55, 0x41231b76
	v_fmac_f64_e32 v[54:55], v[14:15], v[50:51]
	v_mov_b32_e32 v50, 0x5164d101
	v_mov_b32_e32 v51, 0x41b00763
	v_fmac_f64_e32 v[50:51], v[14:15], v[54:55]
	v_mov_b32_e32 v54, 0x2b8664bc
	v_mov_b32_e32 v55, 0x42341ddb
	v_fmac_f64_e32 v[54:55], v[14:15], v[50:51]
	v_mov_b32_e32 v50, 0xc57e828e
	v_mov_b32_e32 v51, 0x42b275fc
	v_fmac_f64_e32 v[50:51], v[14:15], v[54:55]
	v_mov_b32_e32 v54, 0xdfeb596d
	v_mov_b32_e32 v55, 0x43268910
	v_fmac_f64_e32 v[54:55], v[14:15], v[50:51]
	v_mov_b32_e32 v50, 0xbcf9b5d0
	v_mov_b32_e32 v51, 0x438bd25f
	v_fmac_f64_e32 v[50:51], v[14:15], v[54:55]
	v_mov_b32_e32 v54, 0x5906367b
	v_mov_b32_e32 v55, 0xc3506d4b
	v_fmac_f64_e32 v[54:55], v[14:15], v[52:53]
	v_div_scale_f64 v[14:15], s[10:11], v[50:51], v[50:51], v[54:55]
	v_rcp_f64_e32 v[52:53], v[14:15]
	s_mov_b32 s10, 0x55555555
	v_frexp_exp_i32_f64_e32 v7, v[10:11]
	v_frexp_mant_f64_e32 v[10:11], v[10:11]
	v_fma_f64 v[64:65], -v[14:15], v[52:53], 1.0
	v_fmac_f64_e32 v[52:53], v[52:53], v[64:65]
	v_fma_f64 v[64:65], -v[14:15], v[52:53], 1.0
	v_fmac_f64_e32 v[52:53], v[52:53], v[64:65]
	v_div_scale_f64 v[64:65], vcc, v[54:55], v[50:51], v[54:55]
	v_mul_f64 v[66:67], v[64:65], v[52:53]
	v_fma_f64 v[14:15], -v[14:15], v[66:67], v[64:65]
	s_mov_b32 s11, 0x3fe55555
	s_nop 0
	v_div_fmas_f64 v[14:15], v[14:15], v[52:53], v[66:67]
	v_div_fixup_f64 v[14:15], v[14:15], v[50:51], v[54:55]
	v_mov_b32_e32 v50, 0x3ff00000
	v_cmp_gt_f64_e32 vcc, s[10:11], v[10:11]
	s_mov_b32 s10, 0xbf559e2b
	s_mov_b32 s11, 0x3fc3ab76
	v_cndmask_b32_e64 v51, v50, 2.0, vcc
	v_mov_b32_e32 v50, 0
	v_mul_f64 v[10:11], v[10:11], v[50:51]
	v_add_f64 v[50:51], v[10:11], 1.0
	v_rcp_f64_e32 v[52:53], v[50:51]
	v_add_f64 v[64:65], v[50:51], -1.0
	v_add_f64 v[54:55], v[10:11], -1.0
	v_add_f64 v[10:11], v[10:11], -v[64:65]
	v_fma_f64 v[64:65], -v[50:51], v[52:53], 1.0
	v_fmac_f64_e32 v[52:53], v[64:65], v[52:53]
	v_fma_f64 v[64:65], -v[50:51], v[52:53], 1.0
	v_fmac_f64_e32 v[52:53], v[64:65], v[52:53]
	v_mul_f64 v[64:65], v[54:55], v[52:53]
	v_mul_f64 v[66:67], v[50:51], v[64:65]
	v_fma_f64 v[50:51], v[64:65], v[50:51], -v[66:67]
	v_fmac_f64_e32 v[50:51], v[64:65], v[10:11]
	v_add_f64 v[10:11], v[66:67], v[50:51]
	v_add_f64 v[68:69], v[54:55], -v[10:11]
	v_add_f64 v[66:67], v[10:11], -v[66:67]
	;; [unrolled: 1-line block ×5, first 2 shown]
	v_add_f64 v[10:11], v[50:51], v[10:11]
	v_add_f64 v[10:11], v[68:69], v[10:11]
	v_mul_f64 v[10:11], v[52:53], v[10:11]
	v_add_f64 v[50:51], v[64:65], v[10:11]
	v_add_f64 v[52:53], v[50:51], -v[64:65]
	v_add_f64 v[10:11], v[10:11], -v[52:53]
	v_mul_f64 v[52:53], v[50:51], v[50:51]
	v_mov_b32_e32 v54, 0x6b47b09a
	v_mov_b32_e32 v55, 0x3fc38538
	v_fmac_f64_e32 v[54:55], s[10:11], v[52:53]
	v_mov_b32_e32 v64, 0xd7f4df2e
	v_mov_b32_e32 v65, 0x3fc7474d
	v_fmac_f64_e32 v[64:65], v[52:53], v[54:55]
	;; [unrolled: 3-line block ×6, first 2 shown]
	v_ldexp_f64 v[54:55], v[50:51], 1
	v_mul_f64 v[50:51], v[50:51], v[52:53]
	v_mul_f64 v[50:51], v[50:51], v[64:65]
	v_add_f64 v[52:53], v[54:55], v[50:51]
	v_add_f64 v[54:55], v[52:53], -v[54:55]
	v_ldexp_f64 v[10:11], v[10:11], 1
	v_add_f64 v[50:51], v[50:51], -v[54:55]
	v_add_f64 v[10:11], v[10:11], v[50:51]
	v_add_f64 v[50:51], v[52:53], v[10:11]
	v_subbrev_co_u32_e32 v7, vcc, 0, v7, vcc
	v_add_f64 v[52:53], v[50:51], -v[52:53]
	s_mov_b32 s10, 0xfefa39ef
	v_add_f64 v[10:11], v[10:11], -v[52:53]
	v_cvt_f64_i32_e32 v[52:53], v7
	s_mov_b32 s11, 0x3fe62e42
	v_mul_f64 v[54:55], v[52:53], s[10:11]
	v_fma_f64 v[64:65], v[52:53], s[10:11], -v[54:55]
	s_mov_b32 s10, 0x3b39803f
	s_mov_b32 s11, 0x3c7abc9e
	v_fmac_f64_e32 v[64:65], s[10:11], v[52:53]
	v_add_f64 v[52:53], v[54:55], v[64:65]
	v_add_f64 v[54:55], v[52:53], -v[54:55]
	v_add_f64 v[54:55], v[64:65], -v[54:55]
	v_add_f64 v[64:65], v[52:53], v[50:51]
	v_add_f64 v[66:67], v[64:65], -v[52:53]
	v_add_f64 v[68:69], v[64:65], -v[66:67]
	;; [unrolled: 1-line block ×4, first 2 shown]
	v_add_f64 v[50:51], v[50:51], v[52:53]
	v_add_f64 v[52:53], v[54:55], v[10:11]
	v_add_f64 v[66:67], v[52:53], -v[54:55]
	v_add_f64 v[68:69], v[52:53], -v[66:67]
	v_add_f64 v[50:51], v[52:53], v[50:51]
	v_add_f64 v[54:55], v[54:55], -v[68:69]
	v_add_f64 v[10:11], v[10:11], -v[66:67]
	v_add_f64 v[52:53], v[64:65], v[50:51]
	v_add_f64 v[10:11], v[10:11], v[54:55]
	v_add_f64 v[54:55], v[52:53], -v[64:65]
	v_add_f64 v[50:51], v[50:51], -v[54:55]
	v_add_f64 v[10:11], v[10:11], v[50:51]
	s_mov_b32 s10, 0x6dc9c883
	v_add_f64 v[10:11], v[52:53], v[10:11]
	s_mov_b32 s11, 0x3fe45f30
	v_mul_f64 v[10:11], v[10:11], s[10:11]
	v_fmac_f64_e32 v[14:15], v[10:11], v[48:49]
.LBB0_349:
	s_or_b64 exec, exec, s[8:9]
.LBB0_350:
	s_or_b64 exec, exec, s[6:7]
                                        ; implicit-def: $vgpr10_vgpr11
.LBB0_351:
	s_andn2_saveexec_b64 s[6:7], s[2:3]
	s_cbranch_execz .LBB0_361
; %bb.352:
	s_mov_b32 s11, 0xbfe921fb
	s_mov_b32 s10, 0x54442d18
	;; [unrolled: 1-line block ×3, first 2 shown]
	v_add_f64 v[14:15], v[10:11], s[10:11]
	s_mov_b32 s3, 0x41d00000
	v_cmp_nlt_f64_e64 s[8:9], |v[14:15]|, s[2:3]
	v_trig_preop_f64 v[68:69], |v[14:15]|, 0
	v_trig_preop_f64 v[66:67], |v[14:15]|, 1
	;; [unrolled: 1-line block ×3, first 2 shown]
                                        ; implicit-def: $vgpr7
                                        ; implicit-def: $vgpr48_vgpr49
                                        ; implicit-def: $vgpr50_vgpr51
	s_and_saveexec_b64 s[2:3], s[8:9]
	s_xor_b64 s[12:13], exec, s[2:3]
	s_cbranch_execz .LBB0_354
; %bb.353:
	s_mov_b32 s2, 0
	s_mov_b32 s3, 0x7b000000
	s_movk_i32 s11, 0xff80
	v_and_b32_e32 v7, 0x7fffffff, v15
	v_ldexp_f64 v[48:49], |v[14:15]|, s11
	v_cmp_ge_f64_e64 vcc, |v[14:15]|, s[2:3]
	s_mov_b32 s2, 0
	s_mov_b32 s3, 0x7ff00000
	v_cndmask_b32_e32 v49, v7, v49, vcc
	v_cndmask_b32_e32 v48, v14, v48, vcc
	v_mul_f64 v[52:53], v[68:69], v[48:49]
	v_mul_f64 v[50:51], v[66:67], v[48:49]
	v_fma_f64 v[54:55], v[68:69], v[48:49], -v[52:53]
	v_add_f64 v[80:81], v[50:51], v[54:55]
	v_add_f64 v[82:83], v[52:53], v[80:81]
	v_ldexp_f64 v[84:85], v[82:83], -2
	v_fract_f64_e32 v[86:87], v[84:85]
	v_cmp_neq_f64_e64 vcc, |v[84:85]|, s[2:3]
	v_add_f64 v[52:53], v[82:83], -v[52:53]
	v_add_f64 v[52:53], v[80:81], -v[52:53]
	v_cndmask_b32_e32 v85, 0, v87, vcc
	v_cndmask_b32_e32 v84, 0, v86, vcc
	v_add_f64 v[86:87], v[80:81], -v[50:51]
	v_add_f64 v[54:55], v[54:55], -v[86:87]
	;; [unrolled: 1-line block ×4, first 2 shown]
	v_add_f64 v[54:55], v[54:55], v[86:87]
	v_fma_f64 v[50:51], v[66:67], v[48:49], -v[50:51]
	v_mul_f64 v[86:87], v[64:65], v[48:49]
	v_add_f64 v[98:99], v[86:87], v[50:51]
	v_add_f64 v[100:101], v[98:99], v[54:55]
	v_add_f64 v[82:83], v[100:101], -v[98:99]
	v_add_f64 v[54:55], v[54:55], -v[82:83]
	;; [unrolled: 1-line block ×4, first 2 shown]
	v_add_f64 v[54:55], v[54:55], v[82:83]
	v_add_f64 v[82:83], v[98:99], -v[86:87]
	v_add_f64 v[50:51], v[50:51], -v[82:83]
	;; [unrolled: 1-line block ×4, first 2 shown]
	v_add_f64 v[80:81], v[52:53], v[100:101]
	v_add_f64 v[50:51], v[50:51], v[82:83]
	v_add_f64 v[52:53], v[80:81], -v[52:53]
	v_add_f64 v[50:51], v[50:51], v[54:55]
	v_fma_f64 v[48:49], v[64:65], v[48:49], -v[86:87]
	v_add_f64 v[52:53], v[100:101], -v[52:53]
	v_add_f64 v[48:49], v[48:49], v[50:51]
	v_ldexp_f64 v[50:51], v[84:85], 2
	v_add_f64 v[48:49], v[52:53], v[48:49]
	v_add_f64 v[52:53], v[80:81], v[50:51]
	v_mov_b32_e32 v7, 0x40100000
	v_cmp_gt_f64_e32 vcc, 0, v[52:53]
	v_mov_b32_e32 v96, 0
	s_mov_b32 s11, 0x3ff921fb
	v_cndmask_b32_e32 v97, 0, v7, vcc
	v_add_f64 v[50:51], v[50:51], v[96:97]
	v_add_f64 v[52:53], v[80:81], v[50:51]
	v_cvt_i32_f64_e32 v7, v[52:53]
	v_cvt_f64_i32_e32 v[52:53], v7
	v_add_f64 v[50:51], v[50:51], -v[52:53]
	v_add_f64 v[52:53], v[80:81], v[50:51]
	v_add_f64 v[50:51], v[52:53], -v[50:51]
	v_add_f64 v[50:51], v[80:81], -v[50:51]
	v_add_f64 v[48:49], v[48:49], v[50:51]
	v_cmp_le_f64_e32 vcc, 0.5, v[52:53]
	v_mov_b32_e32 v50, 0x3ff00000
	s_nop 0
	v_cndmask_b32_e32 v97, 0, v50, vcc
	v_add_f64 v[50:51], v[52:53], -v[96:97]
	v_add_f64 v[52:53], v[50:51], v[48:49]
	v_addc_co_u32_e64 v7, s[2:3], 0, v7, vcc
	v_add_f64 v[50:51], v[52:53], -v[50:51]
	v_add_f64 v[48:49], v[48:49], -v[50:51]
	v_mul_f64 v[50:51], v[52:53], s[10:11]
	s_mov_b32 s2, 0x33145c07
	v_fma_f64 v[54:55], v[52:53], s[10:11], -v[50:51]
	s_mov_b32 s3, 0x3c91a626
	v_fmac_f64_e32 v[54:55], s[2:3], v[52:53]
	v_fmac_f64_e32 v[54:55], s[10:11], v[48:49]
	v_add_f64 v[48:49], v[50:51], v[54:55]
	v_add_f64 v[50:51], v[48:49], -v[50:51]
	v_add_f64 v[50:51], v[54:55], -v[50:51]
	s_andn2_saveexec_b64 s[2:3], s[12:13]
	s_cbranch_execz .LBB0_356
	s_branch .LBB0_355
.LBB0_354:
	s_andn2_saveexec_b64 s[2:3], s[12:13]
	s_cbranch_execz .LBB0_356
.LBB0_355:
	s_mov_b32 s10, 0x6dc9c883
	s_mov_b32 s11, 0x3fe45f30
	v_mul_f64 v[48:49], |v[14:15]|, s[10:11]
	s_mov_b32 s10, 0x54442d18
	v_rndne_f64_e32 v[52:53], v[48:49]
	s_mov_b32 s11, 0xbff921fb
	v_fma_f64 v[48:49], v[52:53], s[10:11], |v[14:15]|
	s_mov_b32 s11, 0xbc91a626
	s_mov_b32 s10, 0x33145c00
	v_mul_f64 v[54:55], v[52:53], s[10:11]
	v_add_f64 v[82:83], v[48:49], v[54:55]
	v_fma_f64 v[50:51], s[10:11], v[52:53], v[48:49]
	s_mov_b32 s11, 0x3c91a626
	v_add_f64 v[48:49], v[48:49], -v[82:83]
	v_fma_f64 v[80:81], s[10:11], v[52:53], v[54:55]
	v_add_f64 v[48:49], v[48:49], v[54:55]
	v_add_f64 v[54:55], v[82:83], -v[50:51]
	v_add_f64 v[48:49], v[54:55], v[48:49]
	s_mov_b32 s10, 0x252049c0
	v_add_f64 v[54:55], v[48:49], -v[80:81]
	s_mov_b32 s11, 0xb97b839a
	v_fmac_f64_e32 v[54:55], s[10:11], v[52:53]
	v_add_f64 v[48:49], v[50:51], v[54:55]
	v_add_f64 v[50:51], v[48:49], -v[50:51]
	v_add_f64 v[50:51], v[54:55], -v[50:51]
	v_cvt_i32_f64_e32 v7, v[52:53]
.LBB0_356:
	s_or_b64 exec, exec, s[2:3]
                                        ; implicit-def: $vgpr71
                                        ; implicit-def: $vgpr52_vgpr53
                                        ; implicit-def: $vgpr54_vgpr55
	s_and_saveexec_b64 s[2:3], s[8:9]
	s_xor_b64 s[8:9], exec, s[2:3]
	s_cbranch_execz .LBB0_358
; %bb.357:
	s_mov_b32 s2, 0
	s_mov_b32 s3, 0x7b000000
	s_movk_i32 s10, 0xff80
	v_and_b32_e32 v54, 0x7fffffff, v15
	v_ldexp_f64 v[52:53], |v[14:15]|, s10
	v_cmp_ge_f64_e64 vcc, |v[14:15]|, s[2:3]
	s_mov_b32 s2, 0
	s_mov_b32 s3, 0x7ff00000
	v_cndmask_b32_e32 v53, v54, v53, vcc
	v_cndmask_b32_e32 v52, v14, v52, vcc
	v_mul_f64 v[80:81], v[68:69], v[52:53]
	v_mul_f64 v[54:55], v[66:67], v[52:53]
	v_fma_f64 v[68:69], v[68:69], v[52:53], -v[80:81]
	v_add_f64 v[82:83], v[54:55], v[68:69]
	v_add_f64 v[84:85], v[80:81], v[82:83]
	v_ldexp_f64 v[86:87], v[84:85], -2
	v_fract_f64_e32 v[96:97], v[86:87]
	v_cmp_neq_f64_e64 vcc, |v[86:87]|, s[2:3]
	v_add_f64 v[80:81], v[84:85], -v[80:81]
	v_add_f64 v[80:81], v[82:83], -v[80:81]
	v_cndmask_b32_e32 v87, 0, v97, vcc
	v_cndmask_b32_e32 v86, 0, v96, vcc
	v_add_f64 v[96:97], v[82:83], -v[54:55]
	v_add_f64 v[68:69], v[68:69], -v[96:97]
	v_add_f64 v[96:97], v[82:83], -v[96:97]
	v_add_f64 v[96:97], v[54:55], -v[96:97]
	v_fma_f64 v[54:55], v[66:67], v[52:53], -v[54:55]
	v_mul_f64 v[66:67], v[64:65], v[52:53]
	v_add_f64 v[68:69], v[68:69], v[96:97]
	v_add_f64 v[96:97], v[66:67], v[54:55]
	v_add_f64 v[100:101], v[96:97], v[68:69]
	v_add_f64 v[84:85], v[100:101], -v[96:97]
	v_add_f64 v[68:69], v[68:69], -v[84:85]
	;; [unrolled: 1-line block ×4, first 2 shown]
	v_add_f64 v[68:69], v[68:69], v[84:85]
	v_add_f64 v[84:85], v[96:97], -v[66:67]
	v_add_f64 v[54:55], v[54:55], -v[84:85]
	;; [unrolled: 1-line block ×4, first 2 shown]
	v_add_f64 v[54:55], v[54:55], v[84:85]
	v_add_f64 v[54:55], v[54:55], v[68:69]
	v_fma_f64 v[52:53], v[64:65], v[52:53], -v[66:67]
	v_add_f64 v[82:83], v[80:81], v[100:101]
	v_add_f64 v[52:53], v[52:53], v[54:55]
	v_ldexp_f64 v[54:55], v[86:87], 2
	v_add_f64 v[64:65], v[82:83], v[54:55]
	v_mov_b32_e32 v66, 0x40100000
	v_cmp_gt_f64_e32 vcc, 0, v[64:65]
	v_mov_b32_e32 v98, 0
	v_add_f64 v[80:81], v[82:83], -v[80:81]
	v_cndmask_b32_e32 v99, 0, v66, vcc
	v_add_f64 v[54:55], v[54:55], v[98:99]
	v_add_f64 v[64:65], v[82:83], v[54:55]
	v_cvt_i32_f64_e32 v66, v[64:65]
	v_cvt_f64_i32_e32 v[64:65], v66
	v_add_f64 v[54:55], v[54:55], -v[64:65]
	v_add_f64 v[64:65], v[82:83], v[54:55]
	v_add_f64 v[80:81], v[100:101], -v[80:81]
	v_add_f64 v[54:55], v[64:65], -v[54:55]
	v_add_f64 v[52:53], v[80:81], v[52:53]
	v_add_f64 v[54:55], v[82:83], -v[54:55]
	v_add_f64 v[52:53], v[52:53], v[54:55]
	v_cmp_le_f64_e32 vcc, 0.5, v[64:65]
	v_mov_b32_e32 v54, 0x3ff00000
	s_mov_b32 s10, 0x33145c07
	v_cndmask_b32_e32 v99, 0, v54, vcc
	v_addc_co_u32_e64 v71, s[2:3], 0, v66, vcc
	v_add_f64 v[54:55], v[64:65], -v[98:99]
	v_add_f64 v[64:65], v[54:55], v[52:53]
	s_mov_b32 s2, 0x54442d18
	v_add_f64 v[54:55], v[64:65], -v[54:55]
	s_mov_b32 s3, 0x3ff921fb
	v_add_f64 v[52:53], v[52:53], -v[54:55]
	v_mul_f64 v[54:55], v[64:65], s[2:3]
	v_fma_f64 v[66:67], v[64:65], s[2:3], -v[54:55]
	s_mov_b32 s11, 0x3c91a626
	v_fmac_f64_e32 v[66:67], s[10:11], v[64:65]
	v_fmac_f64_e32 v[66:67], s[2:3], v[52:53]
	v_add_f64 v[52:53], v[54:55], v[66:67]
	v_add_f64 v[54:55], v[52:53], -v[54:55]
	v_add_f64 v[54:55], v[66:67], -v[54:55]
	s_andn2_saveexec_b64 s[2:3], s[8:9]
	s_cbranch_execnz .LBB0_359
	s_branch .LBB0_360
.LBB0_358:
	s_andn2_saveexec_b64 s[2:3], s[8:9]
	s_cbranch_execz .LBB0_360
.LBB0_359:
	s_mov_b32 s8, 0x6dc9c883
	s_mov_b32 s9, 0x3fe45f30
	v_mul_f64 v[52:53], |v[14:15]|, s[8:9]
	s_mov_b32 s8, 0x54442d18
	v_rndne_f64_e32 v[64:65], v[52:53]
	s_mov_b32 s9, 0xbff921fb
	v_fma_f64 v[52:53], v[64:65], s[8:9], |v[14:15]|
	s_mov_b32 s9, 0xbc91a626
	s_mov_b32 s8, 0x33145c00
	v_mul_f64 v[66:67], v[64:65], s[8:9]
	v_add_f64 v[80:81], v[52:53], v[66:67]
	v_fma_f64 v[54:55], s[8:9], v[64:65], v[52:53]
	s_mov_b32 s9, 0x3c91a626
	v_add_f64 v[52:53], v[52:53], -v[80:81]
	v_fma_f64 v[68:69], s[8:9], v[64:65], v[66:67]
	v_add_f64 v[52:53], v[52:53], v[66:67]
	v_add_f64 v[66:67], v[80:81], -v[54:55]
	v_add_f64 v[52:53], v[66:67], v[52:53]
	s_mov_b32 s8, 0x252049c0
	v_add_f64 v[66:67], v[52:53], -v[68:69]
	s_mov_b32 s9, 0xb97b839a
	v_fmac_f64_e32 v[66:67], s[8:9], v[64:65]
	v_add_f64 v[52:53], v[54:55], v[66:67]
	v_add_f64 v[54:55], v[52:53], -v[54:55]
	v_add_f64 v[54:55], v[66:67], -v[54:55]
	v_cvt_i32_f64_e32 v71, v[64:65]
.LBB0_360:
	s_or_b64 exec, exec, s[2:3]
	s_mov_b32 s2, 0
	v_mul_f64 v[64:65], v[10:11], v[10:11]
	s_mov_b32 s3, 0x40390000
	v_div_scale_f64 v[66:67], s[8:9], v[64:65], v[64:65], s[2:3]
	v_rcp_f64_e32 v[68:69], v[66:67]
	v_mov_b32_e32 v84, 0xb1759c7f
	v_mov_b32_e32 v85, 0x408ac370
	;; [unrolled: 1-line block ×3, first 2 shown]
	v_fma_f64 v[80:81], -v[66:67], v[68:69], 1.0
	v_fmac_f64_e32 v[68:69], v[68:69], v[80:81]
	v_fma_f64 v[80:81], -v[66:67], v[68:69], 1.0
	v_fmac_f64_e32 v[68:69], v[68:69], v[80:81]
	v_div_scale_f64 v[80:81], vcc, s[2:3], v[64:65], s[2:3]
	v_mul_f64 v[82:83], v[80:81], v[68:69]
	v_fma_f64 v[66:67], -v[66:67], v[82:83], v[80:81]
	v_mov_b32_e32 v80, 0xab5454e3
	s_nop 0
	v_div_fmas_f64 v[66:67], v[66:67], v[68:69], v[82:83]
	v_div_fixup_f64 v[64:65], v[66:67], v[64:65], s[2:3]
	v_mov_b32_e32 v66, 0x983b6b27
	v_mov_b32_e32 v67, 0x3f4a1d30
	v_fmac_f64_e32 v[66:67], 0, v[64:65]
	v_mov_b32_e32 v68, 0xb35dd1cf
	v_mov_b32_e32 v69, 0x3fb534b0
	v_fmac_f64_e32 v[68:69], v[64:65], v[66:67]
	;; [unrolled: 3-line block ×7, first 2 shown]
	v_mov_b32_e32 v81, 0x3fb5ebc5
	v_fmac_f64_e32 v[80:81], v[64:65], v[66:67]
	v_mov_b32_e32 v66, 0xc9b3069f
	v_mov_b32_e32 v67, 0x3ff40e72
	v_fmac_f64_e32 v[66:67], v[64:65], v[80:81]
	v_mov_b32_e32 v80, 0xe68162bb
	;; [unrolled: 3-line block ×4, first 2 shown]
	v_mov_b32_e32 v81, 0x40153965
	v_fmac_f64_e32 v[80:81], v[64:65], v[66:67]
	v_fma_f64 v[66:67], v[64:65], v[80:81], 1.0
	v_mov_b32_e32 v80, 0x38a5384a
	v_mov_b32_e32 v81, 0xbf874742
	v_fmac_f64_e32 v[80:81], 0, v[64:65]
	v_mov_b32_e32 v82, 0x3a321174
	v_mov_b32_e32 v83, 0xbff4853b
	v_fmac_f64_e32 v[82:83], v[64:65], v[80:81]
	;; [unrolled: 3-line block ×9, first 2 shown]
	v_fmac_f64_e32 v[84:85], v[64:65], v[80:81]
	v_mov_b32_e32 v80, 0xbd748cb5
	v_mov_b32_e32 v81, 0x40ae54cd
	v_fmac_f64_e32 v[80:81], v[64:65], v[84:85]
	v_mov_b32_e32 v84, 0xbdefd63e
	v_mov_b32_e32 v85, 0x40bc4877
	;; [unrolled: 3-line block ×4, first 2 shown]
	v_fma_f64 v[68:69], v[64:65], v[68:69], 1.0
	v_fmac_f64_e32 v[84:85], v[64:65], v[80:81]
	v_div_scale_f64 v[80:81], s[2:3], v[66:67], v[66:67], v[68:69]
	v_rcp_f64_e32 v[86:87], v[80:81]
	v_mov_b32_e32 v97, 0x406e402f
	v_fmac_f64_e32 v[96:97], v[64:65], v[84:85]
	s_mov_b32 s2, 0x9037ab78
	v_fma_f64 v[64:65], -v[80:81], v[86:87], 1.0
	v_fmac_f64_e32 v[86:87], v[86:87], v[64:65]
	v_fma_f64 v[64:65], -v[80:81], v[86:87], 1.0
	v_fmac_f64_e32 v[86:87], v[86:87], v[64:65]
	v_div_scale_f64 v[64:65], vcc, v[68:69], v[66:67], v[68:69]
	v_mul_f64 v[84:85], v[64:65], v[86:87]
	v_fma_f64 v[64:65], -v[80:81], v[84:85], v[64:65]
	s_mov_b32 s3, 0x3e21eeb6
	s_nop 0
	v_div_fmas_f64 v[64:65], v[64:65], v[86:87], v[84:85]
	s_mov_b32 s8, 0x46cc5e42
	v_div_fixup_f64 v[64:65], v[64:65], v[66:67], v[68:69]
	v_mul_f64 v[66:67], v[48:49], v[48:49]
	s_mov_b32 s9, 0xbda907db
	v_mov_b64_e32 v[86:87], s[2:3]
	s_mov_b32 s10, 0xa17f65f6
	v_mul_f64 v[68:69], v[66:67], 0.5
	v_fma_f64 v[98:99], s[8:9], v[66:67], v[86:87]
	s_mov_b32 s11, 0xbe927e4f
	s_mov_b32 s12, 0x19f4ec90
	v_add_f64 v[80:81], -v[68:69], 1.0
	v_fma_f64 v[98:99], v[66:67], v[98:99], s[10:11]
	s_mov_b32 s13, 0x3efa01a0
	s_mov_b32 s14, 0x16c16967
	v_add_f64 v[84:85], -v[80:81], 1.0
	v_fma_f64 v[98:99], v[66:67], v[98:99], s[12:13]
	s_mov_b32 s15, 0xbf56c16c
	s_mov_b32 s16, 0x55555555
	v_add_f64 v[68:69], v[84:85], -v[68:69]
	v_fma_f64 v[98:99], v[66:67], v[98:99], s[14:15]
	s_mov_b32 s17, 0x3fa55555
	v_mul_f64 v[84:85], v[66:67], v[66:67]
	v_fma_f64 v[98:99], v[66:67], v[98:99], s[16:17]
	v_fma_f64 v[68:69], v[48:49], -v[50:51], v[68:69]
	s_mov_b32 s2, 0xb42fdfa7
	v_fmac_f64_e32 v[68:69], v[84:85], v[98:99]
	s_mov_b32 s3, 0xbe5ae600
	s_mov_b32 s18, 0xf9a43bb8
	v_add_f64 v[68:69], v[80:81], v[68:69]
	s_mov_b32 s19, 0x3de5e0b2
	v_mov_b64_e32 v[80:81], s[2:3]
	s_mov_b32 s22, 0x796cde01
	v_fma_f64 v[84:85], s[18:19], v[66:67], v[80:81]
	s_mov_b32 s23, 0x3ec71de3
	s_mov_b32 s24, 0x19e83e5c
	v_fma_f64 v[84:85], v[66:67], v[84:85], s[22:23]
	s_mov_b32 s25, 0xbf2a01a0
	;; [unrolled: 3-line block ×3, first 2 shown]
	v_fma_f64 v[84:85], v[66:67], v[84:85], s[26:27]
	v_mul_f64 v[98:99], v[48:49], -v[66:67]
	v_mul_f64 v[100:101], v[50:51], 0.5
	v_fmac_f64_e32 v[100:101], v[98:99], v[84:85]
	v_fma_f64 v[50:51], v[66:67], v[100:101], -v[50:51]
	s_mov_b32 s29, 0xbfc55555
	s_mov_b32 s28, s16
	v_fmac_f64_e32 v[50:51], s[28:29], v[98:99]
	v_add_f64 v[48:49], v[48:49], -v[50:51]
	v_and_b32_e32 v50, 1, v7
	v_lshlrev_b32_e32 v7, 30, v7
	v_cmp_eq_u32_e32 vcc, 0, v50
	v_xor_b32_e32 v7, v7, v15
	s_mov_b32 s30, 0
	v_cndmask_b32_e32 v66, v68, v48, vcc
	v_cndmask_b32_e32 v48, v69, v49, vcc
	v_and_b32_e32 v7, 0x80000000, v7
	s_mov_b32 s31, 0x40140000
	v_xor_b32_e32 v7, v48, v7
	v_div_scale_f64 v[48:49], s[2:3], v[10:11], v[10:11], s[30:31]
	v_rcp_f64_e32 v[50:51], v[48:49]
	s_movk_i32 s21, 0x1f8
	v_cmp_class_f64_e64 s[2:3], v[14:15], s21
	v_mov_b32_e32 v98, 0x7ff80000
	s_nop 0
	v_cndmask_b32_e64 v14, 0, v66, s[2:3]
	v_fma_f64 v[66:67], -v[48:49], v[50:51], 1.0
	v_fmac_f64_e32 v[50:51], v[50:51], v[66:67]
	v_fma_f64 v[66:67], -v[48:49], v[50:51], 1.0
	v_fmac_f64_e32 v[50:51], v[50:51], v[66:67]
	v_div_scale_f64 v[66:67], vcc, s[30:31], v[10:11], s[30:31]
	v_mul_f64 v[68:69], v[66:67], v[50:51]
	v_fma_f64 v[48:49], -v[48:49], v[68:69], v[66:67]
	v_div_scale_f64 v[66:67], s[34:35], v[96:97], v[96:97], v[82:83]
	v_rcp_f64_e32 v[84:85], v[66:67]
	v_div_fmas_f64 v[48:49], v[48:49], v[50:51], v[68:69]
	v_div_fixup_f64 v[48:49], v[48:49], v[10:11], s[30:31]
	v_cndmask_b32_e64 v15, v98, v7, s[2:3]
	v_fma_f64 v[50:51], -v[66:67], v[84:85], 1.0
	v_fmac_f64_e32 v[84:85], v[84:85], v[50:51]
	v_fma_f64 v[50:51], -v[66:67], v[84:85], 1.0
	v_fmac_f64_e32 v[84:85], v[84:85], v[50:51]
	v_div_scale_f64 v[50:51], vcc, v[82:83], v[96:97], v[82:83]
	v_mul_f64 v[68:69], v[50:51], v[84:85]
	v_fma_f64 v[50:51], -v[66:67], v[68:69], v[50:51]
	s_nop 1
	v_div_fmas_f64 v[50:51], v[50:51], v[84:85], v[68:69]
	v_div_fixup_f64 v[50:51], v[50:51], v[96:97], v[82:83]
	v_mul_f64 v[48:49], v[48:49], v[50:51]
	v_mul_f64 v[50:51], v[52:53], v[52:53]
	v_mul_f64 v[66:67], v[50:51], 0.5
	v_fmac_f64_e32 v[86:87], s[8:9], v[50:51]
	v_add_f64 v[68:69], -v[66:67], 1.0
	v_fma_f64 v[84:85], v[50:51], v[86:87], s[10:11]
	v_add_f64 v[82:83], -v[68:69], 1.0
	v_fma_f64 v[84:85], v[50:51], v[84:85], s[12:13]
	v_add_f64 v[66:67], v[82:83], -v[66:67]
	v_fma_f64 v[84:85], v[50:51], v[84:85], s[14:15]
	v_mul_f64 v[82:83], v[50:51], v[50:51]
	v_fma_f64 v[84:85], v[50:51], v[84:85], s[16:17]
	v_fma_f64 v[66:67], v[52:53], -v[54:55], v[66:67]
	v_fmac_f64_e32 v[66:67], v[82:83], v[84:85]
	v_fmac_f64_e32 v[80:81], s[18:19], v[50:51]
	v_add_f64 v[66:67], v[68:69], v[66:67]
	v_fma_f64 v[68:69], v[50:51], v[80:81], s[22:23]
	v_fma_f64 v[68:69], v[50:51], v[68:69], s[24:25]
	;; [unrolled: 1-line block ×3, first 2 shown]
	v_mul_f64 v[80:81], v[52:53], -v[50:51]
	v_mul_f64 v[82:83], v[54:55], 0.5
	v_fmac_f64_e32 v[82:83], v[80:81], v[68:69]
	v_fma_f64 v[50:51], v[50:51], v[82:83], -v[54:55]
	v_fmac_f64_e32 v[50:51], s[28:29], v[80:81]
	v_add_f64 v[50:51], v[52:53], -v[50:51]
	v_xor_b32_e32 v7, 0x80000000, v51
	v_and_b32_e32 v51, 1, v71
	v_cmp_eq_u32_e32 vcc, 0, v51
	v_lshlrev_b32_e32 v51, 30, v71
	v_and_b32_e32 v51, 0x80000000, v51
	v_cndmask_b32_e32 v7, v7, v67, vcc
	v_cndmask_b32_e32 v50, v50, v66, vcc
	v_xor_b32_e32 v7, v7, v51
	v_cndmask_b32_e64 v50, 0, v50, s[2:3]
	v_cndmask_b32_e64 v51, v98, v7, s[2:3]
	s_mov_b32 s2, 0
	s_brev_b32 s3, 8
	v_cmp_gt_f64_e32 vcc, s[2:3], v[10:11]
	v_mul_f64 v[48:49], v[48:49], v[50:51]
	v_fmac_f64_e32 v[48:49], v[64:65], v[14:15]
	v_cndmask_b32_e64 v7, 0, 1, vcc
	v_lshlrev_b32_e32 v7, 8, v7
	v_ldexp_f64 v[10:11], v[10:11], v7
	v_rsq_f64_e32 v[14:15], v[10:11]
	v_mov_b32_e32 v7, 0xffffff80
	v_cndmask_b32_e32 v7, 0, v7, vcc
	s_mov_b32 s2, 0x33d43651
	v_mul_f64 v[50:51], v[10:11], v[14:15]
	v_mul_f64 v[14:15], v[14:15], 0.5
	v_fma_f64 v[52:53], -v[14:15], v[50:51], 0.5
	v_fmac_f64_e32 v[50:51], v[50:51], v[52:53]
	v_fma_f64 v[54:55], -v[50:51], v[50:51], v[10:11]
	v_fmac_f64_e32 v[14:15], v[14:15], v[52:53]
	v_fmac_f64_e32 v[50:51], v[54:55], v[14:15]
	v_fma_f64 v[52:53], -v[50:51], v[50:51], v[10:11]
	v_fmac_f64_e32 v[50:51], v[52:53], v[14:15]
	v_ldexp_f64 v[14:15], v[50:51], v7
	v_mov_b32_e32 v7, 0x260
	s_mov_b32 s3, 0x3fe98845
	v_cmp_class_f64_e32 vcc, v[10:11], v7
	v_mul_f64 v[48:49], v[48:49], s[2:3]
	s_nop 0
	v_cndmask_b32_e32 v11, v15, v11, vcc
	v_cndmask_b32_e32 v10, v14, v10, vcc
	v_div_scale_f64 v[14:15], s[2:3], v[10:11], v[10:11], v[48:49]
	v_rcp_f64_e32 v[50:51], v[14:15]
	s_nop 0
	v_fma_f64 v[52:53], -v[14:15], v[50:51], 1.0
	v_fmac_f64_e32 v[50:51], v[50:51], v[52:53]
	v_fma_f64 v[52:53], -v[14:15], v[50:51], 1.0
	v_fmac_f64_e32 v[50:51], v[50:51], v[52:53]
	v_div_scale_f64 v[52:53], vcc, v[48:49], v[10:11], v[48:49]
	v_mul_f64 v[54:55], v[52:53], v[50:51]
	v_fma_f64 v[14:15], -v[14:15], v[54:55], v[52:53]
	s_nop 1
	v_div_fmas_f64 v[14:15], v[14:15], v[50:51], v[54:55]
	v_div_fixup_f64 v[14:15], v[14:15], v[10:11], v[48:49]
.LBB0_361:
	s_or_b64 exec, exec, s[6:7]
.LBB0_362:
	s_or_b64 exec, exec, s[4:5]
	v_add_u32_e32 v7, 0xf00, v5
	v_cmp_lt_i32_e32 vcc, v7, v4
                                        ; implicit-def: $vgpr10_vgpr11
	s_and_saveexec_b64 s[4:5], vcc
	s_cbranch_execz .LBB0_376
; %bb.363:
	s_mov_b32 s2, 0
	s_mov_b32 s3, 0x40140000
	s_waitcnt vmcnt(0) lgkmcnt(0)
	v_cmp_ge_f64_e32 vcc, s[2:3], v[8:9]
                                        ; implicit-def: $vgpr10_vgpr11
	s_and_saveexec_b64 s[2:3], vcc
	s_xor_b64 s[2:3], exec, s[2:3]
	s_cbranch_execz .LBB0_373
; %bb.364:
	v_mov_b32_e32 v10, 0
	v_cmp_neq_f64_e32 vcc, 0, v[8:9]
	v_mov_b32_e32 v11, 0xfff00000
	s_and_saveexec_b64 s[6:7], vcc
	s_cbranch_execz .LBB0_372
; %bb.365:
	v_mov_b32_e32 v10, 0
	v_cmp_ngt_f64_e32 vcc, 0, v[8:9]
	v_mov_b32_e32 v11, 0x7ff80000
	s_and_saveexec_b64 s[8:9], vcc
	s_cbranch_execz .LBB0_371
; %bb.366:
	s_mov_b32 s10, 0x88e368f1
	v_mul_f64 v[10:11], v[8:9], v[8:9]
	s_mov_b32 s11, 0x3ee4f8b5
	v_mul_f64 v[50:51], v[10:11], 0
	v_cmp_ngt_f64_e32 vcc, s[10:11], v[8:9]
                                        ; implicit-def: $vgpr48_vgpr49
	s_and_saveexec_b64 s[10:11], vcc
	s_xor_b64 s[10:11], exec, s[10:11]
	s_cbranch_execz .LBB0_368
; %bb.367:
	s_mov_b32 s12, 0xad1c8325
	s_mov_b32 s13, 0xc1f1dc53
	v_add_f64 v[48:49], v[50:51], s[12:13]
	v_mov_b32_e32 v52, 0xc772990d
	v_mov_b32_e32 v53, 0x427c7751
	s_mov_b32 s12, 0xa696b78c
	v_fmac_f64_e32 v[52:53], v[10:11], v[48:49]
	v_mov_b32_e32 v48, 0xe0d900f7
	v_mov_b32_e32 v49, 0xc2ec5614
	s_mov_b32 s13, 0x407f3902
	v_fmac_f64_e32 v[48:49], v[10:11], v[52:53]
	v_add_f64 v[52:53], v[50:51], s[12:13]
	v_mov_b32_e32 v54, 0x36a21a67
	v_mov_b32_e32 v55, 0x410536cb
	v_fmac_f64_e32 v[54:55], v[10:11], v[52:53]
	v_mov_b32_e32 v52, 0x2eac0634
	v_mov_b32_e32 v53, 0x41871934
	v_fmac_f64_e32 v[52:53], v[10:11], v[54:55]
	;; [unrolled: 3-line block ×6, first 2 shown]
	v_mov_b32_e32 v54, 0xc7b662cc
	v_mov_b32_e32 v55, 0x43b7be34
	s_mov_b32 s12, 0x80462bbb
	v_fmac_f64_e32 v[54:55], v[10:11], v[52:53]
	v_mov_b32_e32 v52, 0x69ff5fb4
	v_mov_b32_e32 v53, 0x43413ef8
	s_mov_b32 s13, 0xc01721fb
	v_fmac_f64_e32 v[52:53], v[10:11], v[48:49]
	v_add_f64 v[48:49], v[10:11], s[12:13]
	s_mov_b32 s12, 0xa621dd6f
	s_mov_b32 s13, 0xc03e78a4
	v_add_f64 v[64:65], v[10:11], s[12:13]
	v_mul_f64 v[48:49], v[48:49], v[64:65]
	v_mul_f64 v[48:49], v[48:49], v[52:53]
	v_div_scale_f64 v[52:53], s[12:13], v[54:55], v[54:55], v[48:49]
	v_rcp_f64_e32 v[64:65], v[52:53]
	s_nop 0
	v_fma_f64 v[66:67], -v[52:53], v[64:65], 1.0
	v_fmac_f64_e32 v[64:65], v[64:65], v[66:67]
	v_fma_f64 v[66:67], -v[52:53], v[64:65], 1.0
	v_fmac_f64_e32 v[64:65], v[64:65], v[66:67]
	v_div_scale_f64 v[66:67], vcc, v[48:49], v[54:55], v[48:49]
	v_mul_f64 v[68:69], v[66:67], v[64:65]
	v_fma_f64 v[52:53], -v[52:53], v[68:69], v[66:67]
	s_nop 1
	v_div_fmas_f64 v[52:53], v[52:53], v[64:65], v[68:69]
	v_div_fixup_f64 v[48:49], v[52:53], v[54:55], v[48:49]
.LBB0_368:
	s_andn2_saveexec_b64 s[10:11], s[10:11]
; %bb.369:
	s_mov_b32 s12, 0
	s_mov_b32 s13, 0xbfd00000
	v_fma_f64 v[48:49], v[10:11], s[12:13], 1.0
; %bb.370:
	s_or_b64 exec, exec, s[10:11]
	s_mov_b32 s10, 0xe896898f
	s_mov_b32 s11, 0x40ce7437
	v_add_f64 v[52:53], v[50:51], s[10:11]
	v_mov_b32_e32 v54, 0x32e48896
	v_mov_b32_e32 v55, 0xc16bf81f
	v_fmac_f64_e32 v[54:55], v[10:11], v[52:53]
	v_mov_b32_e32 v52, 0xf0284cdd
	v_mov_b32_e32 v53, 0x41f43f78
	v_fmac_f64_e32 v[52:53], v[10:11], v[54:55]
	;; [unrolled: 3-line block ×4, first 2 shown]
	v_mov_b32_e32 v54, 0xd1d8cc02
	v_mov_b32_e32 v55, 0xc328a121
	s_mov_b32 s10, 0x576dfcb6
	v_fmac_f64_e32 v[54:55], v[10:11], v[52:53]
	v_mov_b32_e32 v52, 0x660b4003
	v_mov_b32_e32 v53, 0x4363a94b
	s_mov_b32 s11, 0x40904522
	v_fmac_f64_e32 v[52:53], v[10:11], v[54:55]
	v_add_f64 v[50:51], v[50:51], s[10:11]
	v_mov_b32_e32 v54, 0xa907bc0c
	v_mov_b32_e32 v55, 0x41231b76
	v_fmac_f64_e32 v[54:55], v[10:11], v[50:51]
	v_mov_b32_e32 v50, 0x5164d101
	v_mov_b32_e32 v51, 0x41b00763
	v_fmac_f64_e32 v[50:51], v[10:11], v[54:55]
	;; [unrolled: 3-line block ×7, first 2 shown]
	v_div_scale_f64 v[10:11], s[10:11], v[50:51], v[50:51], v[54:55]
	v_rcp_f64_e32 v[52:53], v[10:11]
	s_mov_b32 s10, 0x55555555
	v_frexp_exp_i32_f64_e32 v7, v[8:9]
	v_frexp_mant_f64_e32 v[8:9], v[8:9]
	v_fma_f64 v[64:65], -v[10:11], v[52:53], 1.0
	v_fmac_f64_e32 v[52:53], v[52:53], v[64:65]
	v_fma_f64 v[64:65], -v[10:11], v[52:53], 1.0
	v_fmac_f64_e32 v[52:53], v[52:53], v[64:65]
	v_div_scale_f64 v[64:65], vcc, v[54:55], v[50:51], v[54:55]
	v_mul_f64 v[66:67], v[64:65], v[52:53]
	v_fma_f64 v[10:11], -v[10:11], v[66:67], v[64:65]
	s_mov_b32 s11, 0x3fe55555
	s_nop 0
	v_div_fmas_f64 v[10:11], v[10:11], v[52:53], v[66:67]
	v_div_fixup_f64 v[10:11], v[10:11], v[50:51], v[54:55]
	v_mov_b32_e32 v50, 0x3ff00000
	v_cmp_gt_f64_e32 vcc, s[10:11], v[8:9]
	s_mov_b32 s10, 0xbf559e2b
	s_mov_b32 s11, 0x3fc3ab76
	v_cndmask_b32_e64 v51, v50, 2.0, vcc
	v_mov_b32_e32 v50, 0
	v_mul_f64 v[8:9], v[8:9], v[50:51]
	v_add_f64 v[50:51], v[8:9], 1.0
	v_rcp_f64_e32 v[52:53], v[50:51]
	v_add_f64 v[64:65], v[50:51], -1.0
	v_add_f64 v[54:55], v[8:9], -1.0
	v_add_f64 v[8:9], v[8:9], -v[64:65]
	v_fma_f64 v[64:65], -v[50:51], v[52:53], 1.0
	v_fmac_f64_e32 v[52:53], v[64:65], v[52:53]
	v_fma_f64 v[64:65], -v[50:51], v[52:53], 1.0
	v_fmac_f64_e32 v[52:53], v[64:65], v[52:53]
	v_mul_f64 v[64:65], v[54:55], v[52:53]
	v_mul_f64 v[66:67], v[50:51], v[64:65]
	v_fma_f64 v[50:51], v[64:65], v[50:51], -v[66:67]
	v_fmac_f64_e32 v[50:51], v[64:65], v[8:9]
	v_add_f64 v[8:9], v[66:67], v[50:51]
	v_add_f64 v[68:69], v[54:55], -v[8:9]
	v_add_f64 v[66:67], v[8:9], -v[66:67]
	;; [unrolled: 1-line block ×5, first 2 shown]
	v_add_f64 v[8:9], v[50:51], v[8:9]
	v_add_f64 v[8:9], v[68:69], v[8:9]
	v_mul_f64 v[8:9], v[52:53], v[8:9]
	v_add_f64 v[50:51], v[64:65], v[8:9]
	v_add_f64 v[52:53], v[50:51], -v[64:65]
	v_add_f64 v[8:9], v[8:9], -v[52:53]
	v_mul_f64 v[52:53], v[50:51], v[50:51]
	v_mov_b32_e32 v54, 0x6b47b09a
	v_mov_b32_e32 v55, 0x3fc38538
	v_fmac_f64_e32 v[54:55], s[10:11], v[52:53]
	v_mov_b32_e32 v64, 0xd7f4df2e
	v_mov_b32_e32 v65, 0x3fc7474d
	v_fmac_f64_e32 v[64:65], v[52:53], v[54:55]
	v_mov_b32_e32 v54, 0x16291751
	v_mov_b32_e32 v55, 0x3fcc71c0
	v_fmac_f64_e32 v[54:55], v[52:53], v[64:65]
	v_mov_b32_e32 v64, 0x9b27acf1
	v_mov_b32_e32 v65, 0x3fd24924
	v_fmac_f64_e32 v[64:65], v[52:53], v[54:55]
	v_mov_b32_e32 v54, 0x998ef7b6
	v_mov_b32_e32 v55, 0x3fd99999
	v_fmac_f64_e32 v[54:55], v[52:53], v[64:65]
	v_mov_b32_e32 v64, 0x55555780
	v_mov_b32_e32 v65, 0x3fe55555
	v_fmac_f64_e32 v[64:65], v[52:53], v[54:55]
	v_ldexp_f64 v[54:55], v[50:51], 1
	v_mul_f64 v[50:51], v[50:51], v[52:53]
	v_mul_f64 v[50:51], v[50:51], v[64:65]
	v_add_f64 v[52:53], v[54:55], v[50:51]
	v_add_f64 v[54:55], v[52:53], -v[54:55]
	v_ldexp_f64 v[8:9], v[8:9], 1
	v_add_f64 v[50:51], v[50:51], -v[54:55]
	v_add_f64 v[8:9], v[8:9], v[50:51]
	v_add_f64 v[50:51], v[52:53], v[8:9]
	v_subbrev_co_u32_e32 v7, vcc, 0, v7, vcc
	v_add_f64 v[52:53], v[50:51], -v[52:53]
	s_mov_b32 s10, 0xfefa39ef
	v_add_f64 v[8:9], v[8:9], -v[52:53]
	v_cvt_f64_i32_e32 v[52:53], v7
	s_mov_b32 s11, 0x3fe62e42
	v_mul_f64 v[54:55], v[52:53], s[10:11]
	v_fma_f64 v[64:65], v[52:53], s[10:11], -v[54:55]
	s_mov_b32 s10, 0x3b39803f
	s_mov_b32 s11, 0x3c7abc9e
	v_fmac_f64_e32 v[64:65], s[10:11], v[52:53]
	v_add_f64 v[52:53], v[54:55], v[64:65]
	v_add_f64 v[54:55], v[52:53], -v[54:55]
	v_add_f64 v[54:55], v[64:65], -v[54:55]
	v_add_f64 v[64:65], v[52:53], v[50:51]
	v_add_f64 v[66:67], v[64:65], -v[52:53]
	v_add_f64 v[68:69], v[64:65], -v[66:67]
	;; [unrolled: 1-line block ×4, first 2 shown]
	v_add_f64 v[50:51], v[50:51], v[52:53]
	v_add_f64 v[52:53], v[54:55], v[8:9]
	v_add_f64 v[66:67], v[52:53], -v[54:55]
	v_add_f64 v[68:69], v[52:53], -v[66:67]
	v_add_f64 v[50:51], v[52:53], v[50:51]
	v_add_f64 v[54:55], v[54:55], -v[68:69]
	v_add_f64 v[8:9], v[8:9], -v[66:67]
	v_add_f64 v[52:53], v[64:65], v[50:51]
	v_add_f64 v[8:9], v[8:9], v[54:55]
	v_add_f64 v[54:55], v[52:53], -v[64:65]
	v_add_f64 v[50:51], v[50:51], -v[54:55]
	v_add_f64 v[8:9], v[8:9], v[50:51]
	s_mov_b32 s10, 0x6dc9c883
	v_add_f64 v[8:9], v[52:53], v[8:9]
	s_mov_b32 s11, 0x3fe45f30
	v_mul_f64 v[8:9], v[8:9], s[10:11]
	v_fmac_f64_e32 v[10:11], v[8:9], v[48:49]
.LBB0_371:
	s_or_b64 exec, exec, s[8:9]
.LBB0_372:
	s_or_b64 exec, exec, s[6:7]
                                        ; implicit-def: $vgpr8_vgpr9
.LBB0_373:
	s_andn2_saveexec_b64 s[6:7], s[2:3]
	s_cbranch_execz .LBB0_399
; %bb.374:
	s_mov_b32 s11, 0xbfe921fb
	s_mov_b32 s10, 0x54442d18
	;; [unrolled: 1-line block ×3, first 2 shown]
	v_add_f64 v[10:11], v[8:9], s[10:11]
	s_mov_b32 s3, 0x41d00000
	v_cmp_nlt_f64_e64 s[8:9], |v[10:11]|, s[2:3]
	v_trig_preop_f64 v[68:69], |v[10:11]|, 0
	v_trig_preop_f64 v[66:67], |v[10:11]|, 1
	;; [unrolled: 1-line block ×3, first 2 shown]
                                        ; implicit-def: $vgpr7
                                        ; implicit-def: $vgpr48_vgpr49
                                        ; implicit-def: $vgpr50_vgpr51
	s_and_saveexec_b64 s[2:3], s[8:9]
	s_xor_b64 s[12:13], exec, s[2:3]
	s_cbranch_execz .LBB0_392
; %bb.375:
	s_mov_b32 s2, 0
	s_mov_b32 s3, 0x7b000000
	s_movk_i32 s11, 0xff80
	v_and_b32_e32 v7, 0x7fffffff, v11
	v_ldexp_f64 v[48:49], |v[10:11]|, s11
	v_cmp_ge_f64_e64 vcc, |v[10:11]|, s[2:3]
	s_mov_b32 s2, 0
	s_mov_b32 s3, 0x7ff00000
	v_cndmask_b32_e32 v49, v7, v49, vcc
	v_cndmask_b32_e32 v48, v10, v48, vcc
	v_mul_f64 v[52:53], v[68:69], v[48:49]
	v_mul_f64 v[50:51], v[66:67], v[48:49]
	v_fma_f64 v[54:55], v[68:69], v[48:49], -v[52:53]
	v_add_f64 v[80:81], v[50:51], v[54:55]
	v_add_f64 v[82:83], v[52:53], v[80:81]
	v_ldexp_f64 v[84:85], v[82:83], -2
	v_fract_f64_e32 v[86:87], v[84:85]
	v_cmp_neq_f64_e64 vcc, |v[84:85]|, s[2:3]
	v_add_f64 v[52:53], v[82:83], -v[52:53]
	v_add_f64 v[52:53], v[80:81], -v[52:53]
	v_cndmask_b32_e32 v85, 0, v87, vcc
	v_cndmask_b32_e32 v84, 0, v86, vcc
	v_add_f64 v[86:87], v[80:81], -v[50:51]
	v_add_f64 v[54:55], v[54:55], -v[86:87]
	;; [unrolled: 1-line block ×4, first 2 shown]
	v_add_f64 v[54:55], v[54:55], v[86:87]
	v_fma_f64 v[50:51], v[66:67], v[48:49], -v[50:51]
	v_mul_f64 v[86:87], v[64:65], v[48:49]
	v_add_f64 v[98:99], v[86:87], v[50:51]
	v_add_f64 v[100:101], v[98:99], v[54:55]
	v_add_f64 v[82:83], v[100:101], -v[98:99]
	v_add_f64 v[54:55], v[54:55], -v[82:83]
	;; [unrolled: 1-line block ×4, first 2 shown]
	v_add_f64 v[54:55], v[54:55], v[82:83]
	v_add_f64 v[82:83], v[98:99], -v[86:87]
	v_add_f64 v[50:51], v[50:51], -v[82:83]
	;; [unrolled: 1-line block ×4, first 2 shown]
	v_add_f64 v[80:81], v[52:53], v[100:101]
	v_add_f64 v[50:51], v[50:51], v[82:83]
	v_add_f64 v[52:53], v[80:81], -v[52:53]
	v_add_f64 v[50:51], v[50:51], v[54:55]
	v_fma_f64 v[48:49], v[64:65], v[48:49], -v[86:87]
	v_add_f64 v[52:53], v[100:101], -v[52:53]
	v_add_f64 v[48:49], v[48:49], v[50:51]
	v_ldexp_f64 v[50:51], v[84:85], 2
	v_add_f64 v[48:49], v[52:53], v[48:49]
	v_add_f64 v[52:53], v[80:81], v[50:51]
	v_mov_b32_e32 v7, 0x40100000
	v_cmp_gt_f64_e32 vcc, 0, v[52:53]
	v_mov_b32_e32 v96, 0
	s_mov_b32 s11, 0x3ff921fb
	v_cndmask_b32_e32 v97, 0, v7, vcc
	v_add_f64 v[50:51], v[50:51], v[96:97]
	v_add_f64 v[52:53], v[80:81], v[50:51]
	v_cvt_i32_f64_e32 v7, v[52:53]
	v_cvt_f64_i32_e32 v[52:53], v7
	v_add_f64 v[50:51], v[50:51], -v[52:53]
	v_add_f64 v[52:53], v[80:81], v[50:51]
	v_add_f64 v[50:51], v[52:53], -v[50:51]
	v_add_f64 v[50:51], v[80:81], -v[50:51]
	v_add_f64 v[48:49], v[48:49], v[50:51]
	v_cmp_le_f64_e32 vcc, 0.5, v[52:53]
	v_mov_b32_e32 v50, 0x3ff00000
	s_nop 0
	v_cndmask_b32_e32 v97, 0, v50, vcc
	v_add_f64 v[50:51], v[52:53], -v[96:97]
	v_add_f64 v[52:53], v[50:51], v[48:49]
	v_addc_co_u32_e64 v7, s[2:3], 0, v7, vcc
	v_add_f64 v[50:51], v[52:53], -v[50:51]
	v_add_f64 v[48:49], v[48:49], -v[50:51]
	v_mul_f64 v[50:51], v[52:53], s[10:11]
	s_mov_b32 s2, 0x33145c07
	v_fma_f64 v[54:55], v[52:53], s[10:11], -v[50:51]
	s_mov_b32 s3, 0x3c91a626
	v_fmac_f64_e32 v[54:55], s[2:3], v[52:53]
	v_fmac_f64_e32 v[54:55], s[10:11], v[48:49]
	v_add_f64 v[48:49], v[50:51], v[54:55]
	v_add_f64 v[50:51], v[48:49], -v[50:51]
	v_add_f64 v[50:51], v[54:55], -v[50:51]
	s_andn2_saveexec_b64 s[2:3], s[12:13]
	s_cbranch_execz .LBB0_394
	s_branch .LBB0_393
.LBB0_376:
	s_or_b64 exec, exec, s[4:5]
	s_and_saveexec_b64 s[2:3], s[0:1]
	s_xor_b64 s[0:1], exec, s[2:3]
	s_cbranch_execz .LBB0_400
.LBB0_377:
	v_mov_b32_e32 v7, 0
	v_lshl_add_u64 v[6:7], v[6:7], 3, v[0:1]
	v_mov_b32_e32 v5, v70
	flat_store_dwordx2 v[6:7], v[2:3]
	s_or_b64 exec, exec, s[0:1]
	v_cmp_lt_i32_e32 vcc, v5, v4
	s_and_saveexec_b64 s[0:1], vcc
	s_cbranch_execnz .LBB0_401
.LBB0_378:
	s_or_b64 exec, exec, s[0:1]
	v_cmp_lt_i32_e32 vcc, v5, v4
	s_and_saveexec_b64 s[0:1], vcc
	s_cbranch_execz .LBB0_402
.LBB0_379:
	v_add_u32_e32 v2, s20, v5
	v_mov_b32_e32 v3, 0
	v_lshl_add_u64 v[2:3], v[2:3], 3, v[0:1]
	v_add_u32_e32 v5, 0x100, v5
	s_waitcnt vmcnt(0) lgkmcnt(0)
	flat_store_dwordx2 v[2:3], v[16:17]
	s_or_b64 exec, exec, s[0:1]
	v_cmp_lt_i32_e32 vcc, v5, v4
	s_and_saveexec_b64 s[0:1], vcc
	s_cbranch_execnz .LBB0_403
.LBB0_380:
	s_or_b64 exec, exec, s[0:1]
	v_cmp_lt_i32_e32 vcc, v5, v4
	s_and_saveexec_b64 s[0:1], vcc
	s_cbranch_execz .LBB0_404
.LBB0_381:
	v_add_u32_e32 v2, s20, v5
	v_mov_b32_e32 v3, 0
	v_lshl_add_u64 v[2:3], v[2:3], 3, v[0:1]
	v_add_u32_e32 v5, 0x100, v5
	s_waitcnt vmcnt(0) lgkmcnt(0)
	flat_store_dwordx2 v[2:3], v[24:25]
	s_or_b64 exec, exec, s[0:1]
	v_cmp_lt_i32_e32 vcc, v5, v4
	s_and_saveexec_b64 s[0:1], vcc
	s_cbranch_execnz .LBB0_405
.LBB0_382:
	s_or_b64 exec, exec, s[0:1]
	v_cmp_lt_i32_e32 vcc, v5, v4
	s_and_saveexec_b64 s[0:1], vcc
	s_cbranch_execz .LBB0_406
.LBB0_383:
	v_add_u32_e32 v2, s20, v5
	v_mov_b32_e32 v3, 0
	v_lshl_add_u64 v[2:3], v[2:3], 3, v[0:1]
	v_add_u32_e32 v5, 0x100, v5
	s_waitcnt vmcnt(0) lgkmcnt(0)
	flat_store_dwordx2 v[2:3], v[32:33]
	s_or_b64 exec, exec, s[0:1]
	v_cmp_lt_i32_e32 vcc, v5, v4
	s_and_saveexec_b64 s[0:1], vcc
	s_cbranch_execnz .LBB0_407
.LBB0_384:
	s_or_b64 exec, exec, s[0:1]
	v_cmp_lt_i32_e32 vcc, v5, v4
	s_and_saveexec_b64 s[0:1], vcc
	s_cbranch_execz .LBB0_408
.LBB0_385:
	v_add_u32_e32 v2, s20, v5
	v_mov_b32_e32 v3, 0
	v_lshl_add_u64 v[2:3], v[2:3], 3, v[0:1]
	v_add_u32_e32 v5, 0x100, v5
	s_waitcnt vmcnt(0) lgkmcnt(0)
	flat_store_dwordx2 v[2:3], v[38:39]
	s_or_b64 exec, exec, s[0:1]
	v_cmp_lt_i32_e32 vcc, v5, v4
	s_and_saveexec_b64 s[0:1], vcc
	s_cbranch_execnz .LBB0_409
.LBB0_386:
	s_or_b64 exec, exec, s[0:1]
	v_cmp_lt_i32_e32 vcc, v5, v4
	s_and_saveexec_b64 s[0:1], vcc
	s_cbranch_execz .LBB0_410
.LBB0_387:
	v_add_u32_e32 v2, s20, v5
	v_mov_b32_e32 v3, 0
	v_lshl_add_u64 v[2:3], v[2:3], 3, v[0:1]
	v_add_u32_e32 v5, 0x100, v5
	s_waitcnt vmcnt(0) lgkmcnt(0)
	flat_store_dwordx2 v[2:3], v[30:31]
	s_or_b64 exec, exec, s[0:1]
	v_cmp_lt_i32_e32 vcc, v5, v4
	s_and_saveexec_b64 s[0:1], vcc
	s_cbranch_execnz .LBB0_411
.LBB0_388:
	s_or_b64 exec, exec, s[0:1]
	v_cmp_lt_i32_e32 vcc, v5, v4
	s_and_saveexec_b64 s[0:1], vcc
	s_cbranch_execz .LBB0_412
.LBB0_389:
	v_add_u32_e32 v2, s20, v5
	v_mov_b32_e32 v3, 0
	v_lshl_add_u64 v[2:3], v[2:3], 3, v[0:1]
	v_add_u32_e32 v5, 0x100, v5
	s_waitcnt vmcnt(0) lgkmcnt(0)
	flat_store_dwordx2 v[2:3], v[22:23]
	s_or_b64 exec, exec, s[0:1]
	v_cmp_lt_i32_e32 vcc, v5, v4
	s_and_saveexec_b64 s[0:1], vcc
	s_cbranch_execnz .LBB0_413
.LBB0_390:
	s_or_b64 exec, exec, s[0:1]
	v_cmp_lt_i32_e32 vcc, v5, v4
	s_and_saveexec_b64 s[0:1], vcc
	s_cbranch_execz .LBB0_414
.LBB0_391:
	v_add_u32_e32 v2, s20, v5
	v_mov_b32_e32 v3, 0
	v_lshl_add_u64 v[2:3], v[2:3], 3, v[0:1]
	v_add_u32_e32 v5, 0x100, v5
	s_waitcnt vmcnt(0) lgkmcnt(0)
	flat_store_dwordx2 v[2:3], v[14:15]
	s_or_b64 exec, exec, s[0:1]
	v_cmp_lt_i32_e32 vcc, v5, v4
	s_and_saveexec_b64 s[0:1], vcc
	s_cbranch_execnz .LBB0_415
	s_branch .LBB0_416
.LBB0_392:
	s_andn2_saveexec_b64 s[2:3], s[12:13]
	s_cbranch_execz .LBB0_394
.LBB0_393:
	s_mov_b32 s10, 0x6dc9c883
	s_mov_b32 s11, 0x3fe45f30
	v_mul_f64 v[48:49], |v[10:11]|, s[10:11]
	s_mov_b32 s10, 0x54442d18
	v_rndne_f64_e32 v[52:53], v[48:49]
	s_mov_b32 s11, 0xbff921fb
	v_fma_f64 v[48:49], v[52:53], s[10:11], |v[10:11]|
	s_mov_b32 s11, 0xbc91a626
	s_mov_b32 s10, 0x33145c00
	v_mul_f64 v[54:55], v[52:53], s[10:11]
	v_add_f64 v[82:83], v[48:49], v[54:55]
	v_fma_f64 v[50:51], s[10:11], v[52:53], v[48:49]
	s_mov_b32 s11, 0x3c91a626
	v_add_f64 v[48:49], v[48:49], -v[82:83]
	v_fma_f64 v[80:81], s[10:11], v[52:53], v[54:55]
	v_add_f64 v[48:49], v[48:49], v[54:55]
	v_add_f64 v[54:55], v[82:83], -v[50:51]
	v_add_f64 v[48:49], v[54:55], v[48:49]
	s_mov_b32 s10, 0x252049c0
	v_add_f64 v[54:55], v[48:49], -v[80:81]
	s_mov_b32 s11, 0xb97b839a
	v_fmac_f64_e32 v[54:55], s[10:11], v[52:53]
	v_add_f64 v[48:49], v[50:51], v[54:55]
	v_add_f64 v[50:51], v[48:49], -v[50:51]
	v_add_f64 v[50:51], v[54:55], -v[50:51]
	v_cvt_i32_f64_e32 v7, v[52:53]
.LBB0_394:
	s_or_b64 exec, exec, s[2:3]
                                        ; implicit-def: $vgpr71
                                        ; implicit-def: $vgpr52_vgpr53
                                        ; implicit-def: $vgpr54_vgpr55
	s_and_saveexec_b64 s[2:3], s[8:9]
	s_xor_b64 s[8:9], exec, s[2:3]
	s_cbranch_execz .LBB0_396
; %bb.395:
	s_mov_b32 s2, 0
	s_mov_b32 s3, 0x7b000000
	s_movk_i32 s10, 0xff80
	v_and_b32_e32 v54, 0x7fffffff, v11
	v_ldexp_f64 v[52:53], |v[10:11]|, s10
	v_cmp_ge_f64_e64 vcc, |v[10:11]|, s[2:3]
	s_mov_b32 s2, 0
	s_mov_b32 s3, 0x7ff00000
	v_cndmask_b32_e32 v53, v54, v53, vcc
	v_cndmask_b32_e32 v52, v10, v52, vcc
	v_mul_f64 v[80:81], v[68:69], v[52:53]
	v_mul_f64 v[54:55], v[66:67], v[52:53]
	v_fma_f64 v[68:69], v[68:69], v[52:53], -v[80:81]
	v_add_f64 v[82:83], v[54:55], v[68:69]
	v_add_f64 v[84:85], v[80:81], v[82:83]
	v_ldexp_f64 v[86:87], v[84:85], -2
	v_fract_f64_e32 v[96:97], v[86:87]
	v_cmp_neq_f64_e64 vcc, |v[86:87]|, s[2:3]
	v_add_f64 v[80:81], v[84:85], -v[80:81]
	v_add_f64 v[80:81], v[82:83], -v[80:81]
	v_cndmask_b32_e32 v87, 0, v97, vcc
	v_cndmask_b32_e32 v86, 0, v96, vcc
	v_add_f64 v[96:97], v[82:83], -v[54:55]
	v_add_f64 v[68:69], v[68:69], -v[96:97]
	;; [unrolled: 1-line block ×4, first 2 shown]
	v_fma_f64 v[54:55], v[66:67], v[52:53], -v[54:55]
	v_mul_f64 v[66:67], v[64:65], v[52:53]
	v_add_f64 v[68:69], v[68:69], v[96:97]
	v_add_f64 v[96:97], v[66:67], v[54:55]
	;; [unrolled: 1-line block ×3, first 2 shown]
	v_add_f64 v[84:85], v[100:101], -v[96:97]
	v_add_f64 v[68:69], v[68:69], -v[84:85]
	;; [unrolled: 1-line block ×4, first 2 shown]
	v_add_f64 v[68:69], v[68:69], v[84:85]
	v_add_f64 v[84:85], v[96:97], -v[66:67]
	v_add_f64 v[54:55], v[54:55], -v[84:85]
	;; [unrolled: 1-line block ×4, first 2 shown]
	v_add_f64 v[54:55], v[54:55], v[84:85]
	v_add_f64 v[54:55], v[54:55], v[68:69]
	v_fma_f64 v[52:53], v[64:65], v[52:53], -v[66:67]
	v_add_f64 v[82:83], v[80:81], v[100:101]
	v_add_f64 v[52:53], v[52:53], v[54:55]
	v_ldexp_f64 v[54:55], v[86:87], 2
	v_add_f64 v[64:65], v[82:83], v[54:55]
	v_mov_b32_e32 v66, 0x40100000
	v_cmp_gt_f64_e32 vcc, 0, v[64:65]
	v_mov_b32_e32 v98, 0
	v_add_f64 v[80:81], v[82:83], -v[80:81]
	v_cndmask_b32_e32 v99, 0, v66, vcc
	v_add_f64 v[54:55], v[54:55], v[98:99]
	v_add_f64 v[64:65], v[82:83], v[54:55]
	v_cvt_i32_f64_e32 v66, v[64:65]
	v_cvt_f64_i32_e32 v[64:65], v66
	v_add_f64 v[54:55], v[54:55], -v[64:65]
	v_add_f64 v[64:65], v[82:83], v[54:55]
	v_add_f64 v[80:81], v[100:101], -v[80:81]
	v_add_f64 v[54:55], v[64:65], -v[54:55]
	v_add_f64 v[52:53], v[80:81], v[52:53]
	v_add_f64 v[54:55], v[82:83], -v[54:55]
	v_add_f64 v[52:53], v[52:53], v[54:55]
	v_cmp_le_f64_e32 vcc, 0.5, v[64:65]
	v_mov_b32_e32 v54, 0x3ff00000
	s_mov_b32 s10, 0x33145c07
	v_cndmask_b32_e32 v99, 0, v54, vcc
	v_addc_co_u32_e64 v71, s[2:3], 0, v66, vcc
	v_add_f64 v[54:55], v[64:65], -v[98:99]
	v_add_f64 v[64:65], v[54:55], v[52:53]
	s_mov_b32 s2, 0x54442d18
	v_add_f64 v[54:55], v[64:65], -v[54:55]
	s_mov_b32 s3, 0x3ff921fb
	v_add_f64 v[52:53], v[52:53], -v[54:55]
	v_mul_f64 v[54:55], v[64:65], s[2:3]
	v_fma_f64 v[66:67], v[64:65], s[2:3], -v[54:55]
	s_mov_b32 s11, 0x3c91a626
	v_fmac_f64_e32 v[66:67], s[10:11], v[64:65]
	v_fmac_f64_e32 v[66:67], s[2:3], v[52:53]
	v_add_f64 v[52:53], v[54:55], v[66:67]
	v_add_f64 v[54:55], v[52:53], -v[54:55]
	v_add_f64 v[54:55], v[66:67], -v[54:55]
	s_andn2_saveexec_b64 s[2:3], s[8:9]
	s_cbranch_execnz .LBB0_397
	s_branch .LBB0_398
.LBB0_396:
	s_andn2_saveexec_b64 s[2:3], s[8:9]
	s_cbranch_execz .LBB0_398
.LBB0_397:
	s_mov_b32 s8, 0x6dc9c883
	s_mov_b32 s9, 0x3fe45f30
	v_mul_f64 v[52:53], |v[10:11]|, s[8:9]
	s_mov_b32 s8, 0x54442d18
	v_rndne_f64_e32 v[64:65], v[52:53]
	s_mov_b32 s9, 0xbff921fb
	v_fma_f64 v[52:53], v[64:65], s[8:9], |v[10:11]|
	s_mov_b32 s9, 0xbc91a626
	s_mov_b32 s8, 0x33145c00
	v_mul_f64 v[66:67], v[64:65], s[8:9]
	v_add_f64 v[80:81], v[52:53], v[66:67]
	v_fma_f64 v[54:55], s[8:9], v[64:65], v[52:53]
	s_mov_b32 s9, 0x3c91a626
	v_add_f64 v[52:53], v[52:53], -v[80:81]
	v_fma_f64 v[68:69], s[8:9], v[64:65], v[66:67]
	v_add_f64 v[52:53], v[52:53], v[66:67]
	v_add_f64 v[66:67], v[80:81], -v[54:55]
	v_add_f64 v[52:53], v[66:67], v[52:53]
	s_mov_b32 s8, 0x252049c0
	v_add_f64 v[66:67], v[52:53], -v[68:69]
	s_mov_b32 s9, 0xb97b839a
	v_fmac_f64_e32 v[66:67], s[8:9], v[64:65]
	v_add_f64 v[52:53], v[54:55], v[66:67]
	v_add_f64 v[54:55], v[52:53], -v[54:55]
	v_add_f64 v[54:55], v[66:67], -v[54:55]
	v_cvt_i32_f64_e32 v71, v[64:65]
.LBB0_398:
	s_or_b64 exec, exec, s[2:3]
	s_mov_b32 s2, 0
	v_mul_f64 v[64:65], v[8:9], v[8:9]
	s_mov_b32 s3, 0x40390000
	v_div_scale_f64 v[66:67], s[8:9], v[64:65], v[64:65], s[2:3]
	v_rcp_f64_e32 v[68:69], v[66:67]
	v_mov_b32_e32 v84, 0xb1759c7f
	v_mov_b32_e32 v85, 0x408ac370
	;; [unrolled: 1-line block ×3, first 2 shown]
	v_fma_f64 v[80:81], -v[66:67], v[68:69], 1.0
	v_fmac_f64_e32 v[68:69], v[68:69], v[80:81]
	v_fma_f64 v[80:81], -v[66:67], v[68:69], 1.0
	v_fmac_f64_e32 v[68:69], v[68:69], v[80:81]
	v_div_scale_f64 v[80:81], vcc, s[2:3], v[64:65], s[2:3]
	v_mul_f64 v[82:83], v[80:81], v[68:69]
	v_fma_f64 v[66:67], -v[66:67], v[82:83], v[80:81]
	v_mov_b32_e32 v80, 0xab5454e3
	s_nop 0
	v_div_fmas_f64 v[66:67], v[66:67], v[68:69], v[82:83]
	v_div_fixup_f64 v[64:65], v[66:67], v[64:65], s[2:3]
	v_mov_b32_e32 v66, 0x983b6b27
	v_mov_b32_e32 v67, 0x3f4a1d30
	v_fmac_f64_e32 v[66:67], 0, v[64:65]
	v_mov_b32_e32 v68, 0xb35dd1cf
	v_mov_b32_e32 v69, 0x3fb534b0
	v_fmac_f64_e32 v[68:69], v[64:65], v[66:67]
	;; [unrolled: 3-line block ×7, first 2 shown]
	v_mov_b32_e32 v81, 0x3fb5ebc5
	v_fmac_f64_e32 v[80:81], v[64:65], v[66:67]
	v_mov_b32_e32 v66, 0xc9b3069f
	v_mov_b32_e32 v67, 0x3ff40e72
	v_fmac_f64_e32 v[66:67], v[64:65], v[80:81]
	v_mov_b32_e32 v80, 0xe68162bb
	;; [unrolled: 3-line block ×4, first 2 shown]
	v_mov_b32_e32 v81, 0x40153965
	v_fmac_f64_e32 v[80:81], v[64:65], v[66:67]
	v_fma_f64 v[66:67], v[64:65], v[80:81], 1.0
	v_mov_b32_e32 v80, 0x38a5384a
	v_mov_b32_e32 v81, 0xbf874742
	v_fmac_f64_e32 v[80:81], 0, v[64:65]
	v_mov_b32_e32 v82, 0x3a321174
	v_mov_b32_e32 v83, 0xbff4853b
	v_fmac_f64_e32 v[82:83], v[64:65], v[80:81]
	;; [unrolled: 3-line block ×9, first 2 shown]
	v_fmac_f64_e32 v[84:85], v[64:65], v[80:81]
	v_mov_b32_e32 v80, 0xbd748cb5
	v_mov_b32_e32 v81, 0x40ae54cd
	v_fmac_f64_e32 v[80:81], v[64:65], v[84:85]
	v_mov_b32_e32 v84, 0xbdefd63e
	v_mov_b32_e32 v85, 0x40bc4877
	;; [unrolled: 3-line block ×4, first 2 shown]
	v_fma_f64 v[68:69], v[64:65], v[68:69], 1.0
	v_fmac_f64_e32 v[84:85], v[64:65], v[80:81]
	v_div_scale_f64 v[80:81], s[2:3], v[66:67], v[66:67], v[68:69]
	v_rcp_f64_e32 v[86:87], v[80:81]
	v_mov_b32_e32 v97, 0x406e402f
	v_fmac_f64_e32 v[96:97], v[64:65], v[84:85]
	s_mov_b32 s2, 0x9037ab78
	v_fma_f64 v[64:65], -v[80:81], v[86:87], 1.0
	v_fmac_f64_e32 v[86:87], v[86:87], v[64:65]
	v_fma_f64 v[64:65], -v[80:81], v[86:87], 1.0
	v_fmac_f64_e32 v[86:87], v[86:87], v[64:65]
	v_div_scale_f64 v[64:65], vcc, v[68:69], v[66:67], v[68:69]
	v_mul_f64 v[84:85], v[64:65], v[86:87]
	v_fma_f64 v[64:65], -v[80:81], v[84:85], v[64:65]
	s_mov_b32 s3, 0x3e21eeb6
	s_nop 0
	v_div_fmas_f64 v[64:65], v[64:65], v[86:87], v[84:85]
	s_mov_b32 s8, 0x46cc5e42
	v_div_fixup_f64 v[64:65], v[64:65], v[66:67], v[68:69]
	v_mul_f64 v[66:67], v[48:49], v[48:49]
	s_mov_b32 s9, 0xbda907db
	v_mov_b64_e32 v[86:87], s[2:3]
	s_mov_b32 s10, 0xa17f65f6
	v_mul_f64 v[68:69], v[66:67], 0.5
	v_fma_f64 v[98:99], s[8:9], v[66:67], v[86:87]
	s_mov_b32 s11, 0xbe927e4f
	s_mov_b32 s12, 0x19f4ec90
	v_add_f64 v[80:81], -v[68:69], 1.0
	v_fma_f64 v[98:99], v[66:67], v[98:99], s[10:11]
	s_mov_b32 s13, 0x3efa01a0
	s_mov_b32 s14, 0x16c16967
	v_add_f64 v[84:85], -v[80:81], 1.0
	v_fma_f64 v[98:99], v[66:67], v[98:99], s[12:13]
	s_mov_b32 s15, 0xbf56c16c
	s_mov_b32 s16, 0x55555555
	v_add_f64 v[68:69], v[84:85], -v[68:69]
	v_fma_f64 v[98:99], v[66:67], v[98:99], s[14:15]
	s_mov_b32 s17, 0x3fa55555
	v_mul_f64 v[84:85], v[66:67], v[66:67]
	v_fma_f64 v[98:99], v[66:67], v[98:99], s[16:17]
	v_fma_f64 v[68:69], v[48:49], -v[50:51], v[68:69]
	s_mov_b32 s2, 0xb42fdfa7
	v_fmac_f64_e32 v[68:69], v[84:85], v[98:99]
	s_mov_b32 s3, 0xbe5ae600
	s_mov_b32 s18, 0xf9a43bb8
	v_add_f64 v[68:69], v[80:81], v[68:69]
	s_mov_b32 s19, 0x3de5e0b2
	v_mov_b64_e32 v[80:81], s[2:3]
	s_mov_b32 s22, 0x796cde01
	v_fma_f64 v[84:85], s[18:19], v[66:67], v[80:81]
	s_mov_b32 s23, 0x3ec71de3
	s_mov_b32 s24, 0x19e83e5c
	v_fma_f64 v[84:85], v[66:67], v[84:85], s[22:23]
	s_mov_b32 s25, 0xbf2a01a0
	;; [unrolled: 3-line block ×3, first 2 shown]
	v_fma_f64 v[84:85], v[66:67], v[84:85], s[26:27]
	v_mul_f64 v[98:99], v[48:49], -v[66:67]
	v_mul_f64 v[100:101], v[50:51], 0.5
	v_fmac_f64_e32 v[100:101], v[98:99], v[84:85]
	v_fma_f64 v[50:51], v[66:67], v[100:101], -v[50:51]
	s_mov_b32 s29, 0xbfc55555
	s_mov_b32 s28, s16
	v_fmac_f64_e32 v[50:51], s[28:29], v[98:99]
	v_add_f64 v[48:49], v[48:49], -v[50:51]
	v_and_b32_e32 v50, 1, v7
	v_lshlrev_b32_e32 v7, 30, v7
	v_cmp_eq_u32_e32 vcc, 0, v50
	v_xor_b32_e32 v7, v7, v11
	s_mov_b32 s30, 0
	v_cndmask_b32_e32 v66, v68, v48, vcc
	v_cndmask_b32_e32 v48, v69, v49, vcc
	v_and_b32_e32 v7, 0x80000000, v7
	s_mov_b32 s31, 0x40140000
	v_xor_b32_e32 v7, v48, v7
	v_div_scale_f64 v[48:49], s[2:3], v[8:9], v[8:9], s[30:31]
	v_rcp_f64_e32 v[50:51], v[48:49]
	s_movk_i32 s21, 0x1f8
	v_cmp_class_f64_e64 s[2:3], v[10:11], s21
	v_mov_b32_e32 v98, 0x7ff80000
	s_nop 0
	v_cndmask_b32_e64 v10, 0, v66, s[2:3]
	v_fma_f64 v[66:67], -v[48:49], v[50:51], 1.0
	v_fmac_f64_e32 v[50:51], v[50:51], v[66:67]
	v_fma_f64 v[66:67], -v[48:49], v[50:51], 1.0
	v_fmac_f64_e32 v[50:51], v[50:51], v[66:67]
	v_div_scale_f64 v[66:67], vcc, s[30:31], v[8:9], s[30:31]
	v_mul_f64 v[68:69], v[66:67], v[50:51]
	v_fma_f64 v[48:49], -v[48:49], v[68:69], v[66:67]
	v_div_scale_f64 v[66:67], s[34:35], v[96:97], v[96:97], v[82:83]
	v_rcp_f64_e32 v[84:85], v[66:67]
	v_div_fmas_f64 v[48:49], v[48:49], v[50:51], v[68:69]
	v_div_fixup_f64 v[48:49], v[48:49], v[8:9], s[30:31]
	v_cndmask_b32_e64 v11, v98, v7, s[2:3]
	v_fma_f64 v[50:51], -v[66:67], v[84:85], 1.0
	v_fmac_f64_e32 v[84:85], v[84:85], v[50:51]
	v_fma_f64 v[50:51], -v[66:67], v[84:85], 1.0
	v_fmac_f64_e32 v[84:85], v[84:85], v[50:51]
	v_div_scale_f64 v[50:51], vcc, v[82:83], v[96:97], v[82:83]
	v_mul_f64 v[68:69], v[50:51], v[84:85]
	v_fma_f64 v[50:51], -v[66:67], v[68:69], v[50:51]
	s_nop 1
	v_div_fmas_f64 v[50:51], v[50:51], v[84:85], v[68:69]
	v_div_fixup_f64 v[50:51], v[50:51], v[96:97], v[82:83]
	v_mul_f64 v[48:49], v[48:49], v[50:51]
	v_mul_f64 v[50:51], v[52:53], v[52:53]
	v_mul_f64 v[66:67], v[50:51], 0.5
	v_fmac_f64_e32 v[86:87], s[8:9], v[50:51]
	v_add_f64 v[68:69], -v[66:67], 1.0
	v_fma_f64 v[84:85], v[50:51], v[86:87], s[10:11]
	v_add_f64 v[82:83], -v[68:69], 1.0
	v_fma_f64 v[84:85], v[50:51], v[84:85], s[12:13]
	v_add_f64 v[66:67], v[82:83], -v[66:67]
	v_fma_f64 v[84:85], v[50:51], v[84:85], s[14:15]
	v_mul_f64 v[82:83], v[50:51], v[50:51]
	v_fma_f64 v[84:85], v[50:51], v[84:85], s[16:17]
	v_fma_f64 v[66:67], v[52:53], -v[54:55], v[66:67]
	v_fmac_f64_e32 v[66:67], v[82:83], v[84:85]
	v_fmac_f64_e32 v[80:81], s[18:19], v[50:51]
	v_add_f64 v[66:67], v[68:69], v[66:67]
	v_fma_f64 v[68:69], v[50:51], v[80:81], s[22:23]
	v_fma_f64 v[68:69], v[50:51], v[68:69], s[24:25]
	;; [unrolled: 1-line block ×3, first 2 shown]
	v_mul_f64 v[80:81], v[52:53], -v[50:51]
	v_mul_f64 v[82:83], v[54:55], 0.5
	v_fmac_f64_e32 v[82:83], v[80:81], v[68:69]
	v_fma_f64 v[50:51], v[50:51], v[82:83], -v[54:55]
	v_fmac_f64_e32 v[50:51], s[28:29], v[80:81]
	v_add_f64 v[50:51], v[52:53], -v[50:51]
	v_xor_b32_e32 v7, 0x80000000, v51
	v_and_b32_e32 v51, 1, v71
	v_cmp_eq_u32_e32 vcc, 0, v51
	v_lshlrev_b32_e32 v51, 30, v71
	v_and_b32_e32 v51, 0x80000000, v51
	v_cndmask_b32_e32 v7, v7, v67, vcc
	v_cndmask_b32_e32 v50, v50, v66, vcc
	v_xor_b32_e32 v7, v7, v51
	v_cndmask_b32_e64 v50, 0, v50, s[2:3]
	v_cndmask_b32_e64 v51, v98, v7, s[2:3]
	s_mov_b32 s2, 0
	s_brev_b32 s3, 8
	v_cmp_gt_f64_e32 vcc, s[2:3], v[8:9]
	v_mul_f64 v[48:49], v[48:49], v[50:51]
	v_fmac_f64_e32 v[48:49], v[64:65], v[10:11]
	v_cndmask_b32_e64 v7, 0, 1, vcc
	v_lshlrev_b32_e32 v7, 8, v7
	v_ldexp_f64 v[8:9], v[8:9], v7
	v_rsq_f64_e32 v[10:11], v[8:9]
	v_mov_b32_e32 v7, 0xffffff80
	v_cndmask_b32_e32 v7, 0, v7, vcc
	s_mov_b32 s2, 0x33d43651
	v_mul_f64 v[50:51], v[8:9], v[10:11]
	v_mul_f64 v[10:11], v[10:11], 0.5
	v_fma_f64 v[52:53], -v[10:11], v[50:51], 0.5
	v_fmac_f64_e32 v[50:51], v[50:51], v[52:53]
	v_fma_f64 v[54:55], -v[50:51], v[50:51], v[8:9]
	v_fmac_f64_e32 v[10:11], v[10:11], v[52:53]
	v_fmac_f64_e32 v[50:51], v[54:55], v[10:11]
	v_fma_f64 v[52:53], -v[50:51], v[50:51], v[8:9]
	v_fmac_f64_e32 v[50:51], v[52:53], v[10:11]
	v_ldexp_f64 v[10:11], v[50:51], v7
	v_mov_b32_e32 v7, 0x260
	s_mov_b32 s3, 0x3fe98845
	v_cmp_class_f64_e32 vcc, v[8:9], v7
	v_mul_f64 v[48:49], v[48:49], s[2:3]
	s_nop 0
	v_cndmask_b32_e32 v9, v11, v9, vcc
	v_cndmask_b32_e32 v8, v10, v8, vcc
	v_div_scale_f64 v[10:11], s[2:3], v[8:9], v[8:9], v[48:49]
	v_rcp_f64_e32 v[50:51], v[10:11]
	s_nop 0
	v_fma_f64 v[52:53], -v[10:11], v[50:51], 1.0
	v_fmac_f64_e32 v[50:51], v[50:51], v[52:53]
	v_fma_f64 v[52:53], -v[10:11], v[50:51], 1.0
	v_fmac_f64_e32 v[50:51], v[50:51], v[52:53]
	v_div_scale_f64 v[52:53], vcc, v[48:49], v[8:9], v[48:49]
	v_mul_f64 v[54:55], v[52:53], v[50:51]
	v_fma_f64 v[10:11], -v[10:11], v[54:55], v[52:53]
	s_nop 1
	v_div_fmas_f64 v[10:11], v[10:11], v[50:51], v[54:55]
	v_div_fixup_f64 v[10:11], v[10:11], v[8:9], v[48:49]
.LBB0_399:
	s_or_b64 exec, exec, s[6:7]
	s_or_b64 exec, exec, s[4:5]
	s_and_saveexec_b64 s[2:3], s[0:1]
	s_xor_b64 s[0:1], exec, s[2:3]
	s_cbranch_execnz .LBB0_377
.LBB0_400:
	s_or_b64 exec, exec, s[0:1]
	v_cmp_lt_i32_e32 vcc, v5, v4
	s_and_saveexec_b64 s[0:1], vcc
	s_cbranch_execz .LBB0_378
.LBB0_401:
	v_add_u32_e32 v2, s20, v5
	v_mov_b32_e32 v3, 0
	v_lshl_add_u64 v[2:3], v[2:3], 3, v[0:1]
	v_add_u32_e32 v5, 0x100, v5
	s_waitcnt vmcnt(0) lgkmcnt(0)
	flat_store_dwordx2 v[2:3], v[12:13]
	s_or_b64 exec, exec, s[0:1]
	v_cmp_lt_i32_e32 vcc, v5, v4
	s_and_saveexec_b64 s[0:1], vcc
	s_cbranch_execnz .LBB0_379
.LBB0_402:
	s_or_b64 exec, exec, s[0:1]
	v_cmp_lt_i32_e32 vcc, v5, v4
	s_and_saveexec_b64 s[0:1], vcc
	s_cbranch_execz .LBB0_380
.LBB0_403:
	v_add_u32_e32 v2, s20, v5
	v_mov_b32_e32 v3, 0
	v_lshl_add_u64 v[2:3], v[2:3], 3, v[0:1]
	v_add_u32_e32 v5, 0x100, v5
	s_waitcnt vmcnt(0) lgkmcnt(0)
	flat_store_dwordx2 v[2:3], v[20:21]
	s_or_b64 exec, exec, s[0:1]
	v_cmp_lt_i32_e32 vcc, v5, v4
	s_and_saveexec_b64 s[0:1], vcc
	s_cbranch_execnz .LBB0_381
.LBB0_404:
	s_or_b64 exec, exec, s[0:1]
	v_cmp_lt_i32_e32 vcc, v5, v4
	s_and_saveexec_b64 s[0:1], vcc
	s_cbranch_execz .LBB0_382
.LBB0_405:
	v_add_u32_e32 v2, s20, v5
	v_mov_b32_e32 v3, 0
	v_lshl_add_u64 v[2:3], v[2:3], 3, v[0:1]
	v_add_u32_e32 v5, 0x100, v5
	s_waitcnt vmcnt(0) lgkmcnt(0)
	flat_store_dwordx2 v[2:3], v[28:29]
	s_or_b64 exec, exec, s[0:1]
	v_cmp_lt_i32_e32 vcc, v5, v4
	s_and_saveexec_b64 s[0:1], vcc
	s_cbranch_execnz .LBB0_383
.LBB0_406:
	s_or_b64 exec, exec, s[0:1]
	v_cmp_lt_i32_e32 vcc, v5, v4
	s_and_saveexec_b64 s[0:1], vcc
	s_cbranch_execz .LBB0_384
.LBB0_407:
	v_add_u32_e32 v2, s20, v5
	v_mov_b32_e32 v3, 0
	v_lshl_add_u64 v[2:3], v[2:3], 3, v[0:1]
	v_add_u32_e32 v5, 0x100, v5
	s_waitcnt vmcnt(0) lgkmcnt(0)
	flat_store_dwordx2 v[2:3], v[36:37]
	s_or_b64 exec, exec, s[0:1]
	v_cmp_lt_i32_e32 vcc, v5, v4
	s_and_saveexec_b64 s[0:1], vcc
	s_cbranch_execnz .LBB0_385
.LBB0_408:
	s_or_b64 exec, exec, s[0:1]
	v_cmp_lt_i32_e32 vcc, v5, v4
	s_and_saveexec_b64 s[0:1], vcc
	s_cbranch_execz .LBB0_386
.LBB0_409:
	v_add_u32_e32 v2, s20, v5
	v_mov_b32_e32 v3, 0
	v_lshl_add_u64 v[2:3], v[2:3], 3, v[0:1]
	v_add_u32_e32 v5, 0x100, v5
	s_waitcnt vmcnt(0) lgkmcnt(0)
	flat_store_dwordx2 v[2:3], v[34:35]
	s_or_b64 exec, exec, s[0:1]
	v_cmp_lt_i32_e32 vcc, v5, v4
	s_and_saveexec_b64 s[0:1], vcc
	s_cbranch_execnz .LBB0_387
.LBB0_410:
	s_or_b64 exec, exec, s[0:1]
	v_cmp_lt_i32_e32 vcc, v5, v4
	s_and_saveexec_b64 s[0:1], vcc
	s_cbranch_execz .LBB0_388
.LBB0_411:
	v_add_u32_e32 v2, s20, v5
	v_mov_b32_e32 v3, 0
	v_lshl_add_u64 v[2:3], v[2:3], 3, v[0:1]
	v_add_u32_e32 v5, 0x100, v5
	s_waitcnt vmcnt(0) lgkmcnt(0)
	flat_store_dwordx2 v[2:3], v[26:27]
	s_or_b64 exec, exec, s[0:1]
	v_cmp_lt_i32_e32 vcc, v5, v4
	s_and_saveexec_b64 s[0:1], vcc
	s_cbranch_execnz .LBB0_389
.LBB0_412:
	s_or_b64 exec, exec, s[0:1]
	v_cmp_lt_i32_e32 vcc, v5, v4
	s_and_saveexec_b64 s[0:1], vcc
	s_cbranch_execz .LBB0_390
.LBB0_413:
	v_add_u32_e32 v2, s20, v5
	v_mov_b32_e32 v3, 0
	v_lshl_add_u64 v[2:3], v[2:3], 3, v[0:1]
	v_add_u32_e32 v5, 0x100, v5
	s_waitcnt vmcnt(0) lgkmcnt(0)
	flat_store_dwordx2 v[2:3], v[18:19]
	s_or_b64 exec, exec, s[0:1]
	v_cmp_lt_i32_e32 vcc, v5, v4
	s_and_saveexec_b64 s[0:1], vcc
	s_cbranch_execnz .LBB0_391
.LBB0_414:
	s_or_b64 exec, exec, s[0:1]
	v_cmp_lt_i32_e32 vcc, v5, v4
	s_and_saveexec_b64 s[0:1], vcc
	s_cbranch_execz .LBB0_416
.LBB0_415:
	v_add_u32_e32 v2, s20, v5
	v_mov_b32_e32 v3, 0
	v_lshl_add_u64 v[0:1], v[2:3], 3, v[0:1]
	s_waitcnt vmcnt(0) lgkmcnt(0)
	flat_store_dwordx2 v[0:1], v[10:11]
.LBB0_416:
	s_or_b64 exec, exec, s[0:1]
	v_readlane_b32 s30, v40, 2
	v_readlane_b32 s31, v40, 3
	;; [unrolled: 1-line block ×4, first 2 shown]
	s_or_saveexec_b64 s[0:1], -1
	scratch_load_dword v40, off, s32        ; 4-byte Folded Reload
	s_mov_b64 exec, s[0:1]
	s_waitcnt vmcnt(0) lgkmcnt(0)
	s_setpc_b64 s[30:31]
.Lfunc_end0:
	.size	_ZN2at6native25elementwise_kernel_helperILb0EZZZNS0_12_GLOBAL__N_121bessel_y0_kernel_cudaERNS_18TensorIteratorBaseEENKUlvE_clEvENKUlvE_clEvEUldE_NS0_6memory8policies11unroll_baseILi256ESt5arrayIPcLm2EE23TrivialOffsetCalculatorILi1EjESF_NS8_15LoadWithoutCastENS8_16StoreWithoutCastELi16ELi1EEEEEvT0_T1_, .Lfunc_end0-_ZN2at6native25elementwise_kernel_helperILb0EZZZNS0_12_GLOBAL__N_121bessel_y0_kernel_cudaERNS_18TensorIteratorBaseEENKUlvE_clEvENKUlvE_clEvEUldE_NS0_6memory8policies11unroll_baseILi256ESt5arrayIPcLm2EE23TrivialOffsetCalculatorILi1EjESF_NS8_15LoadWithoutCastENS8_16StoreWithoutCastELi16ELi1EEEEEvT0_T1_
                                        ; -- End function
	.section	.AMDGPU.csdata,"",@progbits
; Function info:
; codeLenInByte = 86272
; NumSgprs: 42
; NumVgprs: 102
; NumAgprs: 0
; TotalNumVgprs: 102
; ScratchSize: 8
; MemoryBound: 0
	.text
	.p2align	2                               ; -- Begin function _ZN2at6native25elementwise_kernel_helperILb0EZZZNS0_12_GLOBAL__N_121bessel_y0_kernel_cudaERNS_18TensorIteratorBaseEENKUlvE_clEvENKUlvE_clEvEUldE_NS0_6memory8policies10vectorizedILi4ESt5arrayIPcLm2EELi16EEEEEvT0_T1_
	.type	_ZN2at6native25elementwise_kernel_helperILb0EZZZNS0_12_GLOBAL__N_121bessel_y0_kernel_cudaERNS_18TensorIteratorBaseEENKUlvE_clEvENKUlvE_clEvEUldE_NS0_6memory8policies10vectorizedILi4ESt5arrayIPcLm2EELi16EEEEEvT0_T1_,@function
_ZN2at6native25elementwise_kernel_helperILb0EZZZNS0_12_GLOBAL__N_121bessel_y0_kernel_cudaERNS_18TensorIteratorBaseEENKUlvE_clEvENKUlvE_clEvEUldE_NS0_6memory8policies10vectorizedILi4ESt5arrayIPcLm2EELi16EEEEEvT0_T1_: ; @_ZN2at6native25elementwise_kernel_helperILb0EZZZNS0_12_GLOBAL__N_121bessel_y0_kernel_cudaERNS_18TensorIteratorBaseEENKUlvE_clEvENKUlvE_clEvEUldE_NS0_6memory8policies10vectorizedILi4ESt5arrayIPcLm2EELi16EEEEEvT0_T1_
; %bb.0:
	s_waitcnt vmcnt(0) expcnt(0) lgkmcnt(0)
	s_lshl_b32 s2, s12, 12
	s_ashr_i32 s3, s2, 31
	v_and_b32_e32 v4, 0x3ff, v31
	v_lshl_add_u64 v[2:3], s[2:3], 3, v[2:3]
	v_mov_b32_e32 v49, 0
	v_lshlrev_b32_e32 v48, 5, v4
	v_lshl_add_u64 v[2:3], v[2:3], 0, v[48:49]
	s_movk_i32 s0, 0x2000
	v_add_co_u32_e32 v4, vcc, s0, v2
	s_movk_i32 s0, 0x4000
	s_nop 0
	v_addc_co_u32_e32 v5, vcc, 0, v3, vcc
	flat_load_dwordx4 v[14:17], v[2:3]
	flat_load_dwordx4 v[22:25], v[2:3] offset:16
	flat_load_dwordx4 v[36:39], v[4:5]
	flat_load_dwordx4 v[32:35], v[4:5] offset:16
	v_add_co_u32_e32 v4, vcc, s0, v2
	s_mov_b32 s0, 0
	s_nop 0
	v_addc_co_u32_e32 v5, vcc, 0, v3, vcc
	v_add_co_u32_e32 v6, vcc, 0x6000, v2
	flat_load_dwordx4 v[26:29], v[4:5]
	flat_load_dwordx4 v[18:21], v[4:5] offset:16
	v_addc_co_u32_e32 v7, vcc, 0, v3, vcc
	flat_load_dwordx4 v[10:13], v[6:7]
	flat_load_dwordx4 v[2:5], v[6:7] offset:16
	s_mov_b32 s1, 0x40140000
                                        ; implicit-def: $vgpr6_vgpr7
	s_waitcnt vmcnt(0) lgkmcnt(0)
	v_cmp_ge_f64_e32 vcc, s[0:1], v[14:15]
	s_and_saveexec_b64 s[0:1], vcc
	s_xor_b64 s[0:1], exec, s[0:1]
	s_cbranch_execz .LBB1_10
; %bb.1:
	v_mov_b32_e32 v6, 0
	v_cmp_neq_f64_e32 vcc, 0, v[14:15]
	v_mov_b32_e32 v7, 0xfff00000
	s_and_saveexec_b64 s[4:5], vcc
	s_cbranch_execz .LBB1_9
; %bb.2:
	v_mov_b32_e32 v6, 0
	v_cmp_ngt_f64_e32 vcc, 0, v[14:15]
	v_mov_b32_e32 v7, 0x7ff80000
	s_and_saveexec_b64 s[6:7], vcc
	s_cbranch_execz .LBB1_8
; %bb.3:
	s_mov_b32 s8, 0x88e368f1
	v_mul_f64 v[6:7], v[14:15], v[14:15]
	s_mov_b32 s9, 0x3ee4f8b5
	v_mul_f64 v[30:31], v[6:7], 0
	v_cmp_ngt_f64_e32 vcc, s[8:9], v[14:15]
                                        ; implicit-def: $vgpr8_vgpr9
	s_and_saveexec_b64 s[8:9], vcc
	s_xor_b64 s[8:9], exec, s[8:9]
	s_cbranch_execz .LBB1_5
; %bb.4:
	s_mov_b32 s10, 0xad1c8325
	s_mov_b32 s11, 0xc1f1dc53
	v_add_f64 v[8:9], v[30:31], s[10:11]
	v_mov_b32_e32 v50, 0xc772990d
	v_mov_b32_e32 v51, 0x427c7751
	s_mov_b32 s10, 0xa696b78c
	v_fmac_f64_e32 v[50:51], v[6:7], v[8:9]
	v_mov_b32_e32 v8, 0xe0d900f7
	v_mov_b32_e32 v9, 0xc2ec5614
	s_mov_b32 s11, 0x407f3902
	v_fmac_f64_e32 v[8:9], v[6:7], v[50:51]
	v_add_f64 v[50:51], v[30:31], s[10:11]
	v_mov_b32_e32 v52, 0x36a21a67
	v_mov_b32_e32 v53, 0x410536cb
	v_fmac_f64_e32 v[52:53], v[6:7], v[50:51]
	v_mov_b32_e32 v50, 0x2eac0634
	v_mov_b32_e32 v51, 0x41871934
	v_fmac_f64_e32 v[50:51], v[6:7], v[52:53]
	;; [unrolled: 3-line block ×6, first 2 shown]
	v_mov_b32_e32 v52, 0xc7b662cc
	v_mov_b32_e32 v53, 0x43b7be34
	s_mov_b32 s10, 0x80462bbb
	v_fmac_f64_e32 v[52:53], v[6:7], v[50:51]
	v_mov_b32_e32 v50, 0x69ff5fb4
	v_mov_b32_e32 v51, 0x43413ef8
	s_mov_b32 s11, 0xc01721fb
	v_fmac_f64_e32 v[50:51], v[6:7], v[8:9]
	v_add_f64 v[8:9], v[6:7], s[10:11]
	s_mov_b32 s10, 0xa621dd6f
	s_mov_b32 s11, 0xc03e78a4
	v_add_f64 v[54:55], v[6:7], s[10:11]
	v_mul_f64 v[8:9], v[8:9], v[54:55]
	v_mul_f64 v[8:9], v[8:9], v[50:51]
	v_div_scale_f64 v[50:51], s[10:11], v[52:53], v[52:53], v[8:9]
	v_rcp_f64_e32 v[54:55], v[50:51]
	s_nop 0
	v_fma_f64 v[64:65], -v[50:51], v[54:55], 1.0
	v_fmac_f64_e32 v[54:55], v[54:55], v[64:65]
	v_fma_f64 v[64:65], -v[50:51], v[54:55], 1.0
	v_fmac_f64_e32 v[54:55], v[54:55], v[64:65]
	v_div_scale_f64 v[64:65], vcc, v[8:9], v[52:53], v[8:9]
	v_mul_f64 v[66:67], v[64:65], v[54:55]
	v_fma_f64 v[50:51], -v[50:51], v[66:67], v[64:65]
	s_nop 1
	v_div_fmas_f64 v[50:51], v[50:51], v[54:55], v[66:67]
	v_div_fixup_f64 v[8:9], v[50:51], v[52:53], v[8:9]
.LBB1_5:
	s_andn2_saveexec_b64 s[8:9], s[8:9]
; %bb.6:
	s_mov_b32 s10, 0
	s_mov_b32 s11, 0xbfd00000
	v_fma_f64 v[8:9], v[6:7], s[10:11], 1.0
; %bb.7:
	s_or_b64 exec, exec, s[8:9]
	s_mov_b32 s8, 0xe896898f
	s_mov_b32 s9, 0x40ce7437
	v_add_f64 v[50:51], v[30:31], s[8:9]
	v_mov_b32_e32 v52, 0x32e48896
	v_mov_b32_e32 v53, 0xc16bf81f
	v_fmac_f64_e32 v[52:53], v[6:7], v[50:51]
	v_mov_b32_e32 v50, 0xf0284cdd
	v_mov_b32_e32 v51, 0x41f43f78
	v_fmac_f64_e32 v[50:51], v[6:7], v[52:53]
	;; [unrolled: 3-line block ×4, first 2 shown]
	v_mov_b32_e32 v52, 0xd1d8cc02
	v_mov_b32_e32 v53, 0xc328a121
	s_mov_b32 s8, 0x576dfcb6
	v_fmac_f64_e32 v[52:53], v[6:7], v[50:51]
	v_mov_b32_e32 v50, 0x660b4003
	v_mov_b32_e32 v51, 0x4363a94b
	s_mov_b32 s9, 0x40904522
	v_fmac_f64_e32 v[50:51], v[6:7], v[52:53]
	v_add_f64 v[30:31], v[30:31], s[8:9]
	v_mov_b32_e32 v52, 0xa907bc0c
	v_mov_b32_e32 v53, 0x41231b76
	v_fmac_f64_e32 v[52:53], v[6:7], v[30:31]
	v_mov_b32_e32 v30, 0x5164d101
	v_mov_b32_e32 v31, 0x41b00763
	v_fmac_f64_e32 v[30:31], v[6:7], v[52:53]
	;; [unrolled: 3-line block ×7, first 2 shown]
	v_div_scale_f64 v[6:7], s[8:9], v[30:31], v[30:31], v[52:53]
	v_rcp_f64_e32 v[50:51], v[6:7]
	s_mov_b32 s8, 0x55555555
	v_frexp_exp_i32_f64_e32 v49, v[14:15]
	v_frexp_mant_f64_e32 v[14:15], v[14:15]
	v_fma_f64 v[54:55], -v[6:7], v[50:51], 1.0
	v_fmac_f64_e32 v[50:51], v[50:51], v[54:55]
	v_fma_f64 v[54:55], -v[6:7], v[50:51], 1.0
	v_fmac_f64_e32 v[50:51], v[50:51], v[54:55]
	v_div_scale_f64 v[54:55], vcc, v[52:53], v[30:31], v[52:53]
	v_mul_f64 v[64:65], v[54:55], v[50:51]
	v_fma_f64 v[6:7], -v[6:7], v[64:65], v[54:55]
	s_mov_b32 s9, 0x3fe55555
	s_nop 0
	v_div_fmas_f64 v[6:7], v[6:7], v[50:51], v[64:65]
	v_div_fixup_f64 v[6:7], v[6:7], v[30:31], v[52:53]
	v_mov_b32_e32 v30, 0x3ff00000
	v_cmp_gt_f64_e32 vcc, s[8:9], v[14:15]
	s_mov_b32 s8, 0xbf559e2b
	s_mov_b32 s9, 0x3fc3ab76
	v_cndmask_b32_e64 v31, v30, 2.0, vcc
	v_mov_b32_e32 v30, 0
	v_mul_f64 v[14:15], v[14:15], v[30:31]
	v_add_f64 v[30:31], v[14:15], 1.0
	v_rcp_f64_e32 v[50:51], v[30:31]
	v_add_f64 v[54:55], v[30:31], -1.0
	v_add_f64 v[52:53], v[14:15], -1.0
	v_add_f64 v[14:15], v[14:15], -v[54:55]
	v_fma_f64 v[54:55], -v[30:31], v[50:51], 1.0
	v_fmac_f64_e32 v[50:51], v[54:55], v[50:51]
	v_fma_f64 v[54:55], -v[30:31], v[50:51], 1.0
	v_fmac_f64_e32 v[50:51], v[54:55], v[50:51]
	v_mul_f64 v[54:55], v[52:53], v[50:51]
	v_mul_f64 v[64:65], v[30:31], v[54:55]
	v_fma_f64 v[30:31], v[54:55], v[30:31], -v[64:65]
	v_fmac_f64_e32 v[30:31], v[54:55], v[14:15]
	v_add_f64 v[14:15], v[64:65], v[30:31]
	v_add_f64 v[66:67], v[52:53], -v[14:15]
	v_add_f64 v[64:65], v[14:15], -v[64:65]
	;; [unrolled: 1-line block ×5, first 2 shown]
	v_add_f64 v[14:15], v[30:31], v[14:15]
	v_add_f64 v[14:15], v[66:67], v[14:15]
	v_mul_f64 v[14:15], v[50:51], v[14:15]
	v_add_f64 v[30:31], v[54:55], v[14:15]
	v_add_f64 v[50:51], v[30:31], -v[54:55]
	v_add_f64 v[14:15], v[14:15], -v[50:51]
	v_mul_f64 v[50:51], v[30:31], v[30:31]
	v_mov_b32_e32 v52, 0x6b47b09a
	v_mov_b32_e32 v53, 0x3fc38538
	v_fmac_f64_e32 v[52:53], s[8:9], v[50:51]
	v_mov_b32_e32 v54, 0xd7f4df2e
	v_mov_b32_e32 v55, 0x3fc7474d
	v_fmac_f64_e32 v[54:55], v[50:51], v[52:53]
	;; [unrolled: 3-line block ×6, first 2 shown]
	v_ldexp_f64 v[52:53], v[30:31], 1
	v_mul_f64 v[30:31], v[30:31], v[50:51]
	v_mul_f64 v[30:31], v[30:31], v[54:55]
	v_add_f64 v[50:51], v[52:53], v[30:31]
	v_add_f64 v[52:53], v[50:51], -v[52:53]
	v_ldexp_f64 v[14:15], v[14:15], 1
	v_add_f64 v[30:31], v[30:31], -v[52:53]
	v_add_f64 v[14:15], v[14:15], v[30:31]
	v_add_f64 v[30:31], v[50:51], v[14:15]
	v_subbrev_co_u32_e32 v49, vcc, 0, v49, vcc
	v_add_f64 v[50:51], v[30:31], -v[50:51]
	s_mov_b32 s8, 0xfefa39ef
	v_add_f64 v[14:15], v[14:15], -v[50:51]
	v_cvt_f64_i32_e32 v[50:51], v49
	s_mov_b32 s9, 0x3fe62e42
	v_mul_f64 v[52:53], v[50:51], s[8:9]
	v_fma_f64 v[54:55], v[50:51], s[8:9], -v[52:53]
	s_mov_b32 s8, 0x3b39803f
	s_mov_b32 s9, 0x3c7abc9e
	v_fmac_f64_e32 v[54:55], s[8:9], v[50:51]
	v_add_f64 v[50:51], v[52:53], v[54:55]
	v_add_f64 v[52:53], v[50:51], -v[52:53]
	v_add_f64 v[52:53], v[54:55], -v[52:53]
	v_add_f64 v[54:55], v[50:51], v[30:31]
	v_add_f64 v[64:65], v[54:55], -v[50:51]
	v_add_f64 v[66:67], v[54:55], -v[64:65]
	;; [unrolled: 1-line block ×4, first 2 shown]
	v_add_f64 v[30:31], v[30:31], v[50:51]
	v_add_f64 v[50:51], v[52:53], v[14:15]
	v_add_f64 v[64:65], v[50:51], -v[52:53]
	v_add_f64 v[66:67], v[50:51], -v[64:65]
	v_add_f64 v[30:31], v[50:51], v[30:31]
	v_add_f64 v[52:53], v[52:53], -v[66:67]
	v_add_f64 v[14:15], v[14:15], -v[64:65]
	v_add_f64 v[50:51], v[54:55], v[30:31]
	v_add_f64 v[14:15], v[14:15], v[52:53]
	v_add_f64 v[52:53], v[50:51], -v[54:55]
	v_add_f64 v[30:31], v[30:31], -v[52:53]
	v_add_f64 v[14:15], v[14:15], v[30:31]
	s_mov_b32 s8, 0x6dc9c883
	v_add_f64 v[14:15], v[50:51], v[14:15]
	s_mov_b32 s9, 0x3fe45f30
	v_mul_f64 v[14:15], v[14:15], s[8:9]
	v_fmac_f64_e32 v[6:7], v[14:15], v[8:9]
.LBB1_8:
	s_or_b64 exec, exec, s[6:7]
.LBB1_9:
	s_or_b64 exec, exec, s[4:5]
.LBB1_10:
	s_andn2_saveexec_b64 s[4:5], s[0:1]
	s_cbranch_execz .LBB1_20
; %bb.11:
	s_mov_b32 s9, 0xbfe921fb
	s_mov_b32 s8, 0x54442d18
	s_mov_b32 s0, 0
	v_add_f64 v[6:7], v[14:15], s[8:9]
	s_mov_b32 s1, 0x41d00000
	v_cmp_nlt_f64_e64 s[6:7], |v[6:7]|, s[0:1]
	v_trig_preop_f64 v[66:67], |v[6:7]|, 0
	v_trig_preop_f64 v[64:65], |v[6:7]|, 1
	;; [unrolled: 1-line block ×3, first 2 shown]
                                        ; implicit-def: $vgpr49
                                        ; implicit-def: $vgpr8_vgpr9
                                        ; implicit-def: $vgpr30_vgpr31
	s_and_saveexec_b64 s[0:1], s[6:7]
	s_xor_b64 s[10:11], exec, s[0:1]
	s_cbranch_execz .LBB1_13
; %bb.12:
	s_mov_b32 s0, 0
	s_mov_b32 s1, 0x7b000000
	s_movk_i32 s9, 0xff80
	v_and_b32_e32 v30, 0x7fffffff, v7
	v_ldexp_f64 v[8:9], |v[6:7]|, s9
	v_cmp_ge_f64_e64 vcc, |v[6:7]|, s[0:1]
	s_mov_b32 s0, 0
	s_mov_b32 s1, 0x7ff00000
	v_cndmask_b32_e32 v9, v30, v9, vcc
	v_cndmask_b32_e32 v8, v6, v8, vcc
	v_mul_f64 v[50:51], v[66:67], v[8:9]
	v_mul_f64 v[30:31], v[64:65], v[8:9]
	v_fma_f64 v[52:53], v[66:67], v[8:9], -v[50:51]
	v_add_f64 v[68:69], v[30:31], v[52:53]
	v_add_f64 v[70:71], v[50:51], v[68:69]
	v_ldexp_f64 v[80:81], v[70:71], -2
	v_fract_f64_e32 v[82:83], v[80:81]
	v_cmp_neq_f64_e64 vcc, |v[80:81]|, s[0:1]
	v_add_f64 v[50:51], v[70:71], -v[50:51]
	v_add_f64 v[50:51], v[68:69], -v[50:51]
	v_cndmask_b32_e32 v81, 0, v83, vcc
	v_cndmask_b32_e32 v80, 0, v82, vcc
	v_add_f64 v[82:83], v[68:69], -v[30:31]
	v_add_f64 v[52:53], v[52:53], -v[82:83]
	;; [unrolled: 1-line block ×4, first 2 shown]
	v_add_f64 v[52:53], v[52:53], v[82:83]
	v_fma_f64 v[30:31], v[64:65], v[8:9], -v[30:31]
	v_mul_f64 v[82:83], v[54:55], v[8:9]
	v_add_f64 v[86:87], v[82:83], v[30:31]
	v_add_f64 v[96:97], v[86:87], v[52:53]
	v_add_f64 v[70:71], v[96:97], -v[86:87]
	v_add_f64 v[52:53], v[52:53], -v[70:71]
	;; [unrolled: 1-line block ×4, first 2 shown]
	v_add_f64 v[52:53], v[52:53], v[70:71]
	v_add_f64 v[70:71], v[86:87], -v[82:83]
	v_add_f64 v[30:31], v[30:31], -v[70:71]
	;; [unrolled: 1-line block ×4, first 2 shown]
	v_add_f64 v[68:69], v[50:51], v[96:97]
	v_add_f64 v[30:31], v[30:31], v[70:71]
	v_add_f64 v[50:51], v[68:69], -v[50:51]
	v_add_f64 v[30:31], v[30:31], v[52:53]
	v_fma_f64 v[8:9], v[54:55], v[8:9], -v[82:83]
	v_add_f64 v[50:51], v[96:97], -v[50:51]
	v_add_f64 v[8:9], v[8:9], v[30:31]
	v_ldexp_f64 v[30:31], v[80:81], 2
	v_add_f64 v[8:9], v[50:51], v[8:9]
	v_add_f64 v[50:51], v[68:69], v[30:31]
	v_mov_b32_e32 v49, 0x40100000
	v_cmp_gt_f64_e32 vcc, 0, v[50:51]
	v_mov_b32_e32 v84, 0
	s_mov_b32 s9, 0x3ff921fb
	v_cndmask_b32_e32 v85, 0, v49, vcc
	v_add_f64 v[30:31], v[30:31], v[84:85]
	v_add_f64 v[50:51], v[68:69], v[30:31]
	v_cvt_i32_f64_e32 v49, v[50:51]
	v_cvt_f64_i32_e32 v[50:51], v49
	v_add_f64 v[30:31], v[30:31], -v[50:51]
	v_add_f64 v[50:51], v[68:69], v[30:31]
	v_add_f64 v[30:31], v[50:51], -v[30:31]
	v_add_f64 v[30:31], v[68:69], -v[30:31]
	v_add_f64 v[8:9], v[8:9], v[30:31]
	v_cmp_le_f64_e32 vcc, 0.5, v[50:51]
	v_mov_b32_e32 v30, 0x3ff00000
	s_nop 0
	v_cndmask_b32_e32 v85, 0, v30, vcc
	v_add_f64 v[30:31], v[50:51], -v[84:85]
	v_add_f64 v[50:51], v[30:31], v[8:9]
	v_addc_co_u32_e64 v49, s[0:1], 0, v49, vcc
	v_add_f64 v[30:31], v[50:51], -v[30:31]
	v_add_f64 v[8:9], v[8:9], -v[30:31]
	v_mul_f64 v[30:31], v[50:51], s[8:9]
	s_mov_b32 s0, 0x33145c07
	v_fma_f64 v[52:53], v[50:51], s[8:9], -v[30:31]
	s_mov_b32 s1, 0x3c91a626
	v_fmac_f64_e32 v[52:53], s[0:1], v[50:51]
	v_fmac_f64_e32 v[52:53], s[8:9], v[8:9]
	v_add_f64 v[8:9], v[30:31], v[52:53]
	v_add_f64 v[30:31], v[8:9], -v[30:31]
	v_add_f64 v[30:31], v[52:53], -v[30:31]
	s_andn2_saveexec_b64 s[0:1], s[10:11]
	s_cbranch_execz .LBB1_15
	s_branch .LBB1_14
.LBB1_13:
	s_andn2_saveexec_b64 s[0:1], s[10:11]
	s_cbranch_execz .LBB1_15
.LBB1_14:
	s_mov_b32 s8, 0x6dc9c883
	s_mov_b32 s9, 0x3fe45f30
	v_mul_f64 v[8:9], |v[6:7]|, s[8:9]
	s_mov_b32 s8, 0x54442d18
	v_rndne_f64_e32 v[50:51], v[8:9]
	s_mov_b32 s9, 0xbff921fb
	v_fma_f64 v[8:9], v[50:51], s[8:9], |v[6:7]|
	s_mov_b32 s9, 0xbc91a626
	s_mov_b32 s8, 0x33145c00
	v_mul_f64 v[52:53], v[50:51], s[8:9]
	v_add_f64 v[70:71], v[8:9], v[52:53]
	v_fma_f64 v[30:31], s[8:9], v[50:51], v[8:9]
	s_mov_b32 s9, 0x3c91a626
	v_add_f64 v[8:9], v[8:9], -v[70:71]
	v_fma_f64 v[68:69], s[8:9], v[50:51], v[52:53]
	v_add_f64 v[8:9], v[8:9], v[52:53]
	v_add_f64 v[52:53], v[70:71], -v[30:31]
	v_add_f64 v[8:9], v[52:53], v[8:9]
	s_mov_b32 s8, 0x252049c0
	v_add_f64 v[52:53], v[8:9], -v[68:69]
	s_mov_b32 s9, 0xb97b839a
	v_fmac_f64_e32 v[52:53], s[8:9], v[50:51]
	v_add_f64 v[8:9], v[30:31], v[52:53]
	v_add_f64 v[30:31], v[8:9], -v[30:31]
	v_add_f64 v[30:31], v[52:53], -v[30:31]
	v_cvt_i32_f64_e32 v49, v[50:51]
.LBB1_15:
	s_or_b64 exec, exec, s[0:1]
                                        ; implicit-def: $vgpr68
                                        ; implicit-def: $vgpr50_vgpr51
                                        ; implicit-def: $vgpr52_vgpr53
	s_and_saveexec_b64 s[0:1], s[6:7]
	s_xor_b64 s[6:7], exec, s[0:1]
	s_cbranch_execz .LBB1_17
; %bb.16:
	s_mov_b32 s0, 0
	s_mov_b32 s1, 0x7b000000
	s_movk_i32 s8, 0xff80
	v_and_b32_e32 v52, 0x7fffffff, v7
	v_ldexp_f64 v[50:51], |v[6:7]|, s8
	v_cmp_ge_f64_e64 vcc, |v[6:7]|, s[0:1]
	s_mov_b32 s0, 0
	s_mov_b32 s1, 0x7ff00000
	v_cndmask_b32_e32 v51, v52, v51, vcc
	v_cndmask_b32_e32 v50, v6, v50, vcc
	v_mul_f64 v[68:69], v[66:67], v[50:51]
	v_mul_f64 v[52:53], v[64:65], v[50:51]
	v_fma_f64 v[66:67], v[66:67], v[50:51], -v[68:69]
	v_add_f64 v[70:71], v[52:53], v[66:67]
	v_add_f64 v[80:81], v[68:69], v[70:71]
	v_ldexp_f64 v[82:83], v[80:81], -2
	v_fract_f64_e32 v[84:85], v[82:83]
	v_cmp_neq_f64_e64 vcc, |v[82:83]|, s[0:1]
	v_add_f64 v[68:69], v[80:81], -v[68:69]
	v_add_f64 v[68:69], v[70:71], -v[68:69]
	v_cndmask_b32_e32 v83, 0, v85, vcc
	v_cndmask_b32_e32 v82, 0, v84, vcc
	v_add_f64 v[84:85], v[70:71], -v[52:53]
	v_add_f64 v[66:67], v[66:67], -v[84:85]
	;; [unrolled: 1-line block ×4, first 2 shown]
	v_fma_f64 v[52:53], v[64:65], v[50:51], -v[52:53]
	v_mul_f64 v[64:65], v[54:55], v[50:51]
	v_add_f64 v[66:67], v[66:67], v[84:85]
	v_add_f64 v[84:85], v[64:65], v[52:53]
	;; [unrolled: 1-line block ×3, first 2 shown]
	v_add_f64 v[80:81], v[96:97], -v[84:85]
	v_add_f64 v[66:67], v[66:67], -v[80:81]
	;; [unrolled: 1-line block ×4, first 2 shown]
	v_add_f64 v[66:67], v[66:67], v[80:81]
	v_add_f64 v[80:81], v[84:85], -v[64:65]
	v_add_f64 v[52:53], v[52:53], -v[80:81]
	;; [unrolled: 1-line block ×4, first 2 shown]
	v_add_f64 v[52:53], v[52:53], v[80:81]
	v_add_f64 v[52:53], v[52:53], v[66:67]
	v_fma_f64 v[50:51], v[54:55], v[50:51], -v[64:65]
	v_add_f64 v[70:71], v[68:69], v[96:97]
	v_add_f64 v[50:51], v[50:51], v[52:53]
	v_ldexp_f64 v[52:53], v[82:83], 2
	v_add_f64 v[54:55], v[70:71], v[52:53]
	v_mov_b32_e32 v64, 0x40100000
	v_cmp_gt_f64_e32 vcc, 0, v[54:55]
	v_mov_b32_e32 v86, 0
	v_add_f64 v[68:69], v[70:71], -v[68:69]
	v_cndmask_b32_e32 v87, 0, v64, vcc
	v_add_f64 v[52:53], v[52:53], v[86:87]
	v_add_f64 v[54:55], v[70:71], v[52:53]
	v_cvt_i32_f64_e32 v64, v[54:55]
	v_cvt_f64_i32_e32 v[54:55], v64
	v_add_f64 v[52:53], v[52:53], -v[54:55]
	v_add_f64 v[54:55], v[70:71], v[52:53]
	v_add_f64 v[68:69], v[96:97], -v[68:69]
	v_add_f64 v[52:53], v[54:55], -v[52:53]
	v_add_f64 v[50:51], v[68:69], v[50:51]
	v_add_f64 v[52:53], v[70:71], -v[52:53]
	v_add_f64 v[50:51], v[50:51], v[52:53]
	v_cmp_le_f64_e32 vcc, 0.5, v[54:55]
	v_mov_b32_e32 v52, 0x3ff00000
	s_mov_b32 s8, 0x33145c07
	v_cndmask_b32_e32 v87, 0, v52, vcc
	v_addc_co_u32_e64 v68, s[0:1], 0, v64, vcc
	v_add_f64 v[52:53], v[54:55], -v[86:87]
	v_add_f64 v[54:55], v[52:53], v[50:51]
	s_mov_b32 s0, 0x54442d18
	v_add_f64 v[52:53], v[54:55], -v[52:53]
	s_mov_b32 s1, 0x3ff921fb
	v_add_f64 v[50:51], v[50:51], -v[52:53]
	v_mul_f64 v[52:53], v[54:55], s[0:1]
	v_fma_f64 v[64:65], v[54:55], s[0:1], -v[52:53]
	s_mov_b32 s9, 0x3c91a626
	v_fmac_f64_e32 v[64:65], s[8:9], v[54:55]
	v_fmac_f64_e32 v[64:65], s[0:1], v[50:51]
	v_add_f64 v[50:51], v[52:53], v[64:65]
	v_add_f64 v[52:53], v[50:51], -v[52:53]
	v_add_f64 v[52:53], v[64:65], -v[52:53]
	s_andn2_saveexec_b64 s[0:1], s[6:7]
	s_cbranch_execnz .LBB1_18
	s_branch .LBB1_19
.LBB1_17:
	s_andn2_saveexec_b64 s[0:1], s[6:7]
	s_cbranch_execz .LBB1_19
.LBB1_18:
	s_mov_b32 s6, 0x6dc9c883
	s_mov_b32 s7, 0x3fe45f30
	v_mul_f64 v[50:51], |v[6:7]|, s[6:7]
	s_mov_b32 s6, 0x54442d18
	v_rndne_f64_e32 v[54:55], v[50:51]
	s_mov_b32 s7, 0xbff921fb
	v_fma_f64 v[50:51], v[54:55], s[6:7], |v[6:7]|
	s_mov_b32 s7, 0xbc91a626
	s_mov_b32 s6, 0x33145c00
	v_mul_f64 v[64:65], v[54:55], s[6:7]
	v_add_f64 v[68:69], v[50:51], v[64:65]
	v_fma_f64 v[52:53], s[6:7], v[54:55], v[50:51]
	s_mov_b32 s7, 0x3c91a626
	v_add_f64 v[50:51], v[50:51], -v[68:69]
	v_fma_f64 v[66:67], s[6:7], v[54:55], v[64:65]
	v_add_f64 v[50:51], v[50:51], v[64:65]
	v_add_f64 v[64:65], v[68:69], -v[52:53]
	v_add_f64 v[50:51], v[64:65], v[50:51]
	s_mov_b32 s6, 0x252049c0
	v_add_f64 v[64:65], v[50:51], -v[66:67]
	s_mov_b32 s7, 0xb97b839a
	v_fmac_f64_e32 v[64:65], s[6:7], v[54:55]
	v_add_f64 v[50:51], v[52:53], v[64:65]
	v_add_f64 v[52:53], v[50:51], -v[52:53]
	v_add_f64 v[52:53], v[64:65], -v[52:53]
	v_cvt_i32_f64_e32 v68, v[54:55]
.LBB1_19:
	s_or_b64 exec, exec, s[0:1]
	s_mov_b32 s0, 0
	v_mul_f64 v[54:55], v[14:15], v[14:15]
	s_mov_b32 s1, 0x40390000
	v_div_scale_f64 v[64:65], s[6:7], v[54:55], v[54:55], s[0:1]
	v_rcp_f64_e32 v[66:67], v[64:65]
	v_mov_b32_e32 v82, 0xb1759c7f
	v_mov_b32_e32 v83, 0x408ac370
	;; [unrolled: 1-line block ×3, first 2 shown]
	v_fma_f64 v[70:71], -v[64:65], v[66:67], 1.0
	v_fmac_f64_e32 v[66:67], v[66:67], v[70:71]
	v_fma_f64 v[70:71], -v[64:65], v[66:67], 1.0
	v_fmac_f64_e32 v[66:67], v[66:67], v[70:71]
	v_div_scale_f64 v[70:71], vcc, s[0:1], v[54:55], s[0:1]
	v_mul_f64 v[80:81], v[70:71], v[66:67]
	v_fma_f64 v[64:65], -v[64:65], v[80:81], v[70:71]
	v_mov_b32_e32 v70, 0xab5454e3
	s_nop 0
	v_div_fmas_f64 v[64:65], v[64:65], v[66:67], v[80:81]
	v_div_fixup_f64 v[54:55], v[64:65], v[54:55], s[0:1]
	v_mov_b32_e32 v64, 0x983b6b27
	v_mov_b32_e32 v65, 0x3f4a1d30
	v_fmac_f64_e32 v[64:65], 0, v[54:55]
	v_mov_b32_e32 v66, 0xb35dd1cf
	v_mov_b32_e32 v67, 0x3fb534b0
	v_fmac_f64_e32 v[66:67], v[54:55], v[64:65]
	;; [unrolled: 3-line block ×7, first 2 shown]
	v_mov_b32_e32 v71, 0x3fb5ebc5
	v_fmac_f64_e32 v[70:71], v[54:55], v[64:65]
	v_mov_b32_e32 v64, 0xc9b3069f
	v_mov_b32_e32 v65, 0x3ff40e72
	v_fmac_f64_e32 v[64:65], v[54:55], v[70:71]
	v_mov_b32_e32 v70, 0xe68162bb
	v_mov_b32_e32 v71, 0x4015e247
	v_fmac_f64_e32 v[70:71], v[54:55], v[64:65]
	v_mov_b32_e32 v64, 0xea1b21a1
	v_mov_b32_e32 v65, 0x40218618
	v_fmac_f64_e32 v[64:65], v[54:55], v[70:71]
	v_mov_b32_e32 v70, 0xed423a19
	v_mov_b32_e32 v71, 0x40153965
	v_fmac_f64_e32 v[70:71], v[54:55], v[64:65]
	v_fma_f64 v[64:65], v[54:55], v[70:71], 1.0
	v_mov_b32_e32 v70, 0x38a5384a
	v_mov_b32_e32 v71, 0xbf874742
	v_fmac_f64_e32 v[70:71], 0, v[54:55]
	v_mov_b32_e32 v80, 0x3a321174
	v_mov_b32_e32 v81, 0xbff4853b
	v_fmac_f64_e32 v[80:81], v[54:55], v[70:71]
	;; [unrolled: 3-line block ×9, first 2 shown]
	v_fmac_f64_e32 v[82:83], v[54:55], v[70:71]
	v_mov_b32_e32 v70, 0xbd748cb5
	v_mov_b32_e32 v71, 0x40ae54cd
	v_fmac_f64_e32 v[70:71], v[54:55], v[82:83]
	v_mov_b32_e32 v82, 0xbdefd63e
	v_mov_b32_e32 v83, 0x40bc4877
	v_fmac_f64_e32 v[82:83], v[54:55], v[70:71]
	v_mov_b32_e32 v70, 0x1d733b11
	v_mov_b32_e32 v71, 0x40b72aba
	v_fmac_f64_e32 v[70:71], v[54:55], v[82:83]
	v_mov_b32_e32 v82, 0xc7319e82
	v_mov_b32_e32 v83, 0x40a01c2f
	v_fma_f64 v[66:67], v[54:55], v[66:67], 1.0
	v_fmac_f64_e32 v[82:83], v[54:55], v[70:71]
	v_div_scale_f64 v[70:71], s[0:1], v[64:65], v[64:65], v[66:67]
	v_rcp_f64_e32 v[84:85], v[70:71]
	v_mov_b32_e32 v87, 0x406e402f
	v_fmac_f64_e32 v[86:87], v[54:55], v[82:83]
	s_mov_b32 s0, 0x9037ab78
	v_fma_f64 v[54:55], -v[70:71], v[84:85], 1.0
	v_fmac_f64_e32 v[84:85], v[84:85], v[54:55]
	v_fma_f64 v[54:55], -v[70:71], v[84:85], 1.0
	v_fmac_f64_e32 v[84:85], v[84:85], v[54:55]
	v_div_scale_f64 v[54:55], vcc, v[66:67], v[64:65], v[66:67]
	v_mul_f64 v[82:83], v[54:55], v[84:85]
	v_fma_f64 v[54:55], -v[70:71], v[82:83], v[54:55]
	s_mov_b32 s1, 0x3e21eeb6
	s_nop 0
	v_div_fmas_f64 v[54:55], v[54:55], v[84:85], v[82:83]
	s_mov_b32 s6, 0x46cc5e42
	v_div_fixup_f64 v[54:55], v[54:55], v[64:65], v[66:67]
	v_mul_f64 v[64:65], v[8:9], v[8:9]
	s_mov_b32 s7, 0xbda907db
	v_mov_b64_e32 v[84:85], s[0:1]
	s_mov_b32 s8, 0xa17f65f6
	v_mul_f64 v[66:67], v[64:65], 0.5
	v_fma_f64 v[96:97], s[6:7], v[64:65], v[84:85]
	s_mov_b32 s9, 0xbe927e4f
	s_mov_b32 s10, 0x19f4ec90
	v_add_f64 v[70:71], -v[66:67], 1.0
	v_fma_f64 v[96:97], v[64:65], v[96:97], s[8:9]
	s_mov_b32 s11, 0x3efa01a0
	s_mov_b32 s12, 0x16c16967
	v_add_f64 v[82:83], -v[70:71], 1.0
	v_fma_f64 v[96:97], v[64:65], v[96:97], s[10:11]
	s_mov_b32 s13, 0xbf56c16c
	s_mov_b32 s14, 0x55555555
	v_add_f64 v[66:67], v[82:83], -v[66:67]
	v_fma_f64 v[96:97], v[64:65], v[96:97], s[12:13]
	s_mov_b32 s15, 0x3fa55555
	v_mul_f64 v[82:83], v[64:65], v[64:65]
	v_fma_f64 v[96:97], v[64:65], v[96:97], s[14:15]
	v_fma_f64 v[66:67], v[8:9], -v[30:31], v[66:67]
	s_mov_b32 s0, 0xb42fdfa7
	v_fmac_f64_e32 v[66:67], v[82:83], v[96:97]
	s_mov_b32 s1, 0xbe5ae600
	s_mov_b32 s16, 0xf9a43bb8
	v_add_f64 v[66:67], v[70:71], v[66:67]
	s_mov_b32 s17, 0x3de5e0b2
	v_mov_b64_e32 v[70:71], s[0:1]
	s_mov_b32 s18, 0x796cde01
	v_fma_f64 v[82:83], s[16:17], v[64:65], v[70:71]
	s_mov_b32 s19, 0x3ec71de3
	s_mov_b32 s20, 0x19e83e5c
	v_fma_f64 v[82:83], v[64:65], v[82:83], s[18:19]
	s_mov_b32 s21, 0xbf2a01a0
	;; [unrolled: 3-line block ×3, first 2 shown]
	v_fma_f64 v[82:83], v[64:65], v[82:83], s[22:23]
	v_mul_f64 v[96:97], v[8:9], -v[64:65]
	v_mul_f64 v[98:99], v[30:31], 0.5
	v_fmac_f64_e32 v[98:99], v[96:97], v[82:83]
	v_fma_f64 v[30:31], v[64:65], v[98:99], -v[30:31]
	s_mov_b32 s25, 0xbfc55555
	s_mov_b32 s24, s14
	v_fmac_f64_e32 v[30:31], s[24:25], v[96:97]
	v_add_f64 v[8:9], v[8:9], -v[30:31]
	v_and_b32_e32 v30, 1, v49
	v_cmp_eq_u32_e32 vcc, 0, v30
	s_mov_b32 s26, 0
	s_mov_b32 s27, 0x40140000
	v_cndmask_b32_e32 v64, v66, v8, vcc
	v_cndmask_b32_e32 v8, v67, v9, vcc
	v_lshlrev_b32_e32 v9, 30, v49
	v_xor_b32_e32 v9, v9, v7
	v_and_b32_e32 v9, 0x80000000, v9
	v_xor_b32_e32 v49, v8, v9
	v_div_scale_f64 v[8:9], s[0:1], v[14:15], v[14:15], s[26:27]
	v_rcp_f64_e32 v[30:31], v[8:9]
	s_movk_i32 s28, 0x1f8
	v_cmp_class_f64_e64 s[0:1], v[6:7], s28
	v_mov_b32_e32 v69, 0x7ff80000
	s_nop 0
	v_cndmask_b32_e64 v6, 0, v64, s[0:1]
	v_fma_f64 v[64:65], -v[8:9], v[30:31], 1.0
	v_fmac_f64_e32 v[30:31], v[30:31], v[64:65]
	v_fma_f64 v[64:65], -v[8:9], v[30:31], 1.0
	v_fmac_f64_e32 v[30:31], v[30:31], v[64:65]
	v_div_scale_f64 v[64:65], vcc, s[26:27], v[14:15], s[26:27]
	v_mul_f64 v[66:67], v[64:65], v[30:31]
	v_fma_f64 v[8:9], -v[8:9], v[66:67], v[64:65]
	v_div_scale_f64 v[64:65], s[28:29], v[86:87], v[86:87], v[80:81]
	v_rcp_f64_e32 v[82:83], v[64:65]
	v_div_fmas_f64 v[8:9], v[8:9], v[30:31], v[66:67]
	v_div_fixup_f64 v[8:9], v[8:9], v[14:15], s[26:27]
	v_cndmask_b32_e64 v7, v69, v49, s[0:1]
	v_fma_f64 v[30:31], -v[64:65], v[82:83], 1.0
	v_fmac_f64_e32 v[82:83], v[82:83], v[30:31]
	v_fma_f64 v[30:31], -v[64:65], v[82:83], 1.0
	v_fmac_f64_e32 v[82:83], v[82:83], v[30:31]
	v_div_scale_f64 v[30:31], vcc, v[80:81], v[86:87], v[80:81]
	v_mul_f64 v[66:67], v[30:31], v[82:83]
	v_fma_f64 v[30:31], -v[64:65], v[66:67], v[30:31]
	v_and_b32_e32 v49, 1, v68
	s_nop 0
	v_div_fmas_f64 v[30:31], v[30:31], v[82:83], v[66:67]
	v_div_fixup_f64 v[30:31], v[30:31], v[86:87], v[80:81]
	v_mul_f64 v[8:9], v[8:9], v[30:31]
	v_mul_f64 v[30:31], v[50:51], v[50:51]
	v_mul_f64 v[64:65], v[30:31], 0.5
	v_fmac_f64_e32 v[84:85], s[6:7], v[30:31]
	v_add_f64 v[66:67], -v[64:65], 1.0
	v_fma_f64 v[82:83], v[30:31], v[84:85], s[8:9]
	v_add_f64 v[80:81], -v[66:67], 1.0
	v_fma_f64 v[82:83], v[30:31], v[82:83], s[10:11]
	v_add_f64 v[64:65], v[80:81], -v[64:65]
	v_fma_f64 v[82:83], v[30:31], v[82:83], s[12:13]
	v_mul_f64 v[80:81], v[30:31], v[30:31]
	v_fma_f64 v[82:83], v[30:31], v[82:83], s[14:15]
	v_fma_f64 v[64:65], v[50:51], -v[52:53], v[64:65]
	v_fmac_f64_e32 v[64:65], v[80:81], v[82:83]
	v_fmac_f64_e32 v[70:71], s[16:17], v[30:31]
	v_add_f64 v[64:65], v[66:67], v[64:65]
	v_fma_f64 v[66:67], v[30:31], v[70:71], s[18:19]
	v_fma_f64 v[66:67], v[30:31], v[66:67], s[20:21]
	;; [unrolled: 1-line block ×3, first 2 shown]
	v_mul_f64 v[70:71], v[50:51], -v[30:31]
	v_mul_f64 v[80:81], v[52:53], 0.5
	v_fmac_f64_e32 v[80:81], v[70:71], v[66:67]
	v_fma_f64 v[30:31], v[30:31], v[80:81], -v[52:53]
	v_fmac_f64_e32 v[30:31], s[24:25], v[70:71]
	v_add_f64 v[30:31], v[50:51], -v[30:31]
	v_xor_b32_e32 v31, 0x80000000, v31
	v_cmp_eq_u32_e32 vcc, 0, v49
	v_lshlrev_b32_e32 v49, 30, v68
	v_and_b32_e32 v49, 0x80000000, v49
	v_cndmask_b32_e32 v31, v31, v65, vcc
	v_cndmask_b32_e32 v30, v30, v64, vcc
	v_xor_b32_e32 v31, v31, v49
	v_cndmask_b32_e64 v30, 0, v30, s[0:1]
	v_cndmask_b32_e64 v31, v69, v31, s[0:1]
	s_mov_b32 s0, 0
	s_brev_b32 s1, 8
	v_mul_f64 v[8:9], v[8:9], v[30:31]
	v_cmp_gt_f64_e32 vcc, s[0:1], v[14:15]
	v_fmac_f64_e32 v[8:9], v[54:55], v[6:7]
	s_mov_b32 s0, 0x33d43651
	v_cndmask_b32_e64 v6, 0, 1, vcc
	v_lshlrev_b32_e32 v6, 8, v6
	v_ldexp_f64 v[6:7], v[14:15], v6
	v_rsq_f64_e32 v[14:15], v[6:7]
	s_mov_b32 s1, 0x3fe98845
	v_mul_f64 v[8:9], v[8:9], s[0:1]
	v_mul_f64 v[30:31], v[6:7], v[14:15]
	v_mul_f64 v[14:15], v[14:15], 0.5
	v_fma_f64 v[50:51], -v[14:15], v[30:31], 0.5
	v_fmac_f64_e32 v[30:31], v[30:31], v[50:51]
	v_fma_f64 v[52:53], -v[30:31], v[30:31], v[6:7]
	v_fmac_f64_e32 v[14:15], v[14:15], v[50:51]
	v_fmac_f64_e32 v[30:31], v[52:53], v[14:15]
	v_fma_f64 v[50:51], -v[30:31], v[30:31], v[6:7]
	v_fmac_f64_e32 v[30:31], v[50:51], v[14:15]
	v_mov_b32_e32 v14, 0xffffff80
	v_cndmask_b32_e32 v14, 0, v14, vcc
	v_ldexp_f64 v[14:15], v[30:31], v14
	v_mov_b32_e32 v30, 0x260
	v_cmp_class_f64_e32 vcc, v[6:7], v30
	s_nop 1
	v_cndmask_b32_e32 v7, v15, v7, vcc
	v_cndmask_b32_e32 v6, v14, v6, vcc
	v_div_scale_f64 v[14:15], s[0:1], v[6:7], v[6:7], v[8:9]
	v_rcp_f64_e32 v[30:31], v[14:15]
	s_nop 0
	v_fma_f64 v[50:51], -v[14:15], v[30:31], 1.0
	v_fmac_f64_e32 v[30:31], v[30:31], v[50:51]
	v_fma_f64 v[50:51], -v[14:15], v[30:31], 1.0
	v_fmac_f64_e32 v[30:31], v[30:31], v[50:51]
	v_div_scale_f64 v[50:51], vcc, v[8:9], v[6:7], v[8:9]
	v_mul_f64 v[52:53], v[50:51], v[30:31]
	v_fma_f64 v[14:15], -v[14:15], v[52:53], v[50:51]
	s_nop 1
	v_div_fmas_f64 v[14:15], v[14:15], v[30:31], v[52:53]
	v_div_fixup_f64 v[6:7], v[14:15], v[6:7], v[8:9]
.LBB1_20:
	s_or_b64 exec, exec, s[4:5]
	s_mov_b32 s0, 0
	s_mov_b32 s1, 0x40140000
	v_cmp_ge_f64_e32 vcc, s[0:1], v[16:17]
	s_and_saveexec_b64 s[0:1], vcc
	s_xor_b64 s[0:1], exec, s[0:1]
	s_cbranch_execz .LBB1_30
; %bb.21:
	v_mov_b32_e32 v8, 0
	v_cmp_neq_f64_e32 vcc, 0, v[16:17]
	v_mov_b32_e32 v9, 0xfff00000
	s_and_saveexec_b64 s[4:5], vcc
	s_cbranch_execz .LBB1_29
; %bb.22:
	v_mov_b32_e32 v8, 0
	v_cmp_ngt_f64_e32 vcc, 0, v[16:17]
	v_mov_b32_e32 v9, 0x7ff80000
	s_and_saveexec_b64 s[6:7], vcc
	s_cbranch_execz .LBB1_28
; %bb.23:
	s_mov_b32 s8, 0x88e368f1
	v_mul_f64 v[8:9], v[16:17], v[16:17]
	s_mov_b32 s9, 0x3ee4f8b5
	v_mul_f64 v[30:31], v[8:9], 0
	v_cmp_ngt_f64_e32 vcc, s[8:9], v[16:17]
                                        ; implicit-def: $vgpr14_vgpr15
	s_and_saveexec_b64 s[8:9], vcc
	s_xor_b64 s[8:9], exec, s[8:9]
	s_cbranch_execz .LBB1_25
; %bb.24:
	s_mov_b32 s10, 0xad1c8325
	s_mov_b32 s11, 0xc1f1dc53
	v_add_f64 v[14:15], v[30:31], s[10:11]
	v_mov_b32_e32 v50, 0xc772990d
	v_mov_b32_e32 v51, 0x427c7751
	s_mov_b32 s10, 0xa696b78c
	v_fmac_f64_e32 v[50:51], v[8:9], v[14:15]
	v_mov_b32_e32 v14, 0xe0d900f7
	v_mov_b32_e32 v15, 0xc2ec5614
	s_mov_b32 s11, 0x407f3902
	v_fmac_f64_e32 v[14:15], v[8:9], v[50:51]
	v_add_f64 v[50:51], v[30:31], s[10:11]
	v_mov_b32_e32 v52, 0x36a21a67
	v_mov_b32_e32 v53, 0x410536cb
	v_fmac_f64_e32 v[52:53], v[8:9], v[50:51]
	v_mov_b32_e32 v50, 0x2eac0634
	v_mov_b32_e32 v51, 0x41871934
	v_fmac_f64_e32 v[50:51], v[8:9], v[52:53]
	;; [unrolled: 3-line block ×6, first 2 shown]
	v_mov_b32_e32 v52, 0xc7b662cc
	v_mov_b32_e32 v53, 0x43b7be34
	s_mov_b32 s10, 0x80462bbb
	v_fmac_f64_e32 v[52:53], v[8:9], v[50:51]
	v_mov_b32_e32 v50, 0x69ff5fb4
	v_mov_b32_e32 v51, 0x43413ef8
	s_mov_b32 s11, 0xc01721fb
	v_fmac_f64_e32 v[50:51], v[8:9], v[14:15]
	v_add_f64 v[14:15], v[8:9], s[10:11]
	s_mov_b32 s10, 0xa621dd6f
	s_mov_b32 s11, 0xc03e78a4
	v_add_f64 v[54:55], v[8:9], s[10:11]
	v_mul_f64 v[14:15], v[14:15], v[54:55]
	v_mul_f64 v[14:15], v[14:15], v[50:51]
	v_div_scale_f64 v[50:51], s[10:11], v[52:53], v[52:53], v[14:15]
	v_rcp_f64_e32 v[54:55], v[50:51]
	s_nop 0
	v_fma_f64 v[64:65], -v[50:51], v[54:55], 1.0
	v_fmac_f64_e32 v[54:55], v[54:55], v[64:65]
	v_fma_f64 v[64:65], -v[50:51], v[54:55], 1.0
	v_fmac_f64_e32 v[54:55], v[54:55], v[64:65]
	v_div_scale_f64 v[64:65], vcc, v[14:15], v[52:53], v[14:15]
	v_mul_f64 v[66:67], v[64:65], v[54:55]
	v_fma_f64 v[50:51], -v[50:51], v[66:67], v[64:65]
	s_nop 1
	v_div_fmas_f64 v[50:51], v[50:51], v[54:55], v[66:67]
	v_div_fixup_f64 v[14:15], v[50:51], v[52:53], v[14:15]
.LBB1_25:
	s_andn2_saveexec_b64 s[8:9], s[8:9]
; %bb.26:
	s_mov_b32 s10, 0
	s_mov_b32 s11, 0xbfd00000
	v_fma_f64 v[14:15], v[8:9], s[10:11], 1.0
; %bb.27:
	s_or_b64 exec, exec, s[8:9]
	s_mov_b32 s8, 0xe896898f
	s_mov_b32 s9, 0x40ce7437
	v_add_f64 v[50:51], v[30:31], s[8:9]
	v_mov_b32_e32 v52, 0x32e48896
	v_mov_b32_e32 v53, 0xc16bf81f
	v_fmac_f64_e32 v[52:53], v[8:9], v[50:51]
	v_mov_b32_e32 v50, 0xf0284cdd
	v_mov_b32_e32 v51, 0x41f43f78
	v_fmac_f64_e32 v[50:51], v[8:9], v[52:53]
	;; [unrolled: 3-line block ×4, first 2 shown]
	v_mov_b32_e32 v52, 0xd1d8cc02
	v_mov_b32_e32 v53, 0xc328a121
	s_mov_b32 s8, 0x576dfcb6
	v_fmac_f64_e32 v[52:53], v[8:9], v[50:51]
	v_mov_b32_e32 v50, 0x660b4003
	v_mov_b32_e32 v51, 0x4363a94b
	s_mov_b32 s9, 0x40904522
	v_fmac_f64_e32 v[50:51], v[8:9], v[52:53]
	v_add_f64 v[30:31], v[30:31], s[8:9]
	v_mov_b32_e32 v52, 0xa907bc0c
	v_mov_b32_e32 v53, 0x41231b76
	v_fmac_f64_e32 v[52:53], v[8:9], v[30:31]
	v_mov_b32_e32 v30, 0x5164d101
	v_mov_b32_e32 v31, 0x41b00763
	v_fmac_f64_e32 v[30:31], v[8:9], v[52:53]
	;; [unrolled: 3-line block ×7, first 2 shown]
	v_div_scale_f64 v[8:9], s[8:9], v[30:31], v[30:31], v[52:53]
	v_rcp_f64_e32 v[50:51], v[8:9]
	s_mov_b32 s8, 0x55555555
	v_frexp_exp_i32_f64_e32 v49, v[16:17]
	v_frexp_mant_f64_e32 v[16:17], v[16:17]
	v_fma_f64 v[54:55], -v[8:9], v[50:51], 1.0
	v_fmac_f64_e32 v[50:51], v[50:51], v[54:55]
	v_fma_f64 v[54:55], -v[8:9], v[50:51], 1.0
	v_fmac_f64_e32 v[50:51], v[50:51], v[54:55]
	v_div_scale_f64 v[54:55], vcc, v[52:53], v[30:31], v[52:53]
	v_mul_f64 v[64:65], v[54:55], v[50:51]
	v_fma_f64 v[8:9], -v[8:9], v[64:65], v[54:55]
	s_mov_b32 s9, 0x3fe55555
	s_nop 0
	v_div_fmas_f64 v[8:9], v[8:9], v[50:51], v[64:65]
	v_div_fixup_f64 v[8:9], v[8:9], v[30:31], v[52:53]
	v_mov_b32_e32 v30, 0x3ff00000
	v_cmp_gt_f64_e32 vcc, s[8:9], v[16:17]
	s_mov_b32 s8, 0xbf559e2b
	s_mov_b32 s9, 0x3fc3ab76
	v_cndmask_b32_e64 v31, v30, 2.0, vcc
	v_mov_b32_e32 v30, 0
	v_mul_f64 v[16:17], v[16:17], v[30:31]
	v_add_f64 v[30:31], v[16:17], 1.0
	v_rcp_f64_e32 v[50:51], v[30:31]
	v_add_f64 v[54:55], v[30:31], -1.0
	v_add_f64 v[52:53], v[16:17], -1.0
	v_add_f64 v[16:17], v[16:17], -v[54:55]
	v_fma_f64 v[54:55], -v[30:31], v[50:51], 1.0
	v_fmac_f64_e32 v[50:51], v[54:55], v[50:51]
	v_fma_f64 v[54:55], -v[30:31], v[50:51], 1.0
	v_fmac_f64_e32 v[50:51], v[54:55], v[50:51]
	v_mul_f64 v[54:55], v[52:53], v[50:51]
	v_mul_f64 v[64:65], v[30:31], v[54:55]
	v_fma_f64 v[30:31], v[54:55], v[30:31], -v[64:65]
	v_fmac_f64_e32 v[30:31], v[54:55], v[16:17]
	v_add_f64 v[16:17], v[64:65], v[30:31]
	v_add_f64 v[66:67], v[52:53], -v[16:17]
	v_add_f64 v[64:65], v[16:17], -v[64:65]
	;; [unrolled: 1-line block ×5, first 2 shown]
	v_add_f64 v[16:17], v[30:31], v[16:17]
	v_add_f64 v[16:17], v[66:67], v[16:17]
	v_mul_f64 v[16:17], v[50:51], v[16:17]
	v_add_f64 v[30:31], v[54:55], v[16:17]
	v_add_f64 v[50:51], v[30:31], -v[54:55]
	v_add_f64 v[16:17], v[16:17], -v[50:51]
	v_mul_f64 v[50:51], v[30:31], v[30:31]
	v_mov_b32_e32 v52, 0x6b47b09a
	v_mov_b32_e32 v53, 0x3fc38538
	v_fmac_f64_e32 v[52:53], s[8:9], v[50:51]
	v_mov_b32_e32 v54, 0xd7f4df2e
	v_mov_b32_e32 v55, 0x3fc7474d
	v_fmac_f64_e32 v[54:55], v[50:51], v[52:53]
	;; [unrolled: 3-line block ×6, first 2 shown]
	v_ldexp_f64 v[52:53], v[30:31], 1
	v_mul_f64 v[30:31], v[30:31], v[50:51]
	v_mul_f64 v[30:31], v[30:31], v[54:55]
	v_add_f64 v[50:51], v[52:53], v[30:31]
	v_add_f64 v[52:53], v[50:51], -v[52:53]
	v_ldexp_f64 v[16:17], v[16:17], 1
	v_add_f64 v[30:31], v[30:31], -v[52:53]
	v_add_f64 v[16:17], v[16:17], v[30:31]
	v_add_f64 v[30:31], v[50:51], v[16:17]
	v_subbrev_co_u32_e32 v49, vcc, 0, v49, vcc
	v_add_f64 v[50:51], v[30:31], -v[50:51]
	s_mov_b32 s8, 0xfefa39ef
	v_add_f64 v[16:17], v[16:17], -v[50:51]
	v_cvt_f64_i32_e32 v[50:51], v49
	s_mov_b32 s9, 0x3fe62e42
	v_mul_f64 v[52:53], v[50:51], s[8:9]
	v_fma_f64 v[54:55], v[50:51], s[8:9], -v[52:53]
	s_mov_b32 s8, 0x3b39803f
	s_mov_b32 s9, 0x3c7abc9e
	v_fmac_f64_e32 v[54:55], s[8:9], v[50:51]
	v_add_f64 v[50:51], v[52:53], v[54:55]
	v_add_f64 v[52:53], v[50:51], -v[52:53]
	v_add_f64 v[52:53], v[54:55], -v[52:53]
	v_add_f64 v[54:55], v[50:51], v[30:31]
	v_add_f64 v[64:65], v[54:55], -v[50:51]
	v_add_f64 v[66:67], v[54:55], -v[64:65]
	;; [unrolled: 1-line block ×4, first 2 shown]
	v_add_f64 v[30:31], v[30:31], v[50:51]
	v_add_f64 v[50:51], v[52:53], v[16:17]
	v_add_f64 v[64:65], v[50:51], -v[52:53]
	v_add_f64 v[66:67], v[50:51], -v[64:65]
	v_add_f64 v[30:31], v[50:51], v[30:31]
	v_add_f64 v[52:53], v[52:53], -v[66:67]
	v_add_f64 v[16:17], v[16:17], -v[64:65]
	v_add_f64 v[50:51], v[54:55], v[30:31]
	v_add_f64 v[16:17], v[16:17], v[52:53]
	v_add_f64 v[52:53], v[50:51], -v[54:55]
	v_add_f64 v[30:31], v[30:31], -v[52:53]
	v_add_f64 v[16:17], v[16:17], v[30:31]
	s_mov_b32 s8, 0x6dc9c883
	v_add_f64 v[16:17], v[50:51], v[16:17]
	s_mov_b32 s9, 0x3fe45f30
	v_mul_f64 v[16:17], v[16:17], s[8:9]
	v_fmac_f64_e32 v[8:9], v[16:17], v[14:15]
.LBB1_28:
	s_or_b64 exec, exec, s[6:7]
.LBB1_29:
	s_or_b64 exec, exec, s[4:5]
                                        ; implicit-def: $vgpr16_vgpr17
.LBB1_30:
	s_andn2_saveexec_b64 s[4:5], s[0:1]
	s_cbranch_execz .LBB1_40
; %bb.31:
	s_mov_b32 s9, 0xbfe921fb
	s_mov_b32 s8, 0x54442d18
	;; [unrolled: 1-line block ×3, first 2 shown]
	v_add_f64 v[8:9], v[16:17], s[8:9]
	s_mov_b32 s1, 0x41d00000
	v_cmp_nlt_f64_e64 s[6:7], |v[8:9]|, s[0:1]
	v_trig_preop_f64 v[66:67], |v[8:9]|, 0
	v_trig_preop_f64 v[64:65], |v[8:9]|, 1
	;; [unrolled: 1-line block ×3, first 2 shown]
                                        ; implicit-def: $vgpr49
                                        ; implicit-def: $vgpr14_vgpr15
                                        ; implicit-def: $vgpr30_vgpr31
	s_and_saveexec_b64 s[0:1], s[6:7]
	s_xor_b64 s[10:11], exec, s[0:1]
	s_cbranch_execz .LBB1_33
; %bb.32:
	s_mov_b32 s0, 0
	s_mov_b32 s1, 0x7b000000
	s_movk_i32 s9, 0xff80
	v_and_b32_e32 v30, 0x7fffffff, v9
	v_ldexp_f64 v[14:15], |v[8:9]|, s9
	v_cmp_ge_f64_e64 vcc, |v[8:9]|, s[0:1]
	s_mov_b32 s0, 0
	s_mov_b32 s1, 0x7ff00000
	v_cndmask_b32_e32 v15, v30, v15, vcc
	v_cndmask_b32_e32 v14, v8, v14, vcc
	v_mul_f64 v[50:51], v[66:67], v[14:15]
	v_mul_f64 v[30:31], v[64:65], v[14:15]
	v_fma_f64 v[52:53], v[66:67], v[14:15], -v[50:51]
	v_add_f64 v[68:69], v[30:31], v[52:53]
	v_add_f64 v[70:71], v[50:51], v[68:69]
	v_ldexp_f64 v[80:81], v[70:71], -2
	v_fract_f64_e32 v[82:83], v[80:81]
	v_cmp_neq_f64_e64 vcc, |v[80:81]|, s[0:1]
	v_add_f64 v[50:51], v[70:71], -v[50:51]
	v_add_f64 v[50:51], v[68:69], -v[50:51]
	v_cndmask_b32_e32 v81, 0, v83, vcc
	v_cndmask_b32_e32 v80, 0, v82, vcc
	v_add_f64 v[82:83], v[68:69], -v[30:31]
	v_add_f64 v[52:53], v[52:53], -v[82:83]
	;; [unrolled: 1-line block ×4, first 2 shown]
	v_add_f64 v[52:53], v[52:53], v[82:83]
	v_fma_f64 v[30:31], v[64:65], v[14:15], -v[30:31]
	v_mul_f64 v[82:83], v[54:55], v[14:15]
	v_add_f64 v[86:87], v[82:83], v[30:31]
	v_add_f64 v[96:97], v[86:87], v[52:53]
	v_add_f64 v[70:71], v[96:97], -v[86:87]
	v_add_f64 v[52:53], v[52:53], -v[70:71]
	;; [unrolled: 1-line block ×4, first 2 shown]
	v_add_f64 v[52:53], v[52:53], v[70:71]
	v_add_f64 v[70:71], v[86:87], -v[82:83]
	v_add_f64 v[30:31], v[30:31], -v[70:71]
	;; [unrolled: 1-line block ×4, first 2 shown]
	v_add_f64 v[68:69], v[50:51], v[96:97]
	v_add_f64 v[30:31], v[30:31], v[70:71]
	v_add_f64 v[50:51], v[68:69], -v[50:51]
	v_add_f64 v[30:31], v[30:31], v[52:53]
	v_fma_f64 v[14:15], v[54:55], v[14:15], -v[82:83]
	v_add_f64 v[50:51], v[96:97], -v[50:51]
	v_add_f64 v[14:15], v[14:15], v[30:31]
	v_ldexp_f64 v[30:31], v[80:81], 2
	v_add_f64 v[14:15], v[50:51], v[14:15]
	v_add_f64 v[50:51], v[68:69], v[30:31]
	v_mov_b32_e32 v49, 0x40100000
	v_cmp_gt_f64_e32 vcc, 0, v[50:51]
	v_mov_b32_e32 v84, 0
	s_mov_b32 s9, 0x3ff921fb
	v_cndmask_b32_e32 v85, 0, v49, vcc
	v_add_f64 v[30:31], v[30:31], v[84:85]
	v_add_f64 v[50:51], v[68:69], v[30:31]
	v_cvt_i32_f64_e32 v49, v[50:51]
	v_cvt_f64_i32_e32 v[50:51], v49
	v_add_f64 v[30:31], v[30:31], -v[50:51]
	v_add_f64 v[50:51], v[68:69], v[30:31]
	v_add_f64 v[30:31], v[50:51], -v[30:31]
	v_add_f64 v[30:31], v[68:69], -v[30:31]
	v_add_f64 v[14:15], v[14:15], v[30:31]
	v_cmp_le_f64_e32 vcc, 0.5, v[50:51]
	v_mov_b32_e32 v30, 0x3ff00000
	s_nop 0
	v_cndmask_b32_e32 v85, 0, v30, vcc
	v_add_f64 v[30:31], v[50:51], -v[84:85]
	v_add_f64 v[50:51], v[30:31], v[14:15]
	v_addc_co_u32_e64 v49, s[0:1], 0, v49, vcc
	v_add_f64 v[30:31], v[50:51], -v[30:31]
	v_add_f64 v[14:15], v[14:15], -v[30:31]
	v_mul_f64 v[30:31], v[50:51], s[8:9]
	s_mov_b32 s0, 0x33145c07
	v_fma_f64 v[52:53], v[50:51], s[8:9], -v[30:31]
	s_mov_b32 s1, 0x3c91a626
	v_fmac_f64_e32 v[52:53], s[0:1], v[50:51]
	v_fmac_f64_e32 v[52:53], s[8:9], v[14:15]
	v_add_f64 v[14:15], v[30:31], v[52:53]
	v_add_f64 v[30:31], v[14:15], -v[30:31]
	v_add_f64 v[30:31], v[52:53], -v[30:31]
	s_andn2_saveexec_b64 s[0:1], s[10:11]
	s_cbranch_execz .LBB1_35
	s_branch .LBB1_34
.LBB1_33:
	s_andn2_saveexec_b64 s[0:1], s[10:11]
	s_cbranch_execz .LBB1_35
.LBB1_34:
	s_mov_b32 s8, 0x6dc9c883
	s_mov_b32 s9, 0x3fe45f30
	v_mul_f64 v[14:15], |v[8:9]|, s[8:9]
	s_mov_b32 s8, 0x54442d18
	v_rndne_f64_e32 v[50:51], v[14:15]
	s_mov_b32 s9, 0xbff921fb
	v_fma_f64 v[14:15], v[50:51], s[8:9], |v[8:9]|
	s_mov_b32 s9, 0xbc91a626
	s_mov_b32 s8, 0x33145c00
	v_mul_f64 v[52:53], v[50:51], s[8:9]
	v_add_f64 v[70:71], v[14:15], v[52:53]
	v_fma_f64 v[30:31], s[8:9], v[50:51], v[14:15]
	s_mov_b32 s9, 0x3c91a626
	v_add_f64 v[14:15], v[14:15], -v[70:71]
	v_fma_f64 v[68:69], s[8:9], v[50:51], v[52:53]
	v_add_f64 v[14:15], v[14:15], v[52:53]
	v_add_f64 v[52:53], v[70:71], -v[30:31]
	v_add_f64 v[14:15], v[52:53], v[14:15]
	s_mov_b32 s8, 0x252049c0
	v_add_f64 v[52:53], v[14:15], -v[68:69]
	s_mov_b32 s9, 0xb97b839a
	v_fmac_f64_e32 v[52:53], s[8:9], v[50:51]
	v_add_f64 v[14:15], v[30:31], v[52:53]
	v_add_f64 v[30:31], v[14:15], -v[30:31]
	v_add_f64 v[30:31], v[52:53], -v[30:31]
	v_cvt_i32_f64_e32 v49, v[50:51]
.LBB1_35:
	s_or_b64 exec, exec, s[0:1]
                                        ; implicit-def: $vgpr68
                                        ; implicit-def: $vgpr50_vgpr51
                                        ; implicit-def: $vgpr52_vgpr53
	s_and_saveexec_b64 s[0:1], s[6:7]
	s_xor_b64 s[6:7], exec, s[0:1]
	s_cbranch_execz .LBB1_37
; %bb.36:
	s_mov_b32 s0, 0
	s_mov_b32 s1, 0x7b000000
	s_movk_i32 s8, 0xff80
	v_and_b32_e32 v52, 0x7fffffff, v9
	v_ldexp_f64 v[50:51], |v[8:9]|, s8
	v_cmp_ge_f64_e64 vcc, |v[8:9]|, s[0:1]
	s_mov_b32 s0, 0
	s_mov_b32 s1, 0x7ff00000
	v_cndmask_b32_e32 v51, v52, v51, vcc
	v_cndmask_b32_e32 v50, v8, v50, vcc
	v_mul_f64 v[68:69], v[66:67], v[50:51]
	v_mul_f64 v[52:53], v[64:65], v[50:51]
	v_fma_f64 v[66:67], v[66:67], v[50:51], -v[68:69]
	v_add_f64 v[70:71], v[52:53], v[66:67]
	v_add_f64 v[80:81], v[68:69], v[70:71]
	v_ldexp_f64 v[82:83], v[80:81], -2
	v_fract_f64_e32 v[84:85], v[82:83]
	v_cmp_neq_f64_e64 vcc, |v[82:83]|, s[0:1]
	v_add_f64 v[68:69], v[80:81], -v[68:69]
	v_add_f64 v[68:69], v[70:71], -v[68:69]
	v_cndmask_b32_e32 v83, 0, v85, vcc
	v_cndmask_b32_e32 v82, 0, v84, vcc
	v_add_f64 v[84:85], v[70:71], -v[52:53]
	v_add_f64 v[66:67], v[66:67], -v[84:85]
	;; [unrolled: 1-line block ×4, first 2 shown]
	v_fma_f64 v[52:53], v[64:65], v[50:51], -v[52:53]
	v_mul_f64 v[64:65], v[54:55], v[50:51]
	v_add_f64 v[66:67], v[66:67], v[84:85]
	v_add_f64 v[84:85], v[64:65], v[52:53]
	;; [unrolled: 1-line block ×3, first 2 shown]
	v_add_f64 v[80:81], v[96:97], -v[84:85]
	v_add_f64 v[66:67], v[66:67], -v[80:81]
	;; [unrolled: 1-line block ×4, first 2 shown]
	v_add_f64 v[66:67], v[66:67], v[80:81]
	v_add_f64 v[80:81], v[84:85], -v[64:65]
	v_add_f64 v[52:53], v[52:53], -v[80:81]
	;; [unrolled: 1-line block ×4, first 2 shown]
	v_add_f64 v[52:53], v[52:53], v[80:81]
	v_add_f64 v[52:53], v[52:53], v[66:67]
	v_fma_f64 v[50:51], v[54:55], v[50:51], -v[64:65]
	v_add_f64 v[70:71], v[68:69], v[96:97]
	v_add_f64 v[50:51], v[50:51], v[52:53]
	v_ldexp_f64 v[52:53], v[82:83], 2
	v_add_f64 v[54:55], v[70:71], v[52:53]
	v_mov_b32_e32 v64, 0x40100000
	v_cmp_gt_f64_e32 vcc, 0, v[54:55]
	v_mov_b32_e32 v86, 0
	v_add_f64 v[68:69], v[70:71], -v[68:69]
	v_cndmask_b32_e32 v87, 0, v64, vcc
	v_add_f64 v[52:53], v[52:53], v[86:87]
	v_add_f64 v[54:55], v[70:71], v[52:53]
	v_cvt_i32_f64_e32 v64, v[54:55]
	v_cvt_f64_i32_e32 v[54:55], v64
	v_add_f64 v[52:53], v[52:53], -v[54:55]
	v_add_f64 v[54:55], v[70:71], v[52:53]
	v_add_f64 v[68:69], v[96:97], -v[68:69]
	v_add_f64 v[52:53], v[54:55], -v[52:53]
	v_add_f64 v[50:51], v[68:69], v[50:51]
	v_add_f64 v[52:53], v[70:71], -v[52:53]
	v_add_f64 v[50:51], v[50:51], v[52:53]
	v_cmp_le_f64_e32 vcc, 0.5, v[54:55]
	v_mov_b32_e32 v52, 0x3ff00000
	s_mov_b32 s8, 0x33145c07
	v_cndmask_b32_e32 v87, 0, v52, vcc
	v_addc_co_u32_e64 v68, s[0:1], 0, v64, vcc
	v_add_f64 v[52:53], v[54:55], -v[86:87]
	v_add_f64 v[54:55], v[52:53], v[50:51]
	s_mov_b32 s0, 0x54442d18
	v_add_f64 v[52:53], v[54:55], -v[52:53]
	s_mov_b32 s1, 0x3ff921fb
	v_add_f64 v[50:51], v[50:51], -v[52:53]
	v_mul_f64 v[52:53], v[54:55], s[0:1]
	v_fma_f64 v[64:65], v[54:55], s[0:1], -v[52:53]
	s_mov_b32 s9, 0x3c91a626
	v_fmac_f64_e32 v[64:65], s[8:9], v[54:55]
	v_fmac_f64_e32 v[64:65], s[0:1], v[50:51]
	v_add_f64 v[50:51], v[52:53], v[64:65]
	v_add_f64 v[52:53], v[50:51], -v[52:53]
	v_add_f64 v[52:53], v[64:65], -v[52:53]
	s_andn2_saveexec_b64 s[0:1], s[6:7]
	s_cbranch_execnz .LBB1_38
	s_branch .LBB1_39
.LBB1_37:
	s_andn2_saveexec_b64 s[0:1], s[6:7]
	s_cbranch_execz .LBB1_39
.LBB1_38:
	s_mov_b32 s6, 0x6dc9c883
	s_mov_b32 s7, 0x3fe45f30
	v_mul_f64 v[50:51], |v[8:9]|, s[6:7]
	s_mov_b32 s6, 0x54442d18
	v_rndne_f64_e32 v[54:55], v[50:51]
	s_mov_b32 s7, 0xbff921fb
	v_fma_f64 v[50:51], v[54:55], s[6:7], |v[8:9]|
	s_mov_b32 s7, 0xbc91a626
	s_mov_b32 s6, 0x33145c00
	v_mul_f64 v[64:65], v[54:55], s[6:7]
	v_add_f64 v[68:69], v[50:51], v[64:65]
	v_fma_f64 v[52:53], s[6:7], v[54:55], v[50:51]
	s_mov_b32 s7, 0x3c91a626
	v_add_f64 v[50:51], v[50:51], -v[68:69]
	v_fma_f64 v[66:67], s[6:7], v[54:55], v[64:65]
	v_add_f64 v[50:51], v[50:51], v[64:65]
	v_add_f64 v[64:65], v[68:69], -v[52:53]
	v_add_f64 v[50:51], v[64:65], v[50:51]
	s_mov_b32 s6, 0x252049c0
	v_add_f64 v[64:65], v[50:51], -v[66:67]
	s_mov_b32 s7, 0xb97b839a
	v_fmac_f64_e32 v[64:65], s[6:7], v[54:55]
	v_add_f64 v[50:51], v[52:53], v[64:65]
	v_add_f64 v[52:53], v[50:51], -v[52:53]
	v_add_f64 v[52:53], v[64:65], -v[52:53]
	v_cvt_i32_f64_e32 v68, v[54:55]
.LBB1_39:
	s_or_b64 exec, exec, s[0:1]
	s_mov_b32 s0, 0
	v_mul_f64 v[54:55], v[16:17], v[16:17]
	s_mov_b32 s1, 0x40390000
	v_div_scale_f64 v[64:65], s[6:7], v[54:55], v[54:55], s[0:1]
	v_rcp_f64_e32 v[66:67], v[64:65]
	v_mov_b32_e32 v82, 0xb1759c7f
	v_mov_b32_e32 v83, 0x408ac370
	;; [unrolled: 1-line block ×3, first 2 shown]
	v_fma_f64 v[70:71], -v[64:65], v[66:67], 1.0
	v_fmac_f64_e32 v[66:67], v[66:67], v[70:71]
	v_fma_f64 v[70:71], -v[64:65], v[66:67], 1.0
	v_fmac_f64_e32 v[66:67], v[66:67], v[70:71]
	v_div_scale_f64 v[70:71], vcc, s[0:1], v[54:55], s[0:1]
	v_mul_f64 v[80:81], v[70:71], v[66:67]
	v_fma_f64 v[64:65], -v[64:65], v[80:81], v[70:71]
	v_mov_b32_e32 v70, 0xab5454e3
	s_nop 0
	v_div_fmas_f64 v[64:65], v[64:65], v[66:67], v[80:81]
	v_div_fixup_f64 v[54:55], v[64:65], v[54:55], s[0:1]
	v_mov_b32_e32 v64, 0x983b6b27
	v_mov_b32_e32 v65, 0x3f4a1d30
	v_fmac_f64_e32 v[64:65], 0, v[54:55]
	v_mov_b32_e32 v66, 0xb35dd1cf
	v_mov_b32_e32 v67, 0x3fb534b0
	v_fmac_f64_e32 v[66:67], v[54:55], v[64:65]
	;; [unrolled: 3-line block ×7, first 2 shown]
	v_mov_b32_e32 v71, 0x3fb5ebc5
	v_fmac_f64_e32 v[70:71], v[54:55], v[64:65]
	v_mov_b32_e32 v64, 0xc9b3069f
	v_mov_b32_e32 v65, 0x3ff40e72
	v_fmac_f64_e32 v[64:65], v[54:55], v[70:71]
	v_mov_b32_e32 v70, 0xe68162bb
	;; [unrolled: 3-line block ×4, first 2 shown]
	v_mov_b32_e32 v71, 0x40153965
	v_fmac_f64_e32 v[70:71], v[54:55], v[64:65]
	v_fma_f64 v[64:65], v[54:55], v[70:71], 1.0
	v_mov_b32_e32 v70, 0x38a5384a
	v_mov_b32_e32 v71, 0xbf874742
	v_fmac_f64_e32 v[70:71], 0, v[54:55]
	v_mov_b32_e32 v80, 0x3a321174
	v_mov_b32_e32 v81, 0xbff4853b
	v_fmac_f64_e32 v[80:81], v[54:55], v[70:71]
	;; [unrolled: 3-line block ×9, first 2 shown]
	v_fmac_f64_e32 v[82:83], v[54:55], v[70:71]
	v_mov_b32_e32 v70, 0xbd748cb5
	v_mov_b32_e32 v71, 0x40ae54cd
	v_fmac_f64_e32 v[70:71], v[54:55], v[82:83]
	v_mov_b32_e32 v82, 0xbdefd63e
	v_mov_b32_e32 v83, 0x40bc4877
	;; [unrolled: 3-line block ×4, first 2 shown]
	v_fma_f64 v[66:67], v[54:55], v[66:67], 1.0
	v_fmac_f64_e32 v[82:83], v[54:55], v[70:71]
	v_div_scale_f64 v[70:71], s[0:1], v[64:65], v[64:65], v[66:67]
	v_rcp_f64_e32 v[84:85], v[70:71]
	v_mov_b32_e32 v87, 0x406e402f
	v_fmac_f64_e32 v[86:87], v[54:55], v[82:83]
	s_mov_b32 s0, 0x9037ab78
	v_fma_f64 v[54:55], -v[70:71], v[84:85], 1.0
	v_fmac_f64_e32 v[84:85], v[84:85], v[54:55]
	v_fma_f64 v[54:55], -v[70:71], v[84:85], 1.0
	v_fmac_f64_e32 v[84:85], v[84:85], v[54:55]
	v_div_scale_f64 v[54:55], vcc, v[66:67], v[64:65], v[66:67]
	v_mul_f64 v[82:83], v[54:55], v[84:85]
	v_fma_f64 v[54:55], -v[70:71], v[82:83], v[54:55]
	s_mov_b32 s1, 0x3e21eeb6
	s_nop 0
	v_div_fmas_f64 v[54:55], v[54:55], v[84:85], v[82:83]
	s_mov_b32 s6, 0x46cc5e42
	v_div_fixup_f64 v[54:55], v[54:55], v[64:65], v[66:67]
	v_mul_f64 v[64:65], v[14:15], v[14:15]
	s_mov_b32 s7, 0xbda907db
	v_mov_b64_e32 v[84:85], s[0:1]
	s_mov_b32 s8, 0xa17f65f6
	v_mul_f64 v[66:67], v[64:65], 0.5
	v_fma_f64 v[96:97], s[6:7], v[64:65], v[84:85]
	s_mov_b32 s9, 0xbe927e4f
	s_mov_b32 s10, 0x19f4ec90
	v_add_f64 v[70:71], -v[66:67], 1.0
	v_fma_f64 v[96:97], v[64:65], v[96:97], s[8:9]
	s_mov_b32 s11, 0x3efa01a0
	s_mov_b32 s12, 0x16c16967
	v_add_f64 v[82:83], -v[70:71], 1.0
	v_fma_f64 v[96:97], v[64:65], v[96:97], s[10:11]
	s_mov_b32 s13, 0xbf56c16c
	s_mov_b32 s14, 0x55555555
	v_add_f64 v[66:67], v[82:83], -v[66:67]
	v_fma_f64 v[96:97], v[64:65], v[96:97], s[12:13]
	s_mov_b32 s15, 0x3fa55555
	v_mul_f64 v[82:83], v[64:65], v[64:65]
	v_fma_f64 v[96:97], v[64:65], v[96:97], s[14:15]
	v_fma_f64 v[66:67], v[14:15], -v[30:31], v[66:67]
	s_mov_b32 s0, 0xb42fdfa7
	v_fmac_f64_e32 v[66:67], v[82:83], v[96:97]
	s_mov_b32 s1, 0xbe5ae600
	s_mov_b32 s16, 0xf9a43bb8
	v_add_f64 v[66:67], v[70:71], v[66:67]
	s_mov_b32 s17, 0x3de5e0b2
	v_mov_b64_e32 v[70:71], s[0:1]
	s_mov_b32 s18, 0x796cde01
	v_fma_f64 v[82:83], s[16:17], v[64:65], v[70:71]
	s_mov_b32 s19, 0x3ec71de3
	s_mov_b32 s20, 0x19e83e5c
	v_fma_f64 v[82:83], v[64:65], v[82:83], s[18:19]
	s_mov_b32 s21, 0xbf2a01a0
	;; [unrolled: 3-line block ×3, first 2 shown]
	v_fma_f64 v[82:83], v[64:65], v[82:83], s[22:23]
	v_mul_f64 v[96:97], v[14:15], -v[64:65]
	v_mul_f64 v[98:99], v[30:31], 0.5
	v_fmac_f64_e32 v[98:99], v[96:97], v[82:83]
	v_fma_f64 v[30:31], v[64:65], v[98:99], -v[30:31]
	s_mov_b32 s25, 0xbfc55555
	s_mov_b32 s24, s14
	v_fmac_f64_e32 v[30:31], s[24:25], v[96:97]
	v_add_f64 v[14:15], v[14:15], -v[30:31]
	v_and_b32_e32 v30, 1, v49
	v_cmp_eq_u32_e32 vcc, 0, v30
	s_mov_b32 s26, 0
	s_mov_b32 s27, 0x40140000
	v_cndmask_b32_e32 v64, v66, v14, vcc
	v_cndmask_b32_e32 v14, v67, v15, vcc
	v_lshlrev_b32_e32 v15, 30, v49
	v_xor_b32_e32 v15, v15, v9
	v_and_b32_e32 v15, 0x80000000, v15
	v_xor_b32_e32 v49, v14, v15
	v_div_scale_f64 v[14:15], s[0:1], v[16:17], v[16:17], s[26:27]
	v_rcp_f64_e32 v[30:31], v[14:15]
	s_movk_i32 s28, 0x1f8
	v_cmp_class_f64_e64 s[0:1], v[8:9], s28
	v_mov_b32_e32 v69, 0x7ff80000
	s_nop 0
	v_cndmask_b32_e64 v8, 0, v64, s[0:1]
	v_fma_f64 v[64:65], -v[14:15], v[30:31], 1.0
	v_fmac_f64_e32 v[30:31], v[30:31], v[64:65]
	v_fma_f64 v[64:65], -v[14:15], v[30:31], 1.0
	v_fmac_f64_e32 v[30:31], v[30:31], v[64:65]
	v_div_scale_f64 v[64:65], vcc, s[26:27], v[16:17], s[26:27]
	v_mul_f64 v[66:67], v[64:65], v[30:31]
	v_fma_f64 v[14:15], -v[14:15], v[66:67], v[64:65]
	v_div_scale_f64 v[64:65], s[28:29], v[86:87], v[86:87], v[80:81]
	v_rcp_f64_e32 v[82:83], v[64:65]
	v_div_fmas_f64 v[14:15], v[14:15], v[30:31], v[66:67]
	v_div_fixup_f64 v[14:15], v[14:15], v[16:17], s[26:27]
	v_cndmask_b32_e64 v9, v69, v49, s[0:1]
	v_fma_f64 v[30:31], -v[64:65], v[82:83], 1.0
	v_fmac_f64_e32 v[82:83], v[82:83], v[30:31]
	v_fma_f64 v[30:31], -v[64:65], v[82:83], 1.0
	v_fmac_f64_e32 v[82:83], v[82:83], v[30:31]
	v_div_scale_f64 v[30:31], vcc, v[80:81], v[86:87], v[80:81]
	v_mul_f64 v[66:67], v[30:31], v[82:83]
	v_fma_f64 v[30:31], -v[64:65], v[66:67], v[30:31]
	v_and_b32_e32 v49, 1, v68
	s_nop 0
	v_div_fmas_f64 v[30:31], v[30:31], v[82:83], v[66:67]
	v_div_fixup_f64 v[30:31], v[30:31], v[86:87], v[80:81]
	v_mul_f64 v[14:15], v[14:15], v[30:31]
	v_mul_f64 v[30:31], v[50:51], v[50:51]
	v_mul_f64 v[64:65], v[30:31], 0.5
	v_fmac_f64_e32 v[84:85], s[6:7], v[30:31]
	v_add_f64 v[66:67], -v[64:65], 1.0
	v_fma_f64 v[82:83], v[30:31], v[84:85], s[8:9]
	v_add_f64 v[80:81], -v[66:67], 1.0
	v_fma_f64 v[82:83], v[30:31], v[82:83], s[10:11]
	v_add_f64 v[64:65], v[80:81], -v[64:65]
	v_fma_f64 v[82:83], v[30:31], v[82:83], s[12:13]
	v_mul_f64 v[80:81], v[30:31], v[30:31]
	v_fma_f64 v[82:83], v[30:31], v[82:83], s[14:15]
	v_fma_f64 v[64:65], v[50:51], -v[52:53], v[64:65]
	v_fmac_f64_e32 v[64:65], v[80:81], v[82:83]
	v_fmac_f64_e32 v[70:71], s[16:17], v[30:31]
	v_add_f64 v[64:65], v[66:67], v[64:65]
	v_fma_f64 v[66:67], v[30:31], v[70:71], s[18:19]
	v_fma_f64 v[66:67], v[30:31], v[66:67], s[20:21]
	;; [unrolled: 1-line block ×3, first 2 shown]
	v_mul_f64 v[70:71], v[50:51], -v[30:31]
	v_mul_f64 v[80:81], v[52:53], 0.5
	v_fmac_f64_e32 v[80:81], v[70:71], v[66:67]
	v_fma_f64 v[30:31], v[30:31], v[80:81], -v[52:53]
	v_fmac_f64_e32 v[30:31], s[24:25], v[70:71]
	v_add_f64 v[30:31], v[50:51], -v[30:31]
	v_xor_b32_e32 v31, 0x80000000, v31
	v_cmp_eq_u32_e32 vcc, 0, v49
	v_lshlrev_b32_e32 v49, 30, v68
	v_and_b32_e32 v49, 0x80000000, v49
	v_cndmask_b32_e32 v31, v31, v65, vcc
	v_cndmask_b32_e32 v30, v30, v64, vcc
	v_xor_b32_e32 v31, v31, v49
	v_cndmask_b32_e64 v30, 0, v30, s[0:1]
	v_cndmask_b32_e64 v31, v69, v31, s[0:1]
	s_mov_b32 s0, 0
	s_brev_b32 s1, 8
	v_mul_f64 v[14:15], v[14:15], v[30:31]
	v_cmp_gt_f64_e32 vcc, s[0:1], v[16:17]
	v_fmac_f64_e32 v[14:15], v[54:55], v[8:9]
	s_mov_b32 s0, 0x33d43651
	v_cndmask_b32_e64 v8, 0, 1, vcc
	v_lshlrev_b32_e32 v8, 8, v8
	v_ldexp_f64 v[8:9], v[16:17], v8
	v_rsq_f64_e32 v[16:17], v[8:9]
	s_mov_b32 s1, 0x3fe98845
	v_mul_f64 v[14:15], v[14:15], s[0:1]
	v_mul_f64 v[30:31], v[8:9], v[16:17]
	v_mul_f64 v[16:17], v[16:17], 0.5
	v_fma_f64 v[50:51], -v[16:17], v[30:31], 0.5
	v_fmac_f64_e32 v[30:31], v[30:31], v[50:51]
	v_fma_f64 v[52:53], -v[30:31], v[30:31], v[8:9]
	v_fmac_f64_e32 v[16:17], v[16:17], v[50:51]
	v_fmac_f64_e32 v[30:31], v[52:53], v[16:17]
	v_fma_f64 v[50:51], -v[30:31], v[30:31], v[8:9]
	v_fmac_f64_e32 v[30:31], v[50:51], v[16:17]
	v_mov_b32_e32 v16, 0xffffff80
	v_cndmask_b32_e32 v16, 0, v16, vcc
	v_ldexp_f64 v[16:17], v[30:31], v16
	v_mov_b32_e32 v30, 0x260
	v_cmp_class_f64_e32 vcc, v[8:9], v30
	s_nop 1
	v_cndmask_b32_e32 v9, v17, v9, vcc
	v_cndmask_b32_e32 v8, v16, v8, vcc
	v_div_scale_f64 v[16:17], s[0:1], v[8:9], v[8:9], v[14:15]
	v_rcp_f64_e32 v[30:31], v[16:17]
	s_nop 0
	v_fma_f64 v[50:51], -v[16:17], v[30:31], 1.0
	v_fmac_f64_e32 v[30:31], v[30:31], v[50:51]
	v_fma_f64 v[50:51], -v[16:17], v[30:31], 1.0
	v_fmac_f64_e32 v[30:31], v[30:31], v[50:51]
	v_div_scale_f64 v[50:51], vcc, v[14:15], v[8:9], v[14:15]
	v_mul_f64 v[52:53], v[50:51], v[30:31]
	v_fma_f64 v[16:17], -v[16:17], v[52:53], v[50:51]
	s_nop 1
	v_div_fmas_f64 v[16:17], v[16:17], v[30:31], v[52:53]
	v_div_fixup_f64 v[8:9], v[16:17], v[8:9], v[14:15]
.LBB1_40:
	s_or_b64 exec, exec, s[4:5]
	s_mov_b32 s0, 0
	s_mov_b32 s1, 0x40140000
	v_cmp_ge_f64_e32 vcc, s[0:1], v[22:23]
                                        ; implicit-def: $vgpr14_vgpr15
	s_and_saveexec_b64 s[0:1], vcc
	s_xor_b64 s[0:1], exec, s[0:1]
	s_cbranch_execz .LBB1_50
; %bb.41:
	v_mov_b32_e32 v14, 0
	v_cmp_neq_f64_e32 vcc, 0, v[22:23]
	v_mov_b32_e32 v15, 0xfff00000
	s_and_saveexec_b64 s[4:5], vcc
	s_cbranch_execz .LBB1_49
; %bb.42:
	v_mov_b32_e32 v14, 0
	v_cmp_ngt_f64_e32 vcc, 0, v[22:23]
	v_mov_b32_e32 v15, 0x7ff80000
	s_and_saveexec_b64 s[6:7], vcc
	s_cbranch_execz .LBB1_48
; %bb.43:
	s_mov_b32 s8, 0x88e368f1
	v_mul_f64 v[14:15], v[22:23], v[22:23]
	s_mov_b32 s9, 0x3ee4f8b5
	v_mul_f64 v[30:31], v[14:15], 0
	v_cmp_ngt_f64_e32 vcc, s[8:9], v[22:23]
                                        ; implicit-def: $vgpr16_vgpr17
	s_and_saveexec_b64 s[8:9], vcc
	s_xor_b64 s[8:9], exec, s[8:9]
	s_cbranch_execz .LBB1_45
; %bb.44:
	s_mov_b32 s10, 0xad1c8325
	s_mov_b32 s11, 0xc1f1dc53
	v_add_f64 v[16:17], v[30:31], s[10:11]
	v_mov_b32_e32 v50, 0xc772990d
	v_mov_b32_e32 v51, 0x427c7751
	s_mov_b32 s10, 0xa696b78c
	v_fmac_f64_e32 v[50:51], v[14:15], v[16:17]
	v_mov_b32_e32 v16, 0xe0d900f7
	v_mov_b32_e32 v17, 0xc2ec5614
	s_mov_b32 s11, 0x407f3902
	v_fmac_f64_e32 v[16:17], v[14:15], v[50:51]
	v_add_f64 v[50:51], v[30:31], s[10:11]
	v_mov_b32_e32 v52, 0x36a21a67
	v_mov_b32_e32 v53, 0x410536cb
	v_fmac_f64_e32 v[52:53], v[14:15], v[50:51]
	v_mov_b32_e32 v50, 0x2eac0634
	v_mov_b32_e32 v51, 0x41871934
	v_fmac_f64_e32 v[50:51], v[14:15], v[52:53]
	;; [unrolled: 3-line block ×6, first 2 shown]
	v_mov_b32_e32 v52, 0xc7b662cc
	v_mov_b32_e32 v53, 0x43b7be34
	s_mov_b32 s10, 0x80462bbb
	v_fmac_f64_e32 v[52:53], v[14:15], v[50:51]
	v_mov_b32_e32 v50, 0x69ff5fb4
	v_mov_b32_e32 v51, 0x43413ef8
	s_mov_b32 s11, 0xc01721fb
	v_fmac_f64_e32 v[50:51], v[14:15], v[16:17]
	v_add_f64 v[16:17], v[14:15], s[10:11]
	s_mov_b32 s10, 0xa621dd6f
	s_mov_b32 s11, 0xc03e78a4
	v_add_f64 v[54:55], v[14:15], s[10:11]
	v_mul_f64 v[16:17], v[16:17], v[54:55]
	v_mul_f64 v[16:17], v[16:17], v[50:51]
	v_div_scale_f64 v[50:51], s[10:11], v[52:53], v[52:53], v[16:17]
	v_rcp_f64_e32 v[54:55], v[50:51]
	s_nop 0
	v_fma_f64 v[64:65], -v[50:51], v[54:55], 1.0
	v_fmac_f64_e32 v[54:55], v[54:55], v[64:65]
	v_fma_f64 v[64:65], -v[50:51], v[54:55], 1.0
	v_fmac_f64_e32 v[54:55], v[54:55], v[64:65]
	v_div_scale_f64 v[64:65], vcc, v[16:17], v[52:53], v[16:17]
	v_mul_f64 v[66:67], v[64:65], v[54:55]
	v_fma_f64 v[50:51], -v[50:51], v[66:67], v[64:65]
	s_nop 1
	v_div_fmas_f64 v[50:51], v[50:51], v[54:55], v[66:67]
	v_div_fixup_f64 v[16:17], v[50:51], v[52:53], v[16:17]
.LBB1_45:
	s_andn2_saveexec_b64 s[8:9], s[8:9]
; %bb.46:
	s_mov_b32 s10, 0
	s_mov_b32 s11, 0xbfd00000
	v_fma_f64 v[16:17], v[14:15], s[10:11], 1.0
; %bb.47:
	s_or_b64 exec, exec, s[8:9]
	s_mov_b32 s8, 0xe896898f
	s_mov_b32 s9, 0x40ce7437
	v_add_f64 v[50:51], v[30:31], s[8:9]
	v_mov_b32_e32 v52, 0x32e48896
	v_mov_b32_e32 v53, 0xc16bf81f
	v_fmac_f64_e32 v[52:53], v[14:15], v[50:51]
	v_mov_b32_e32 v50, 0xf0284cdd
	v_mov_b32_e32 v51, 0x41f43f78
	v_fmac_f64_e32 v[50:51], v[14:15], v[52:53]
	;; [unrolled: 3-line block ×4, first 2 shown]
	v_mov_b32_e32 v52, 0xd1d8cc02
	v_mov_b32_e32 v53, 0xc328a121
	s_mov_b32 s8, 0x576dfcb6
	v_fmac_f64_e32 v[52:53], v[14:15], v[50:51]
	v_mov_b32_e32 v50, 0x660b4003
	v_mov_b32_e32 v51, 0x4363a94b
	s_mov_b32 s9, 0x40904522
	v_fmac_f64_e32 v[50:51], v[14:15], v[52:53]
	v_add_f64 v[30:31], v[30:31], s[8:9]
	v_mov_b32_e32 v52, 0xa907bc0c
	v_mov_b32_e32 v53, 0x41231b76
	v_fmac_f64_e32 v[52:53], v[14:15], v[30:31]
	v_mov_b32_e32 v30, 0x5164d101
	v_mov_b32_e32 v31, 0x41b00763
	v_fmac_f64_e32 v[30:31], v[14:15], v[52:53]
	;; [unrolled: 3-line block ×7, first 2 shown]
	v_div_scale_f64 v[14:15], s[8:9], v[30:31], v[30:31], v[52:53]
	v_rcp_f64_e32 v[50:51], v[14:15]
	s_mov_b32 s8, 0x55555555
	v_frexp_exp_i32_f64_e32 v49, v[22:23]
	v_frexp_mant_f64_e32 v[22:23], v[22:23]
	v_fma_f64 v[54:55], -v[14:15], v[50:51], 1.0
	v_fmac_f64_e32 v[50:51], v[50:51], v[54:55]
	v_fma_f64 v[54:55], -v[14:15], v[50:51], 1.0
	v_fmac_f64_e32 v[50:51], v[50:51], v[54:55]
	v_div_scale_f64 v[54:55], vcc, v[52:53], v[30:31], v[52:53]
	v_mul_f64 v[64:65], v[54:55], v[50:51]
	v_fma_f64 v[14:15], -v[14:15], v[64:65], v[54:55]
	s_mov_b32 s9, 0x3fe55555
	s_nop 0
	v_div_fmas_f64 v[14:15], v[14:15], v[50:51], v[64:65]
	v_div_fixup_f64 v[14:15], v[14:15], v[30:31], v[52:53]
	v_mov_b32_e32 v30, 0x3ff00000
	v_cmp_gt_f64_e32 vcc, s[8:9], v[22:23]
	s_mov_b32 s8, 0xbf559e2b
	s_mov_b32 s9, 0x3fc3ab76
	v_cndmask_b32_e64 v31, v30, 2.0, vcc
	v_mov_b32_e32 v30, 0
	v_mul_f64 v[22:23], v[22:23], v[30:31]
	v_add_f64 v[30:31], v[22:23], 1.0
	v_rcp_f64_e32 v[50:51], v[30:31]
	v_add_f64 v[54:55], v[30:31], -1.0
	v_add_f64 v[52:53], v[22:23], -1.0
	v_add_f64 v[22:23], v[22:23], -v[54:55]
	v_fma_f64 v[54:55], -v[30:31], v[50:51], 1.0
	v_fmac_f64_e32 v[50:51], v[54:55], v[50:51]
	v_fma_f64 v[54:55], -v[30:31], v[50:51], 1.0
	v_fmac_f64_e32 v[50:51], v[54:55], v[50:51]
	v_mul_f64 v[54:55], v[52:53], v[50:51]
	v_mul_f64 v[64:65], v[30:31], v[54:55]
	v_fma_f64 v[30:31], v[54:55], v[30:31], -v[64:65]
	v_fmac_f64_e32 v[30:31], v[54:55], v[22:23]
	v_add_f64 v[22:23], v[64:65], v[30:31]
	v_add_f64 v[66:67], v[52:53], -v[22:23]
	v_add_f64 v[64:65], v[22:23], -v[64:65]
	;; [unrolled: 1-line block ×5, first 2 shown]
	v_add_f64 v[22:23], v[30:31], v[22:23]
	v_add_f64 v[22:23], v[66:67], v[22:23]
	v_mul_f64 v[22:23], v[50:51], v[22:23]
	v_add_f64 v[30:31], v[54:55], v[22:23]
	v_add_f64 v[50:51], v[30:31], -v[54:55]
	v_add_f64 v[22:23], v[22:23], -v[50:51]
	v_mul_f64 v[50:51], v[30:31], v[30:31]
	v_mov_b32_e32 v52, 0x6b47b09a
	v_mov_b32_e32 v53, 0x3fc38538
	v_fmac_f64_e32 v[52:53], s[8:9], v[50:51]
	v_mov_b32_e32 v54, 0xd7f4df2e
	v_mov_b32_e32 v55, 0x3fc7474d
	v_fmac_f64_e32 v[54:55], v[50:51], v[52:53]
	;; [unrolled: 3-line block ×6, first 2 shown]
	v_ldexp_f64 v[52:53], v[30:31], 1
	v_mul_f64 v[30:31], v[30:31], v[50:51]
	v_mul_f64 v[30:31], v[30:31], v[54:55]
	v_add_f64 v[50:51], v[52:53], v[30:31]
	v_add_f64 v[52:53], v[50:51], -v[52:53]
	v_ldexp_f64 v[22:23], v[22:23], 1
	v_add_f64 v[30:31], v[30:31], -v[52:53]
	v_add_f64 v[22:23], v[22:23], v[30:31]
	v_add_f64 v[30:31], v[50:51], v[22:23]
	v_subbrev_co_u32_e32 v49, vcc, 0, v49, vcc
	v_add_f64 v[50:51], v[30:31], -v[50:51]
	s_mov_b32 s8, 0xfefa39ef
	v_add_f64 v[22:23], v[22:23], -v[50:51]
	v_cvt_f64_i32_e32 v[50:51], v49
	s_mov_b32 s9, 0x3fe62e42
	v_mul_f64 v[52:53], v[50:51], s[8:9]
	v_fma_f64 v[54:55], v[50:51], s[8:9], -v[52:53]
	s_mov_b32 s8, 0x3b39803f
	s_mov_b32 s9, 0x3c7abc9e
	v_fmac_f64_e32 v[54:55], s[8:9], v[50:51]
	v_add_f64 v[50:51], v[52:53], v[54:55]
	v_add_f64 v[52:53], v[50:51], -v[52:53]
	v_add_f64 v[52:53], v[54:55], -v[52:53]
	v_add_f64 v[54:55], v[50:51], v[30:31]
	v_add_f64 v[64:65], v[54:55], -v[50:51]
	v_add_f64 v[66:67], v[54:55], -v[64:65]
	;; [unrolled: 1-line block ×4, first 2 shown]
	v_add_f64 v[30:31], v[30:31], v[50:51]
	v_add_f64 v[50:51], v[52:53], v[22:23]
	v_add_f64 v[64:65], v[50:51], -v[52:53]
	v_add_f64 v[66:67], v[50:51], -v[64:65]
	v_add_f64 v[30:31], v[50:51], v[30:31]
	v_add_f64 v[52:53], v[52:53], -v[66:67]
	v_add_f64 v[22:23], v[22:23], -v[64:65]
	v_add_f64 v[50:51], v[54:55], v[30:31]
	v_add_f64 v[22:23], v[22:23], v[52:53]
	v_add_f64 v[52:53], v[50:51], -v[54:55]
	v_add_f64 v[30:31], v[30:31], -v[52:53]
	v_add_f64 v[22:23], v[22:23], v[30:31]
	s_mov_b32 s8, 0x6dc9c883
	v_add_f64 v[22:23], v[50:51], v[22:23]
	s_mov_b32 s9, 0x3fe45f30
	v_mul_f64 v[22:23], v[22:23], s[8:9]
	v_fmac_f64_e32 v[14:15], v[22:23], v[16:17]
.LBB1_48:
	s_or_b64 exec, exec, s[6:7]
.LBB1_49:
	s_or_b64 exec, exec, s[4:5]
.LBB1_50:
	s_andn2_saveexec_b64 s[4:5], s[0:1]
	s_cbranch_execz .LBB1_60
; %bb.51:
	s_mov_b32 s9, 0xbfe921fb
	s_mov_b32 s8, 0x54442d18
	;; [unrolled: 1-line block ×3, first 2 shown]
	v_add_f64 v[14:15], v[22:23], s[8:9]
	s_mov_b32 s1, 0x41d00000
	v_cmp_nlt_f64_e64 s[6:7], |v[14:15]|, s[0:1]
	v_trig_preop_f64 v[66:67], |v[14:15]|, 0
	v_trig_preop_f64 v[64:65], |v[14:15]|, 1
	;; [unrolled: 1-line block ×3, first 2 shown]
                                        ; implicit-def: $vgpr49
                                        ; implicit-def: $vgpr16_vgpr17
                                        ; implicit-def: $vgpr30_vgpr31
	s_and_saveexec_b64 s[0:1], s[6:7]
	s_xor_b64 s[10:11], exec, s[0:1]
	s_cbranch_execz .LBB1_53
; %bb.52:
	s_mov_b32 s0, 0
	s_mov_b32 s1, 0x7b000000
	s_movk_i32 s9, 0xff80
	v_and_b32_e32 v30, 0x7fffffff, v15
	v_ldexp_f64 v[16:17], |v[14:15]|, s9
	v_cmp_ge_f64_e64 vcc, |v[14:15]|, s[0:1]
	s_mov_b32 s0, 0
	s_mov_b32 s1, 0x7ff00000
	v_cndmask_b32_e32 v17, v30, v17, vcc
	v_cndmask_b32_e32 v16, v14, v16, vcc
	v_mul_f64 v[50:51], v[66:67], v[16:17]
	v_mul_f64 v[30:31], v[64:65], v[16:17]
	v_fma_f64 v[52:53], v[66:67], v[16:17], -v[50:51]
	v_add_f64 v[68:69], v[30:31], v[52:53]
	v_add_f64 v[70:71], v[50:51], v[68:69]
	v_ldexp_f64 v[80:81], v[70:71], -2
	v_fract_f64_e32 v[82:83], v[80:81]
	v_cmp_neq_f64_e64 vcc, |v[80:81]|, s[0:1]
	v_add_f64 v[50:51], v[70:71], -v[50:51]
	v_add_f64 v[50:51], v[68:69], -v[50:51]
	v_cndmask_b32_e32 v81, 0, v83, vcc
	v_cndmask_b32_e32 v80, 0, v82, vcc
	v_add_f64 v[82:83], v[68:69], -v[30:31]
	v_add_f64 v[52:53], v[52:53], -v[82:83]
	;; [unrolled: 1-line block ×4, first 2 shown]
	v_add_f64 v[52:53], v[52:53], v[82:83]
	v_fma_f64 v[30:31], v[64:65], v[16:17], -v[30:31]
	v_mul_f64 v[82:83], v[54:55], v[16:17]
	v_add_f64 v[86:87], v[82:83], v[30:31]
	v_add_f64 v[96:97], v[86:87], v[52:53]
	v_add_f64 v[70:71], v[96:97], -v[86:87]
	v_add_f64 v[52:53], v[52:53], -v[70:71]
	;; [unrolled: 1-line block ×4, first 2 shown]
	v_add_f64 v[52:53], v[52:53], v[70:71]
	v_add_f64 v[70:71], v[86:87], -v[82:83]
	v_add_f64 v[30:31], v[30:31], -v[70:71]
	;; [unrolled: 1-line block ×4, first 2 shown]
	v_add_f64 v[68:69], v[50:51], v[96:97]
	v_add_f64 v[30:31], v[30:31], v[70:71]
	v_add_f64 v[50:51], v[68:69], -v[50:51]
	v_add_f64 v[30:31], v[30:31], v[52:53]
	v_fma_f64 v[16:17], v[54:55], v[16:17], -v[82:83]
	v_add_f64 v[50:51], v[96:97], -v[50:51]
	v_add_f64 v[16:17], v[16:17], v[30:31]
	v_ldexp_f64 v[30:31], v[80:81], 2
	v_add_f64 v[16:17], v[50:51], v[16:17]
	v_add_f64 v[50:51], v[68:69], v[30:31]
	v_mov_b32_e32 v49, 0x40100000
	v_cmp_gt_f64_e32 vcc, 0, v[50:51]
	v_mov_b32_e32 v84, 0
	s_mov_b32 s9, 0x3ff921fb
	v_cndmask_b32_e32 v85, 0, v49, vcc
	v_add_f64 v[30:31], v[30:31], v[84:85]
	v_add_f64 v[50:51], v[68:69], v[30:31]
	v_cvt_i32_f64_e32 v49, v[50:51]
	v_cvt_f64_i32_e32 v[50:51], v49
	v_add_f64 v[30:31], v[30:31], -v[50:51]
	v_add_f64 v[50:51], v[68:69], v[30:31]
	v_add_f64 v[30:31], v[50:51], -v[30:31]
	v_add_f64 v[30:31], v[68:69], -v[30:31]
	v_add_f64 v[16:17], v[16:17], v[30:31]
	v_cmp_le_f64_e32 vcc, 0.5, v[50:51]
	v_mov_b32_e32 v30, 0x3ff00000
	s_nop 0
	v_cndmask_b32_e32 v85, 0, v30, vcc
	v_add_f64 v[30:31], v[50:51], -v[84:85]
	v_add_f64 v[50:51], v[30:31], v[16:17]
	v_addc_co_u32_e64 v49, s[0:1], 0, v49, vcc
	v_add_f64 v[30:31], v[50:51], -v[30:31]
	v_add_f64 v[16:17], v[16:17], -v[30:31]
	v_mul_f64 v[30:31], v[50:51], s[8:9]
	s_mov_b32 s0, 0x33145c07
	v_fma_f64 v[52:53], v[50:51], s[8:9], -v[30:31]
	s_mov_b32 s1, 0x3c91a626
	v_fmac_f64_e32 v[52:53], s[0:1], v[50:51]
	v_fmac_f64_e32 v[52:53], s[8:9], v[16:17]
	v_add_f64 v[16:17], v[30:31], v[52:53]
	v_add_f64 v[30:31], v[16:17], -v[30:31]
	v_add_f64 v[30:31], v[52:53], -v[30:31]
	s_andn2_saveexec_b64 s[0:1], s[10:11]
	s_cbranch_execz .LBB1_55
	s_branch .LBB1_54
.LBB1_53:
	s_andn2_saveexec_b64 s[0:1], s[10:11]
	s_cbranch_execz .LBB1_55
.LBB1_54:
	s_mov_b32 s8, 0x6dc9c883
	s_mov_b32 s9, 0x3fe45f30
	v_mul_f64 v[16:17], |v[14:15]|, s[8:9]
	s_mov_b32 s8, 0x54442d18
	v_rndne_f64_e32 v[50:51], v[16:17]
	s_mov_b32 s9, 0xbff921fb
	v_fma_f64 v[16:17], v[50:51], s[8:9], |v[14:15]|
	s_mov_b32 s9, 0xbc91a626
	s_mov_b32 s8, 0x33145c00
	v_mul_f64 v[52:53], v[50:51], s[8:9]
	v_add_f64 v[70:71], v[16:17], v[52:53]
	v_fma_f64 v[30:31], s[8:9], v[50:51], v[16:17]
	s_mov_b32 s9, 0x3c91a626
	v_add_f64 v[16:17], v[16:17], -v[70:71]
	v_fma_f64 v[68:69], s[8:9], v[50:51], v[52:53]
	v_add_f64 v[16:17], v[16:17], v[52:53]
	v_add_f64 v[52:53], v[70:71], -v[30:31]
	v_add_f64 v[16:17], v[52:53], v[16:17]
	s_mov_b32 s8, 0x252049c0
	v_add_f64 v[52:53], v[16:17], -v[68:69]
	s_mov_b32 s9, 0xb97b839a
	v_fmac_f64_e32 v[52:53], s[8:9], v[50:51]
	v_add_f64 v[16:17], v[30:31], v[52:53]
	v_add_f64 v[30:31], v[16:17], -v[30:31]
	v_add_f64 v[30:31], v[52:53], -v[30:31]
	v_cvt_i32_f64_e32 v49, v[50:51]
.LBB1_55:
	s_or_b64 exec, exec, s[0:1]
                                        ; implicit-def: $vgpr68
                                        ; implicit-def: $vgpr50_vgpr51
                                        ; implicit-def: $vgpr52_vgpr53
	s_and_saveexec_b64 s[0:1], s[6:7]
	s_xor_b64 s[6:7], exec, s[0:1]
	s_cbranch_execz .LBB1_57
; %bb.56:
	s_mov_b32 s0, 0
	s_mov_b32 s1, 0x7b000000
	s_movk_i32 s8, 0xff80
	v_and_b32_e32 v52, 0x7fffffff, v15
	v_ldexp_f64 v[50:51], |v[14:15]|, s8
	v_cmp_ge_f64_e64 vcc, |v[14:15]|, s[0:1]
	s_mov_b32 s0, 0
	s_mov_b32 s1, 0x7ff00000
	v_cndmask_b32_e32 v51, v52, v51, vcc
	v_cndmask_b32_e32 v50, v14, v50, vcc
	v_mul_f64 v[68:69], v[66:67], v[50:51]
	v_mul_f64 v[52:53], v[64:65], v[50:51]
	v_fma_f64 v[66:67], v[66:67], v[50:51], -v[68:69]
	v_add_f64 v[70:71], v[52:53], v[66:67]
	v_add_f64 v[80:81], v[68:69], v[70:71]
	v_ldexp_f64 v[82:83], v[80:81], -2
	v_fract_f64_e32 v[84:85], v[82:83]
	v_cmp_neq_f64_e64 vcc, |v[82:83]|, s[0:1]
	v_add_f64 v[68:69], v[80:81], -v[68:69]
	v_add_f64 v[68:69], v[70:71], -v[68:69]
	v_cndmask_b32_e32 v83, 0, v85, vcc
	v_cndmask_b32_e32 v82, 0, v84, vcc
	v_add_f64 v[84:85], v[70:71], -v[52:53]
	v_add_f64 v[66:67], v[66:67], -v[84:85]
	;; [unrolled: 1-line block ×4, first 2 shown]
	v_fma_f64 v[52:53], v[64:65], v[50:51], -v[52:53]
	v_mul_f64 v[64:65], v[54:55], v[50:51]
	v_add_f64 v[66:67], v[66:67], v[84:85]
	v_add_f64 v[84:85], v[64:65], v[52:53]
	v_add_f64 v[96:97], v[84:85], v[66:67]
	v_add_f64 v[80:81], v[96:97], -v[84:85]
	v_add_f64 v[66:67], v[66:67], -v[80:81]
	v_add_f64 v[80:81], v[96:97], -v[80:81]
	v_add_f64 v[80:81], v[84:85], -v[80:81]
	v_add_f64 v[66:67], v[66:67], v[80:81]
	v_add_f64 v[80:81], v[84:85], -v[64:65]
	v_add_f64 v[52:53], v[52:53], -v[80:81]
	v_add_f64 v[80:81], v[84:85], -v[80:81]
	v_add_f64 v[80:81], v[64:65], -v[80:81]
	v_add_f64 v[52:53], v[52:53], v[80:81]
	v_add_f64 v[52:53], v[52:53], v[66:67]
	v_fma_f64 v[50:51], v[54:55], v[50:51], -v[64:65]
	v_add_f64 v[70:71], v[68:69], v[96:97]
	v_add_f64 v[50:51], v[50:51], v[52:53]
	v_ldexp_f64 v[52:53], v[82:83], 2
	v_add_f64 v[54:55], v[70:71], v[52:53]
	v_mov_b32_e32 v64, 0x40100000
	v_cmp_gt_f64_e32 vcc, 0, v[54:55]
	v_mov_b32_e32 v86, 0
	v_add_f64 v[68:69], v[70:71], -v[68:69]
	v_cndmask_b32_e32 v87, 0, v64, vcc
	v_add_f64 v[52:53], v[52:53], v[86:87]
	v_add_f64 v[54:55], v[70:71], v[52:53]
	v_cvt_i32_f64_e32 v64, v[54:55]
	v_cvt_f64_i32_e32 v[54:55], v64
	v_add_f64 v[52:53], v[52:53], -v[54:55]
	v_add_f64 v[54:55], v[70:71], v[52:53]
	v_add_f64 v[68:69], v[96:97], -v[68:69]
	v_add_f64 v[52:53], v[54:55], -v[52:53]
	v_add_f64 v[50:51], v[68:69], v[50:51]
	v_add_f64 v[52:53], v[70:71], -v[52:53]
	v_add_f64 v[50:51], v[50:51], v[52:53]
	v_cmp_le_f64_e32 vcc, 0.5, v[54:55]
	v_mov_b32_e32 v52, 0x3ff00000
	s_mov_b32 s8, 0x33145c07
	v_cndmask_b32_e32 v87, 0, v52, vcc
	v_addc_co_u32_e64 v68, s[0:1], 0, v64, vcc
	v_add_f64 v[52:53], v[54:55], -v[86:87]
	v_add_f64 v[54:55], v[52:53], v[50:51]
	s_mov_b32 s0, 0x54442d18
	v_add_f64 v[52:53], v[54:55], -v[52:53]
	s_mov_b32 s1, 0x3ff921fb
	v_add_f64 v[50:51], v[50:51], -v[52:53]
	v_mul_f64 v[52:53], v[54:55], s[0:1]
	v_fma_f64 v[64:65], v[54:55], s[0:1], -v[52:53]
	s_mov_b32 s9, 0x3c91a626
	v_fmac_f64_e32 v[64:65], s[8:9], v[54:55]
	v_fmac_f64_e32 v[64:65], s[0:1], v[50:51]
	v_add_f64 v[50:51], v[52:53], v[64:65]
	v_add_f64 v[52:53], v[50:51], -v[52:53]
	v_add_f64 v[52:53], v[64:65], -v[52:53]
	s_andn2_saveexec_b64 s[0:1], s[6:7]
	s_cbranch_execnz .LBB1_58
	s_branch .LBB1_59
.LBB1_57:
	s_andn2_saveexec_b64 s[0:1], s[6:7]
	s_cbranch_execz .LBB1_59
.LBB1_58:
	s_mov_b32 s6, 0x6dc9c883
	s_mov_b32 s7, 0x3fe45f30
	v_mul_f64 v[50:51], |v[14:15]|, s[6:7]
	s_mov_b32 s6, 0x54442d18
	v_rndne_f64_e32 v[54:55], v[50:51]
	s_mov_b32 s7, 0xbff921fb
	v_fma_f64 v[50:51], v[54:55], s[6:7], |v[14:15]|
	s_mov_b32 s7, 0xbc91a626
	s_mov_b32 s6, 0x33145c00
	v_mul_f64 v[64:65], v[54:55], s[6:7]
	v_add_f64 v[68:69], v[50:51], v[64:65]
	v_fma_f64 v[52:53], s[6:7], v[54:55], v[50:51]
	s_mov_b32 s7, 0x3c91a626
	v_add_f64 v[50:51], v[50:51], -v[68:69]
	v_fma_f64 v[66:67], s[6:7], v[54:55], v[64:65]
	v_add_f64 v[50:51], v[50:51], v[64:65]
	v_add_f64 v[64:65], v[68:69], -v[52:53]
	v_add_f64 v[50:51], v[64:65], v[50:51]
	s_mov_b32 s6, 0x252049c0
	v_add_f64 v[64:65], v[50:51], -v[66:67]
	s_mov_b32 s7, 0xb97b839a
	v_fmac_f64_e32 v[64:65], s[6:7], v[54:55]
	v_add_f64 v[50:51], v[52:53], v[64:65]
	v_add_f64 v[52:53], v[50:51], -v[52:53]
	v_add_f64 v[52:53], v[64:65], -v[52:53]
	v_cvt_i32_f64_e32 v68, v[54:55]
.LBB1_59:
	s_or_b64 exec, exec, s[0:1]
	s_mov_b32 s0, 0
	v_mul_f64 v[54:55], v[22:23], v[22:23]
	s_mov_b32 s1, 0x40390000
	v_div_scale_f64 v[64:65], s[6:7], v[54:55], v[54:55], s[0:1]
	v_rcp_f64_e32 v[66:67], v[64:65]
	v_mov_b32_e32 v82, 0xb1759c7f
	v_mov_b32_e32 v83, 0x408ac370
	;; [unrolled: 1-line block ×3, first 2 shown]
	v_fma_f64 v[70:71], -v[64:65], v[66:67], 1.0
	v_fmac_f64_e32 v[66:67], v[66:67], v[70:71]
	v_fma_f64 v[70:71], -v[64:65], v[66:67], 1.0
	v_fmac_f64_e32 v[66:67], v[66:67], v[70:71]
	v_div_scale_f64 v[70:71], vcc, s[0:1], v[54:55], s[0:1]
	v_mul_f64 v[80:81], v[70:71], v[66:67]
	v_fma_f64 v[64:65], -v[64:65], v[80:81], v[70:71]
	v_mov_b32_e32 v70, 0xab5454e3
	s_nop 0
	v_div_fmas_f64 v[64:65], v[64:65], v[66:67], v[80:81]
	v_div_fixup_f64 v[54:55], v[64:65], v[54:55], s[0:1]
	v_mov_b32_e32 v64, 0x983b6b27
	v_mov_b32_e32 v65, 0x3f4a1d30
	v_fmac_f64_e32 v[64:65], 0, v[54:55]
	v_mov_b32_e32 v66, 0xb35dd1cf
	v_mov_b32_e32 v67, 0x3fb534b0
	v_fmac_f64_e32 v[66:67], v[54:55], v[64:65]
	;; [unrolled: 3-line block ×7, first 2 shown]
	v_mov_b32_e32 v71, 0x3fb5ebc5
	v_fmac_f64_e32 v[70:71], v[54:55], v[64:65]
	v_mov_b32_e32 v64, 0xc9b3069f
	v_mov_b32_e32 v65, 0x3ff40e72
	v_fmac_f64_e32 v[64:65], v[54:55], v[70:71]
	v_mov_b32_e32 v70, 0xe68162bb
	;; [unrolled: 3-line block ×4, first 2 shown]
	v_mov_b32_e32 v71, 0x40153965
	v_fmac_f64_e32 v[70:71], v[54:55], v[64:65]
	v_fma_f64 v[64:65], v[54:55], v[70:71], 1.0
	v_mov_b32_e32 v70, 0x38a5384a
	v_mov_b32_e32 v71, 0xbf874742
	v_fmac_f64_e32 v[70:71], 0, v[54:55]
	v_mov_b32_e32 v80, 0x3a321174
	v_mov_b32_e32 v81, 0xbff4853b
	v_fmac_f64_e32 v[80:81], v[54:55], v[70:71]
	v_mov_b32_e32 v70, 0xf50e2c0c
	v_mov_b32_e32 v71, 0xc0338dcf
	v_fmac_f64_e32 v[70:71], v[54:55], v[80:81]
	v_mov_b32_e32 v80, 0x5a6de8c4
	v_mov_b32_e32 v81, 0xc0574d2f
	v_fmac_f64_e32 v[80:81], v[54:55], v[70:71]
	v_mov_b32_e32 v70, 0x20cae8ea
	v_mov_b32_e32 v71, 0xc06635cc
	v_fmac_f64_e32 v[70:71], v[54:55], v[80:81]
	v_mov_b32_e32 v80, 0xec17392d
	v_mov_b32_e32 v81, 0xc062627a
	v_fmac_f64_e32 v[80:81], v[54:55], v[70:71]
	v_mov_b32_e32 v70, 0x55b218cd
	v_mov_b32_e32 v71, 0xc049b48c
	v_fmac_f64_e32 v[70:71], v[54:55], v[80:81]
	v_mov_b32_e32 v80, 0xd1b9a1dd
	v_mov_b32_e32 v81, 0xc0183358
	v_fmac_f64_e32 v[80:81], v[54:55], v[70:71]
	v_mov_b32_e32 v70, 0x413c25ac
	v_mov_b32_e32 v71, 0x40501457
	v_fmac_f64_e32 v[70:71], 0, v[54:55]
	v_fmac_f64_e32 v[82:83], v[54:55], v[70:71]
	v_mov_b32_e32 v70, 0xbd748cb5
	v_mov_b32_e32 v71, 0x40ae54cd
	v_fmac_f64_e32 v[70:71], v[54:55], v[82:83]
	v_mov_b32_e32 v82, 0xbdefd63e
	v_mov_b32_e32 v83, 0x40bc4877
	;; [unrolled: 3-line block ×4, first 2 shown]
	v_fma_f64 v[66:67], v[54:55], v[66:67], 1.0
	v_fmac_f64_e32 v[82:83], v[54:55], v[70:71]
	v_div_scale_f64 v[70:71], s[0:1], v[64:65], v[64:65], v[66:67]
	v_rcp_f64_e32 v[84:85], v[70:71]
	v_mov_b32_e32 v87, 0x406e402f
	v_fmac_f64_e32 v[86:87], v[54:55], v[82:83]
	s_mov_b32 s0, 0x9037ab78
	v_fma_f64 v[54:55], -v[70:71], v[84:85], 1.0
	v_fmac_f64_e32 v[84:85], v[84:85], v[54:55]
	v_fma_f64 v[54:55], -v[70:71], v[84:85], 1.0
	v_fmac_f64_e32 v[84:85], v[84:85], v[54:55]
	v_div_scale_f64 v[54:55], vcc, v[66:67], v[64:65], v[66:67]
	v_mul_f64 v[82:83], v[54:55], v[84:85]
	v_fma_f64 v[54:55], -v[70:71], v[82:83], v[54:55]
	s_mov_b32 s1, 0x3e21eeb6
	s_nop 0
	v_div_fmas_f64 v[54:55], v[54:55], v[84:85], v[82:83]
	s_mov_b32 s6, 0x46cc5e42
	v_div_fixup_f64 v[54:55], v[54:55], v[64:65], v[66:67]
	v_mul_f64 v[64:65], v[16:17], v[16:17]
	s_mov_b32 s7, 0xbda907db
	v_mov_b64_e32 v[84:85], s[0:1]
	s_mov_b32 s8, 0xa17f65f6
	v_mul_f64 v[66:67], v[64:65], 0.5
	v_fma_f64 v[96:97], s[6:7], v[64:65], v[84:85]
	s_mov_b32 s9, 0xbe927e4f
	s_mov_b32 s10, 0x19f4ec90
	v_add_f64 v[70:71], -v[66:67], 1.0
	v_fma_f64 v[96:97], v[64:65], v[96:97], s[8:9]
	s_mov_b32 s11, 0x3efa01a0
	s_mov_b32 s12, 0x16c16967
	v_add_f64 v[82:83], -v[70:71], 1.0
	v_fma_f64 v[96:97], v[64:65], v[96:97], s[10:11]
	s_mov_b32 s13, 0xbf56c16c
	s_mov_b32 s14, 0x55555555
	v_add_f64 v[66:67], v[82:83], -v[66:67]
	v_fma_f64 v[96:97], v[64:65], v[96:97], s[12:13]
	s_mov_b32 s15, 0x3fa55555
	v_mul_f64 v[82:83], v[64:65], v[64:65]
	v_fma_f64 v[96:97], v[64:65], v[96:97], s[14:15]
	v_fma_f64 v[66:67], v[16:17], -v[30:31], v[66:67]
	s_mov_b32 s0, 0xb42fdfa7
	v_fmac_f64_e32 v[66:67], v[82:83], v[96:97]
	s_mov_b32 s1, 0xbe5ae600
	s_mov_b32 s16, 0xf9a43bb8
	v_add_f64 v[66:67], v[70:71], v[66:67]
	s_mov_b32 s17, 0x3de5e0b2
	v_mov_b64_e32 v[70:71], s[0:1]
	s_mov_b32 s18, 0x796cde01
	v_fma_f64 v[82:83], s[16:17], v[64:65], v[70:71]
	s_mov_b32 s19, 0x3ec71de3
	s_mov_b32 s20, 0x19e83e5c
	v_fma_f64 v[82:83], v[64:65], v[82:83], s[18:19]
	s_mov_b32 s21, 0xbf2a01a0
	;; [unrolled: 3-line block ×3, first 2 shown]
	v_fma_f64 v[82:83], v[64:65], v[82:83], s[22:23]
	v_mul_f64 v[96:97], v[16:17], -v[64:65]
	v_mul_f64 v[98:99], v[30:31], 0.5
	v_fmac_f64_e32 v[98:99], v[96:97], v[82:83]
	v_fma_f64 v[30:31], v[64:65], v[98:99], -v[30:31]
	s_mov_b32 s25, 0xbfc55555
	s_mov_b32 s24, s14
	v_fmac_f64_e32 v[30:31], s[24:25], v[96:97]
	v_add_f64 v[16:17], v[16:17], -v[30:31]
	v_and_b32_e32 v30, 1, v49
	v_cmp_eq_u32_e32 vcc, 0, v30
	s_mov_b32 s26, 0
	s_mov_b32 s27, 0x40140000
	v_cndmask_b32_e32 v64, v66, v16, vcc
	v_cndmask_b32_e32 v16, v67, v17, vcc
	v_lshlrev_b32_e32 v17, 30, v49
	v_xor_b32_e32 v17, v17, v15
	v_and_b32_e32 v17, 0x80000000, v17
	v_xor_b32_e32 v49, v16, v17
	v_div_scale_f64 v[16:17], s[0:1], v[22:23], v[22:23], s[26:27]
	v_rcp_f64_e32 v[30:31], v[16:17]
	s_movk_i32 s28, 0x1f8
	v_cmp_class_f64_e64 s[0:1], v[14:15], s28
	v_mov_b32_e32 v69, 0x7ff80000
	s_nop 0
	v_cndmask_b32_e64 v14, 0, v64, s[0:1]
	v_fma_f64 v[64:65], -v[16:17], v[30:31], 1.0
	v_fmac_f64_e32 v[30:31], v[30:31], v[64:65]
	v_fma_f64 v[64:65], -v[16:17], v[30:31], 1.0
	v_fmac_f64_e32 v[30:31], v[30:31], v[64:65]
	v_div_scale_f64 v[64:65], vcc, s[26:27], v[22:23], s[26:27]
	v_mul_f64 v[66:67], v[64:65], v[30:31]
	v_fma_f64 v[16:17], -v[16:17], v[66:67], v[64:65]
	v_div_scale_f64 v[64:65], s[28:29], v[86:87], v[86:87], v[80:81]
	v_rcp_f64_e32 v[82:83], v[64:65]
	v_div_fmas_f64 v[16:17], v[16:17], v[30:31], v[66:67]
	v_div_fixup_f64 v[16:17], v[16:17], v[22:23], s[26:27]
	v_cndmask_b32_e64 v15, v69, v49, s[0:1]
	v_fma_f64 v[30:31], -v[64:65], v[82:83], 1.0
	v_fmac_f64_e32 v[82:83], v[82:83], v[30:31]
	v_fma_f64 v[30:31], -v[64:65], v[82:83], 1.0
	v_fmac_f64_e32 v[82:83], v[82:83], v[30:31]
	v_div_scale_f64 v[30:31], vcc, v[80:81], v[86:87], v[80:81]
	v_mul_f64 v[66:67], v[30:31], v[82:83]
	v_fma_f64 v[30:31], -v[64:65], v[66:67], v[30:31]
	v_and_b32_e32 v49, 1, v68
	s_nop 0
	v_div_fmas_f64 v[30:31], v[30:31], v[82:83], v[66:67]
	v_div_fixup_f64 v[30:31], v[30:31], v[86:87], v[80:81]
	v_mul_f64 v[16:17], v[16:17], v[30:31]
	v_mul_f64 v[30:31], v[50:51], v[50:51]
	v_mul_f64 v[64:65], v[30:31], 0.5
	v_fmac_f64_e32 v[84:85], s[6:7], v[30:31]
	v_add_f64 v[66:67], -v[64:65], 1.0
	v_fma_f64 v[82:83], v[30:31], v[84:85], s[8:9]
	v_add_f64 v[80:81], -v[66:67], 1.0
	v_fma_f64 v[82:83], v[30:31], v[82:83], s[10:11]
	v_add_f64 v[64:65], v[80:81], -v[64:65]
	v_fma_f64 v[82:83], v[30:31], v[82:83], s[12:13]
	v_mul_f64 v[80:81], v[30:31], v[30:31]
	v_fma_f64 v[82:83], v[30:31], v[82:83], s[14:15]
	v_fma_f64 v[64:65], v[50:51], -v[52:53], v[64:65]
	v_fmac_f64_e32 v[64:65], v[80:81], v[82:83]
	v_fmac_f64_e32 v[70:71], s[16:17], v[30:31]
	v_add_f64 v[64:65], v[66:67], v[64:65]
	v_fma_f64 v[66:67], v[30:31], v[70:71], s[18:19]
	v_fma_f64 v[66:67], v[30:31], v[66:67], s[20:21]
	;; [unrolled: 1-line block ×3, first 2 shown]
	v_mul_f64 v[70:71], v[50:51], -v[30:31]
	v_mul_f64 v[80:81], v[52:53], 0.5
	v_fmac_f64_e32 v[80:81], v[70:71], v[66:67]
	v_fma_f64 v[30:31], v[30:31], v[80:81], -v[52:53]
	v_fmac_f64_e32 v[30:31], s[24:25], v[70:71]
	v_add_f64 v[30:31], v[50:51], -v[30:31]
	v_xor_b32_e32 v31, 0x80000000, v31
	v_cmp_eq_u32_e32 vcc, 0, v49
	v_lshlrev_b32_e32 v49, 30, v68
	v_and_b32_e32 v49, 0x80000000, v49
	v_cndmask_b32_e32 v31, v31, v65, vcc
	v_cndmask_b32_e32 v30, v30, v64, vcc
	v_xor_b32_e32 v31, v31, v49
	v_cndmask_b32_e64 v30, 0, v30, s[0:1]
	v_cndmask_b32_e64 v31, v69, v31, s[0:1]
	s_mov_b32 s0, 0
	s_brev_b32 s1, 8
	v_mul_f64 v[16:17], v[16:17], v[30:31]
	v_cmp_gt_f64_e32 vcc, s[0:1], v[22:23]
	v_fmac_f64_e32 v[16:17], v[54:55], v[14:15]
	s_mov_b32 s0, 0x33d43651
	v_cndmask_b32_e64 v14, 0, 1, vcc
	v_lshlrev_b32_e32 v14, 8, v14
	v_ldexp_f64 v[14:15], v[22:23], v14
	v_rsq_f64_e32 v[22:23], v[14:15]
	s_mov_b32 s1, 0x3fe98845
	v_mul_f64 v[16:17], v[16:17], s[0:1]
	v_mul_f64 v[30:31], v[14:15], v[22:23]
	v_mul_f64 v[22:23], v[22:23], 0.5
	v_fma_f64 v[50:51], -v[22:23], v[30:31], 0.5
	v_fmac_f64_e32 v[30:31], v[30:31], v[50:51]
	v_fma_f64 v[52:53], -v[30:31], v[30:31], v[14:15]
	v_fmac_f64_e32 v[22:23], v[22:23], v[50:51]
	v_fmac_f64_e32 v[30:31], v[52:53], v[22:23]
	v_fma_f64 v[50:51], -v[30:31], v[30:31], v[14:15]
	v_fmac_f64_e32 v[30:31], v[50:51], v[22:23]
	v_mov_b32_e32 v22, 0xffffff80
	v_cndmask_b32_e32 v22, 0, v22, vcc
	v_ldexp_f64 v[22:23], v[30:31], v22
	v_mov_b32_e32 v30, 0x260
	v_cmp_class_f64_e32 vcc, v[14:15], v30
	s_nop 1
	v_cndmask_b32_e32 v15, v23, v15, vcc
	v_cndmask_b32_e32 v14, v22, v14, vcc
	v_div_scale_f64 v[22:23], s[0:1], v[14:15], v[14:15], v[16:17]
	v_rcp_f64_e32 v[30:31], v[22:23]
	s_nop 0
	v_fma_f64 v[50:51], -v[22:23], v[30:31], 1.0
	v_fmac_f64_e32 v[30:31], v[30:31], v[50:51]
	v_fma_f64 v[50:51], -v[22:23], v[30:31], 1.0
	v_fmac_f64_e32 v[30:31], v[30:31], v[50:51]
	v_div_scale_f64 v[50:51], vcc, v[16:17], v[14:15], v[16:17]
	v_mul_f64 v[52:53], v[50:51], v[30:31]
	v_fma_f64 v[22:23], -v[22:23], v[52:53], v[50:51]
	s_nop 1
	v_div_fmas_f64 v[22:23], v[22:23], v[30:31], v[52:53]
	v_div_fixup_f64 v[14:15], v[22:23], v[14:15], v[16:17]
.LBB1_60:
	s_or_b64 exec, exec, s[4:5]
	s_mov_b32 s0, 0
	s_mov_b32 s1, 0x40140000
	v_cmp_ge_f64_e32 vcc, s[0:1], v[24:25]
	s_and_saveexec_b64 s[0:1], vcc
	s_xor_b64 s[0:1], exec, s[0:1]
	s_cbranch_execz .LBB1_70
; %bb.61:
	v_mov_b32_e32 v16, 0
	v_cmp_neq_f64_e32 vcc, 0, v[24:25]
	v_mov_b32_e32 v17, 0xfff00000
	s_and_saveexec_b64 s[4:5], vcc
	s_cbranch_execz .LBB1_69
; %bb.62:
	v_mov_b32_e32 v16, 0
	v_cmp_ngt_f64_e32 vcc, 0, v[24:25]
	v_mov_b32_e32 v17, 0x7ff80000
	s_and_saveexec_b64 s[6:7], vcc
	s_cbranch_execz .LBB1_68
; %bb.63:
	s_mov_b32 s8, 0x88e368f1
	v_mul_f64 v[16:17], v[24:25], v[24:25]
	s_mov_b32 s9, 0x3ee4f8b5
	v_mul_f64 v[30:31], v[16:17], 0
	v_cmp_ngt_f64_e32 vcc, s[8:9], v[24:25]
                                        ; implicit-def: $vgpr22_vgpr23
	s_and_saveexec_b64 s[8:9], vcc
	s_xor_b64 s[8:9], exec, s[8:9]
	s_cbranch_execz .LBB1_65
; %bb.64:
	s_mov_b32 s10, 0xad1c8325
	s_mov_b32 s11, 0xc1f1dc53
	v_add_f64 v[22:23], v[30:31], s[10:11]
	v_mov_b32_e32 v50, 0xc772990d
	v_mov_b32_e32 v51, 0x427c7751
	s_mov_b32 s10, 0xa696b78c
	v_fmac_f64_e32 v[50:51], v[16:17], v[22:23]
	v_mov_b32_e32 v22, 0xe0d900f7
	v_mov_b32_e32 v23, 0xc2ec5614
	s_mov_b32 s11, 0x407f3902
	v_fmac_f64_e32 v[22:23], v[16:17], v[50:51]
	v_add_f64 v[50:51], v[30:31], s[10:11]
	v_mov_b32_e32 v52, 0x36a21a67
	v_mov_b32_e32 v53, 0x410536cb
	v_fmac_f64_e32 v[52:53], v[16:17], v[50:51]
	v_mov_b32_e32 v50, 0x2eac0634
	v_mov_b32_e32 v51, 0x41871934
	v_fmac_f64_e32 v[50:51], v[16:17], v[52:53]
	v_mov_b32_e32 v52, 0x9444914
	v_mov_b32_e32 v53, 0x4204d5b0
	v_fmac_f64_e32 v[52:53], v[16:17], v[50:51]
	v_mov_b32_e32 v50, 0x72182e46
	v_mov_b32_e32 v51, 0x427ebeb3
	v_fmac_f64_e32 v[50:51], v[16:17], v[52:53]
	v_mov_b32_e32 v52, 0x8c9748e9
	v_mov_b32_e32 v53, 0x42f1a6a2
	v_fmac_f64_e32 v[52:53], v[16:17], v[50:51]
	v_mov_b32_e32 v50, 0x7e7b2e9c
	v_mov_b32_e32 v51, 0x435c4141
	v_fmac_f64_e32 v[50:51], v[16:17], v[52:53]
	v_mov_b32_e32 v52, 0xc7b662cc
	v_mov_b32_e32 v53, 0x43b7be34
	s_mov_b32 s10, 0x80462bbb
	v_fmac_f64_e32 v[52:53], v[16:17], v[50:51]
	v_mov_b32_e32 v50, 0x69ff5fb4
	v_mov_b32_e32 v51, 0x43413ef8
	s_mov_b32 s11, 0xc01721fb
	v_fmac_f64_e32 v[50:51], v[16:17], v[22:23]
	v_add_f64 v[22:23], v[16:17], s[10:11]
	s_mov_b32 s10, 0xa621dd6f
	s_mov_b32 s11, 0xc03e78a4
	v_add_f64 v[54:55], v[16:17], s[10:11]
	v_mul_f64 v[22:23], v[22:23], v[54:55]
	v_mul_f64 v[22:23], v[22:23], v[50:51]
	v_div_scale_f64 v[50:51], s[10:11], v[52:53], v[52:53], v[22:23]
	v_rcp_f64_e32 v[54:55], v[50:51]
	s_nop 0
	v_fma_f64 v[64:65], -v[50:51], v[54:55], 1.0
	v_fmac_f64_e32 v[54:55], v[54:55], v[64:65]
	v_fma_f64 v[64:65], -v[50:51], v[54:55], 1.0
	v_fmac_f64_e32 v[54:55], v[54:55], v[64:65]
	v_div_scale_f64 v[64:65], vcc, v[22:23], v[52:53], v[22:23]
	v_mul_f64 v[66:67], v[64:65], v[54:55]
	v_fma_f64 v[50:51], -v[50:51], v[66:67], v[64:65]
	s_nop 1
	v_div_fmas_f64 v[50:51], v[50:51], v[54:55], v[66:67]
	v_div_fixup_f64 v[22:23], v[50:51], v[52:53], v[22:23]
.LBB1_65:
	s_andn2_saveexec_b64 s[8:9], s[8:9]
; %bb.66:
	s_mov_b32 s10, 0
	s_mov_b32 s11, 0xbfd00000
	v_fma_f64 v[22:23], v[16:17], s[10:11], 1.0
; %bb.67:
	s_or_b64 exec, exec, s[8:9]
	s_mov_b32 s8, 0xe896898f
	s_mov_b32 s9, 0x40ce7437
	v_add_f64 v[50:51], v[30:31], s[8:9]
	v_mov_b32_e32 v52, 0x32e48896
	v_mov_b32_e32 v53, 0xc16bf81f
	v_fmac_f64_e32 v[52:53], v[16:17], v[50:51]
	v_mov_b32_e32 v50, 0xf0284cdd
	v_mov_b32_e32 v51, 0x41f43f78
	v_fmac_f64_e32 v[50:51], v[16:17], v[52:53]
	;; [unrolled: 3-line block ×4, first 2 shown]
	v_mov_b32_e32 v52, 0xd1d8cc02
	v_mov_b32_e32 v53, 0xc328a121
	s_mov_b32 s8, 0x576dfcb6
	v_fmac_f64_e32 v[52:53], v[16:17], v[50:51]
	v_mov_b32_e32 v50, 0x660b4003
	v_mov_b32_e32 v51, 0x4363a94b
	s_mov_b32 s9, 0x40904522
	v_fmac_f64_e32 v[50:51], v[16:17], v[52:53]
	v_add_f64 v[30:31], v[30:31], s[8:9]
	v_mov_b32_e32 v52, 0xa907bc0c
	v_mov_b32_e32 v53, 0x41231b76
	v_fmac_f64_e32 v[52:53], v[16:17], v[30:31]
	v_mov_b32_e32 v30, 0x5164d101
	v_mov_b32_e32 v31, 0x41b00763
	v_fmac_f64_e32 v[30:31], v[16:17], v[52:53]
	v_mov_b32_e32 v52, 0x2b8664bc
	v_mov_b32_e32 v53, 0x42341ddb
	v_fmac_f64_e32 v[52:53], v[16:17], v[30:31]
	v_mov_b32_e32 v30, 0xc57e828e
	v_mov_b32_e32 v31, 0x42b275fc
	v_fmac_f64_e32 v[30:31], v[16:17], v[52:53]
	v_mov_b32_e32 v52, 0xdfeb596d
	v_mov_b32_e32 v53, 0x43268910
	v_fmac_f64_e32 v[52:53], v[16:17], v[30:31]
	v_mov_b32_e32 v30, 0xbcf9b5d0
	v_mov_b32_e32 v31, 0x438bd25f
	v_fmac_f64_e32 v[30:31], v[16:17], v[52:53]
	v_mov_b32_e32 v52, 0x5906367b
	v_mov_b32_e32 v53, 0xc3506d4b
	v_fmac_f64_e32 v[52:53], v[16:17], v[50:51]
	v_div_scale_f64 v[16:17], s[8:9], v[30:31], v[30:31], v[52:53]
	v_rcp_f64_e32 v[50:51], v[16:17]
	s_mov_b32 s8, 0x55555555
	v_frexp_exp_i32_f64_e32 v49, v[24:25]
	v_frexp_mant_f64_e32 v[24:25], v[24:25]
	v_fma_f64 v[54:55], -v[16:17], v[50:51], 1.0
	v_fmac_f64_e32 v[50:51], v[50:51], v[54:55]
	v_fma_f64 v[54:55], -v[16:17], v[50:51], 1.0
	v_fmac_f64_e32 v[50:51], v[50:51], v[54:55]
	v_div_scale_f64 v[54:55], vcc, v[52:53], v[30:31], v[52:53]
	v_mul_f64 v[64:65], v[54:55], v[50:51]
	v_fma_f64 v[16:17], -v[16:17], v[64:65], v[54:55]
	s_mov_b32 s9, 0x3fe55555
	s_nop 0
	v_div_fmas_f64 v[16:17], v[16:17], v[50:51], v[64:65]
	v_div_fixup_f64 v[16:17], v[16:17], v[30:31], v[52:53]
	v_mov_b32_e32 v30, 0x3ff00000
	v_cmp_gt_f64_e32 vcc, s[8:9], v[24:25]
	s_mov_b32 s8, 0xbf559e2b
	s_mov_b32 s9, 0x3fc3ab76
	v_cndmask_b32_e64 v31, v30, 2.0, vcc
	v_mov_b32_e32 v30, 0
	v_mul_f64 v[24:25], v[24:25], v[30:31]
	v_add_f64 v[30:31], v[24:25], 1.0
	v_rcp_f64_e32 v[50:51], v[30:31]
	v_add_f64 v[54:55], v[30:31], -1.0
	v_add_f64 v[52:53], v[24:25], -1.0
	v_add_f64 v[24:25], v[24:25], -v[54:55]
	v_fma_f64 v[54:55], -v[30:31], v[50:51], 1.0
	v_fmac_f64_e32 v[50:51], v[54:55], v[50:51]
	v_fma_f64 v[54:55], -v[30:31], v[50:51], 1.0
	v_fmac_f64_e32 v[50:51], v[54:55], v[50:51]
	v_mul_f64 v[54:55], v[52:53], v[50:51]
	v_mul_f64 v[64:65], v[30:31], v[54:55]
	v_fma_f64 v[30:31], v[54:55], v[30:31], -v[64:65]
	v_fmac_f64_e32 v[30:31], v[54:55], v[24:25]
	v_add_f64 v[24:25], v[64:65], v[30:31]
	v_add_f64 v[66:67], v[52:53], -v[24:25]
	v_add_f64 v[64:65], v[24:25], -v[64:65]
	v_add_f64 v[52:53], v[52:53], -v[66:67]
	v_add_f64 v[24:25], v[52:53], -v[24:25]
	v_add_f64 v[30:31], v[64:65], -v[30:31]
	v_add_f64 v[24:25], v[30:31], v[24:25]
	v_add_f64 v[24:25], v[66:67], v[24:25]
	v_mul_f64 v[24:25], v[50:51], v[24:25]
	v_add_f64 v[30:31], v[54:55], v[24:25]
	v_add_f64 v[50:51], v[30:31], -v[54:55]
	v_add_f64 v[24:25], v[24:25], -v[50:51]
	v_mul_f64 v[50:51], v[30:31], v[30:31]
	v_mov_b32_e32 v52, 0x6b47b09a
	v_mov_b32_e32 v53, 0x3fc38538
	v_fmac_f64_e32 v[52:53], s[8:9], v[50:51]
	v_mov_b32_e32 v54, 0xd7f4df2e
	v_mov_b32_e32 v55, 0x3fc7474d
	v_fmac_f64_e32 v[54:55], v[50:51], v[52:53]
	;; [unrolled: 3-line block ×6, first 2 shown]
	v_ldexp_f64 v[52:53], v[30:31], 1
	v_mul_f64 v[30:31], v[30:31], v[50:51]
	v_mul_f64 v[30:31], v[30:31], v[54:55]
	v_add_f64 v[50:51], v[52:53], v[30:31]
	v_add_f64 v[52:53], v[50:51], -v[52:53]
	v_ldexp_f64 v[24:25], v[24:25], 1
	v_add_f64 v[30:31], v[30:31], -v[52:53]
	v_add_f64 v[24:25], v[24:25], v[30:31]
	v_add_f64 v[30:31], v[50:51], v[24:25]
	v_subbrev_co_u32_e32 v49, vcc, 0, v49, vcc
	v_add_f64 v[50:51], v[30:31], -v[50:51]
	s_mov_b32 s8, 0xfefa39ef
	v_add_f64 v[24:25], v[24:25], -v[50:51]
	v_cvt_f64_i32_e32 v[50:51], v49
	s_mov_b32 s9, 0x3fe62e42
	v_mul_f64 v[52:53], v[50:51], s[8:9]
	v_fma_f64 v[54:55], v[50:51], s[8:9], -v[52:53]
	s_mov_b32 s8, 0x3b39803f
	s_mov_b32 s9, 0x3c7abc9e
	v_fmac_f64_e32 v[54:55], s[8:9], v[50:51]
	v_add_f64 v[50:51], v[52:53], v[54:55]
	v_add_f64 v[52:53], v[50:51], -v[52:53]
	v_add_f64 v[52:53], v[54:55], -v[52:53]
	v_add_f64 v[54:55], v[50:51], v[30:31]
	v_add_f64 v[64:65], v[54:55], -v[50:51]
	v_add_f64 v[66:67], v[54:55], -v[64:65]
	;; [unrolled: 1-line block ×4, first 2 shown]
	v_add_f64 v[30:31], v[30:31], v[50:51]
	v_add_f64 v[50:51], v[52:53], v[24:25]
	v_add_f64 v[64:65], v[50:51], -v[52:53]
	v_add_f64 v[66:67], v[50:51], -v[64:65]
	v_add_f64 v[30:31], v[50:51], v[30:31]
	v_add_f64 v[52:53], v[52:53], -v[66:67]
	v_add_f64 v[24:25], v[24:25], -v[64:65]
	v_add_f64 v[50:51], v[54:55], v[30:31]
	v_add_f64 v[24:25], v[24:25], v[52:53]
	v_add_f64 v[52:53], v[50:51], -v[54:55]
	v_add_f64 v[30:31], v[30:31], -v[52:53]
	v_add_f64 v[24:25], v[24:25], v[30:31]
	s_mov_b32 s8, 0x6dc9c883
	v_add_f64 v[24:25], v[50:51], v[24:25]
	s_mov_b32 s9, 0x3fe45f30
	v_mul_f64 v[24:25], v[24:25], s[8:9]
	v_fmac_f64_e32 v[16:17], v[24:25], v[22:23]
.LBB1_68:
	s_or_b64 exec, exec, s[6:7]
.LBB1_69:
	s_or_b64 exec, exec, s[4:5]
                                        ; implicit-def: $vgpr24_vgpr25
.LBB1_70:
	s_andn2_saveexec_b64 s[4:5], s[0:1]
	s_cbranch_execz .LBB1_80
; %bb.71:
	s_mov_b32 s9, 0xbfe921fb
	s_mov_b32 s8, 0x54442d18
	;; [unrolled: 1-line block ×3, first 2 shown]
	v_add_f64 v[16:17], v[24:25], s[8:9]
	s_mov_b32 s1, 0x41d00000
	v_cmp_nlt_f64_e64 s[6:7], |v[16:17]|, s[0:1]
	v_trig_preop_f64 v[66:67], |v[16:17]|, 0
	v_trig_preop_f64 v[64:65], |v[16:17]|, 1
	;; [unrolled: 1-line block ×3, first 2 shown]
                                        ; implicit-def: $vgpr49
                                        ; implicit-def: $vgpr22_vgpr23
                                        ; implicit-def: $vgpr30_vgpr31
	s_and_saveexec_b64 s[0:1], s[6:7]
	s_xor_b64 s[10:11], exec, s[0:1]
	s_cbranch_execz .LBB1_73
; %bb.72:
	s_mov_b32 s0, 0
	s_mov_b32 s1, 0x7b000000
	s_movk_i32 s9, 0xff80
	v_and_b32_e32 v30, 0x7fffffff, v17
	v_ldexp_f64 v[22:23], |v[16:17]|, s9
	v_cmp_ge_f64_e64 vcc, |v[16:17]|, s[0:1]
	s_mov_b32 s0, 0
	s_mov_b32 s1, 0x7ff00000
	v_cndmask_b32_e32 v23, v30, v23, vcc
	v_cndmask_b32_e32 v22, v16, v22, vcc
	v_mul_f64 v[50:51], v[66:67], v[22:23]
	v_mul_f64 v[30:31], v[64:65], v[22:23]
	v_fma_f64 v[52:53], v[66:67], v[22:23], -v[50:51]
	v_add_f64 v[68:69], v[30:31], v[52:53]
	v_add_f64 v[70:71], v[50:51], v[68:69]
	v_ldexp_f64 v[80:81], v[70:71], -2
	v_fract_f64_e32 v[82:83], v[80:81]
	v_cmp_neq_f64_e64 vcc, |v[80:81]|, s[0:1]
	v_add_f64 v[50:51], v[70:71], -v[50:51]
	v_add_f64 v[50:51], v[68:69], -v[50:51]
	v_cndmask_b32_e32 v81, 0, v83, vcc
	v_cndmask_b32_e32 v80, 0, v82, vcc
	v_add_f64 v[82:83], v[68:69], -v[30:31]
	v_add_f64 v[52:53], v[52:53], -v[82:83]
	;; [unrolled: 1-line block ×4, first 2 shown]
	v_add_f64 v[52:53], v[52:53], v[82:83]
	v_fma_f64 v[30:31], v[64:65], v[22:23], -v[30:31]
	v_mul_f64 v[82:83], v[54:55], v[22:23]
	v_add_f64 v[86:87], v[82:83], v[30:31]
	v_add_f64 v[96:97], v[86:87], v[52:53]
	v_add_f64 v[70:71], v[96:97], -v[86:87]
	v_add_f64 v[52:53], v[52:53], -v[70:71]
	;; [unrolled: 1-line block ×4, first 2 shown]
	v_add_f64 v[52:53], v[52:53], v[70:71]
	v_add_f64 v[70:71], v[86:87], -v[82:83]
	v_add_f64 v[30:31], v[30:31], -v[70:71]
	;; [unrolled: 1-line block ×4, first 2 shown]
	v_add_f64 v[68:69], v[50:51], v[96:97]
	v_add_f64 v[30:31], v[30:31], v[70:71]
	v_add_f64 v[50:51], v[68:69], -v[50:51]
	v_add_f64 v[30:31], v[30:31], v[52:53]
	v_fma_f64 v[22:23], v[54:55], v[22:23], -v[82:83]
	v_add_f64 v[50:51], v[96:97], -v[50:51]
	v_add_f64 v[22:23], v[22:23], v[30:31]
	v_ldexp_f64 v[30:31], v[80:81], 2
	v_add_f64 v[22:23], v[50:51], v[22:23]
	v_add_f64 v[50:51], v[68:69], v[30:31]
	v_mov_b32_e32 v49, 0x40100000
	v_cmp_gt_f64_e32 vcc, 0, v[50:51]
	v_mov_b32_e32 v84, 0
	s_mov_b32 s9, 0x3ff921fb
	v_cndmask_b32_e32 v85, 0, v49, vcc
	v_add_f64 v[30:31], v[30:31], v[84:85]
	v_add_f64 v[50:51], v[68:69], v[30:31]
	v_cvt_i32_f64_e32 v49, v[50:51]
	v_cvt_f64_i32_e32 v[50:51], v49
	v_add_f64 v[30:31], v[30:31], -v[50:51]
	v_add_f64 v[50:51], v[68:69], v[30:31]
	v_add_f64 v[30:31], v[50:51], -v[30:31]
	v_add_f64 v[30:31], v[68:69], -v[30:31]
	v_add_f64 v[22:23], v[22:23], v[30:31]
	v_cmp_le_f64_e32 vcc, 0.5, v[50:51]
	v_mov_b32_e32 v30, 0x3ff00000
	s_nop 0
	v_cndmask_b32_e32 v85, 0, v30, vcc
	v_add_f64 v[30:31], v[50:51], -v[84:85]
	v_add_f64 v[50:51], v[30:31], v[22:23]
	v_addc_co_u32_e64 v49, s[0:1], 0, v49, vcc
	v_add_f64 v[30:31], v[50:51], -v[30:31]
	v_add_f64 v[22:23], v[22:23], -v[30:31]
	v_mul_f64 v[30:31], v[50:51], s[8:9]
	s_mov_b32 s0, 0x33145c07
	v_fma_f64 v[52:53], v[50:51], s[8:9], -v[30:31]
	s_mov_b32 s1, 0x3c91a626
	v_fmac_f64_e32 v[52:53], s[0:1], v[50:51]
	v_fmac_f64_e32 v[52:53], s[8:9], v[22:23]
	v_add_f64 v[22:23], v[30:31], v[52:53]
	v_add_f64 v[30:31], v[22:23], -v[30:31]
	v_add_f64 v[30:31], v[52:53], -v[30:31]
	s_andn2_saveexec_b64 s[0:1], s[10:11]
	s_cbranch_execz .LBB1_75
	s_branch .LBB1_74
.LBB1_73:
	s_andn2_saveexec_b64 s[0:1], s[10:11]
	s_cbranch_execz .LBB1_75
.LBB1_74:
	s_mov_b32 s8, 0x6dc9c883
	s_mov_b32 s9, 0x3fe45f30
	v_mul_f64 v[22:23], |v[16:17]|, s[8:9]
	s_mov_b32 s8, 0x54442d18
	v_rndne_f64_e32 v[50:51], v[22:23]
	s_mov_b32 s9, 0xbff921fb
	v_fma_f64 v[22:23], v[50:51], s[8:9], |v[16:17]|
	s_mov_b32 s9, 0xbc91a626
	s_mov_b32 s8, 0x33145c00
	v_mul_f64 v[52:53], v[50:51], s[8:9]
	v_add_f64 v[70:71], v[22:23], v[52:53]
	v_fma_f64 v[30:31], s[8:9], v[50:51], v[22:23]
	s_mov_b32 s9, 0x3c91a626
	v_add_f64 v[22:23], v[22:23], -v[70:71]
	v_fma_f64 v[68:69], s[8:9], v[50:51], v[52:53]
	v_add_f64 v[22:23], v[22:23], v[52:53]
	v_add_f64 v[52:53], v[70:71], -v[30:31]
	v_add_f64 v[22:23], v[52:53], v[22:23]
	s_mov_b32 s8, 0x252049c0
	v_add_f64 v[52:53], v[22:23], -v[68:69]
	s_mov_b32 s9, 0xb97b839a
	v_fmac_f64_e32 v[52:53], s[8:9], v[50:51]
	v_add_f64 v[22:23], v[30:31], v[52:53]
	v_add_f64 v[30:31], v[22:23], -v[30:31]
	v_add_f64 v[30:31], v[52:53], -v[30:31]
	v_cvt_i32_f64_e32 v49, v[50:51]
.LBB1_75:
	s_or_b64 exec, exec, s[0:1]
                                        ; implicit-def: $vgpr68
                                        ; implicit-def: $vgpr50_vgpr51
                                        ; implicit-def: $vgpr52_vgpr53
	s_and_saveexec_b64 s[0:1], s[6:7]
	s_xor_b64 s[6:7], exec, s[0:1]
	s_cbranch_execz .LBB1_77
; %bb.76:
	s_mov_b32 s0, 0
	s_mov_b32 s1, 0x7b000000
	s_movk_i32 s8, 0xff80
	v_and_b32_e32 v52, 0x7fffffff, v17
	v_ldexp_f64 v[50:51], |v[16:17]|, s8
	v_cmp_ge_f64_e64 vcc, |v[16:17]|, s[0:1]
	s_mov_b32 s0, 0
	s_mov_b32 s1, 0x7ff00000
	v_cndmask_b32_e32 v51, v52, v51, vcc
	v_cndmask_b32_e32 v50, v16, v50, vcc
	v_mul_f64 v[68:69], v[66:67], v[50:51]
	v_mul_f64 v[52:53], v[64:65], v[50:51]
	v_fma_f64 v[66:67], v[66:67], v[50:51], -v[68:69]
	v_add_f64 v[70:71], v[52:53], v[66:67]
	v_add_f64 v[80:81], v[68:69], v[70:71]
	v_ldexp_f64 v[82:83], v[80:81], -2
	v_fract_f64_e32 v[84:85], v[82:83]
	v_cmp_neq_f64_e64 vcc, |v[82:83]|, s[0:1]
	v_add_f64 v[68:69], v[80:81], -v[68:69]
	v_add_f64 v[68:69], v[70:71], -v[68:69]
	v_cndmask_b32_e32 v83, 0, v85, vcc
	v_cndmask_b32_e32 v82, 0, v84, vcc
	v_add_f64 v[84:85], v[70:71], -v[52:53]
	v_add_f64 v[66:67], v[66:67], -v[84:85]
	;; [unrolled: 1-line block ×4, first 2 shown]
	v_fma_f64 v[52:53], v[64:65], v[50:51], -v[52:53]
	v_mul_f64 v[64:65], v[54:55], v[50:51]
	v_add_f64 v[66:67], v[66:67], v[84:85]
	v_add_f64 v[84:85], v[64:65], v[52:53]
	;; [unrolled: 1-line block ×3, first 2 shown]
	v_add_f64 v[80:81], v[96:97], -v[84:85]
	v_add_f64 v[66:67], v[66:67], -v[80:81]
	;; [unrolled: 1-line block ×4, first 2 shown]
	v_add_f64 v[66:67], v[66:67], v[80:81]
	v_add_f64 v[80:81], v[84:85], -v[64:65]
	v_add_f64 v[52:53], v[52:53], -v[80:81]
	;; [unrolled: 1-line block ×4, first 2 shown]
	v_add_f64 v[52:53], v[52:53], v[80:81]
	v_add_f64 v[52:53], v[52:53], v[66:67]
	v_fma_f64 v[50:51], v[54:55], v[50:51], -v[64:65]
	v_add_f64 v[70:71], v[68:69], v[96:97]
	v_add_f64 v[50:51], v[50:51], v[52:53]
	v_ldexp_f64 v[52:53], v[82:83], 2
	v_add_f64 v[54:55], v[70:71], v[52:53]
	v_mov_b32_e32 v64, 0x40100000
	v_cmp_gt_f64_e32 vcc, 0, v[54:55]
	v_mov_b32_e32 v86, 0
	v_add_f64 v[68:69], v[70:71], -v[68:69]
	v_cndmask_b32_e32 v87, 0, v64, vcc
	v_add_f64 v[52:53], v[52:53], v[86:87]
	v_add_f64 v[54:55], v[70:71], v[52:53]
	v_cvt_i32_f64_e32 v64, v[54:55]
	v_cvt_f64_i32_e32 v[54:55], v64
	v_add_f64 v[52:53], v[52:53], -v[54:55]
	v_add_f64 v[54:55], v[70:71], v[52:53]
	v_add_f64 v[68:69], v[96:97], -v[68:69]
	v_add_f64 v[52:53], v[54:55], -v[52:53]
	v_add_f64 v[50:51], v[68:69], v[50:51]
	v_add_f64 v[52:53], v[70:71], -v[52:53]
	v_add_f64 v[50:51], v[50:51], v[52:53]
	v_cmp_le_f64_e32 vcc, 0.5, v[54:55]
	v_mov_b32_e32 v52, 0x3ff00000
	s_mov_b32 s8, 0x33145c07
	v_cndmask_b32_e32 v87, 0, v52, vcc
	v_addc_co_u32_e64 v68, s[0:1], 0, v64, vcc
	v_add_f64 v[52:53], v[54:55], -v[86:87]
	v_add_f64 v[54:55], v[52:53], v[50:51]
	s_mov_b32 s0, 0x54442d18
	v_add_f64 v[52:53], v[54:55], -v[52:53]
	s_mov_b32 s1, 0x3ff921fb
	v_add_f64 v[50:51], v[50:51], -v[52:53]
	v_mul_f64 v[52:53], v[54:55], s[0:1]
	v_fma_f64 v[64:65], v[54:55], s[0:1], -v[52:53]
	s_mov_b32 s9, 0x3c91a626
	v_fmac_f64_e32 v[64:65], s[8:9], v[54:55]
	v_fmac_f64_e32 v[64:65], s[0:1], v[50:51]
	v_add_f64 v[50:51], v[52:53], v[64:65]
	v_add_f64 v[52:53], v[50:51], -v[52:53]
	v_add_f64 v[52:53], v[64:65], -v[52:53]
	s_andn2_saveexec_b64 s[0:1], s[6:7]
	s_cbranch_execnz .LBB1_78
	s_branch .LBB1_79
.LBB1_77:
	s_andn2_saveexec_b64 s[0:1], s[6:7]
	s_cbranch_execz .LBB1_79
.LBB1_78:
	s_mov_b32 s6, 0x6dc9c883
	s_mov_b32 s7, 0x3fe45f30
	v_mul_f64 v[50:51], |v[16:17]|, s[6:7]
	s_mov_b32 s6, 0x54442d18
	v_rndne_f64_e32 v[54:55], v[50:51]
	s_mov_b32 s7, 0xbff921fb
	v_fma_f64 v[50:51], v[54:55], s[6:7], |v[16:17]|
	s_mov_b32 s7, 0xbc91a626
	s_mov_b32 s6, 0x33145c00
	v_mul_f64 v[64:65], v[54:55], s[6:7]
	v_add_f64 v[68:69], v[50:51], v[64:65]
	v_fma_f64 v[52:53], s[6:7], v[54:55], v[50:51]
	s_mov_b32 s7, 0x3c91a626
	v_add_f64 v[50:51], v[50:51], -v[68:69]
	v_fma_f64 v[66:67], s[6:7], v[54:55], v[64:65]
	v_add_f64 v[50:51], v[50:51], v[64:65]
	v_add_f64 v[64:65], v[68:69], -v[52:53]
	v_add_f64 v[50:51], v[64:65], v[50:51]
	s_mov_b32 s6, 0x252049c0
	v_add_f64 v[64:65], v[50:51], -v[66:67]
	s_mov_b32 s7, 0xb97b839a
	v_fmac_f64_e32 v[64:65], s[6:7], v[54:55]
	v_add_f64 v[50:51], v[52:53], v[64:65]
	v_add_f64 v[52:53], v[50:51], -v[52:53]
	v_add_f64 v[52:53], v[64:65], -v[52:53]
	v_cvt_i32_f64_e32 v68, v[54:55]
.LBB1_79:
	s_or_b64 exec, exec, s[0:1]
	s_mov_b32 s0, 0
	v_mul_f64 v[54:55], v[24:25], v[24:25]
	s_mov_b32 s1, 0x40390000
	v_div_scale_f64 v[64:65], s[6:7], v[54:55], v[54:55], s[0:1]
	v_rcp_f64_e32 v[66:67], v[64:65]
	v_mov_b32_e32 v82, 0xb1759c7f
	v_mov_b32_e32 v83, 0x408ac370
	;; [unrolled: 1-line block ×3, first 2 shown]
	v_fma_f64 v[70:71], -v[64:65], v[66:67], 1.0
	v_fmac_f64_e32 v[66:67], v[66:67], v[70:71]
	v_fma_f64 v[70:71], -v[64:65], v[66:67], 1.0
	v_fmac_f64_e32 v[66:67], v[66:67], v[70:71]
	v_div_scale_f64 v[70:71], vcc, s[0:1], v[54:55], s[0:1]
	v_mul_f64 v[80:81], v[70:71], v[66:67]
	v_fma_f64 v[64:65], -v[64:65], v[80:81], v[70:71]
	v_mov_b32_e32 v70, 0xab5454e3
	s_nop 0
	v_div_fmas_f64 v[64:65], v[64:65], v[66:67], v[80:81]
	v_div_fixup_f64 v[54:55], v[64:65], v[54:55], s[0:1]
	v_mov_b32_e32 v64, 0x983b6b27
	v_mov_b32_e32 v65, 0x3f4a1d30
	v_fmac_f64_e32 v[64:65], 0, v[54:55]
	v_mov_b32_e32 v66, 0xb35dd1cf
	v_mov_b32_e32 v67, 0x3fb534b0
	v_fmac_f64_e32 v[66:67], v[54:55], v[64:65]
	;; [unrolled: 3-line block ×7, first 2 shown]
	v_mov_b32_e32 v71, 0x3fb5ebc5
	v_fmac_f64_e32 v[70:71], v[54:55], v[64:65]
	v_mov_b32_e32 v64, 0xc9b3069f
	v_mov_b32_e32 v65, 0x3ff40e72
	v_fmac_f64_e32 v[64:65], v[54:55], v[70:71]
	v_mov_b32_e32 v70, 0xe68162bb
	;; [unrolled: 3-line block ×4, first 2 shown]
	v_mov_b32_e32 v71, 0x40153965
	v_fmac_f64_e32 v[70:71], v[54:55], v[64:65]
	v_fma_f64 v[64:65], v[54:55], v[70:71], 1.0
	v_mov_b32_e32 v70, 0x38a5384a
	v_mov_b32_e32 v71, 0xbf874742
	v_fmac_f64_e32 v[70:71], 0, v[54:55]
	v_mov_b32_e32 v80, 0x3a321174
	v_mov_b32_e32 v81, 0xbff4853b
	v_fmac_f64_e32 v[80:81], v[54:55], v[70:71]
	;; [unrolled: 3-line block ×9, first 2 shown]
	v_fmac_f64_e32 v[82:83], v[54:55], v[70:71]
	v_mov_b32_e32 v70, 0xbd748cb5
	v_mov_b32_e32 v71, 0x40ae54cd
	v_fmac_f64_e32 v[70:71], v[54:55], v[82:83]
	v_mov_b32_e32 v82, 0xbdefd63e
	v_mov_b32_e32 v83, 0x40bc4877
	;; [unrolled: 3-line block ×4, first 2 shown]
	v_fma_f64 v[66:67], v[54:55], v[66:67], 1.0
	v_fmac_f64_e32 v[82:83], v[54:55], v[70:71]
	v_div_scale_f64 v[70:71], s[0:1], v[64:65], v[64:65], v[66:67]
	v_rcp_f64_e32 v[84:85], v[70:71]
	v_mov_b32_e32 v87, 0x406e402f
	v_fmac_f64_e32 v[86:87], v[54:55], v[82:83]
	s_mov_b32 s0, 0x9037ab78
	v_fma_f64 v[54:55], -v[70:71], v[84:85], 1.0
	v_fmac_f64_e32 v[84:85], v[84:85], v[54:55]
	v_fma_f64 v[54:55], -v[70:71], v[84:85], 1.0
	v_fmac_f64_e32 v[84:85], v[84:85], v[54:55]
	v_div_scale_f64 v[54:55], vcc, v[66:67], v[64:65], v[66:67]
	v_mul_f64 v[82:83], v[54:55], v[84:85]
	v_fma_f64 v[54:55], -v[70:71], v[82:83], v[54:55]
	s_mov_b32 s1, 0x3e21eeb6
	s_nop 0
	v_div_fmas_f64 v[54:55], v[54:55], v[84:85], v[82:83]
	s_mov_b32 s6, 0x46cc5e42
	v_div_fixup_f64 v[54:55], v[54:55], v[64:65], v[66:67]
	v_mul_f64 v[64:65], v[22:23], v[22:23]
	s_mov_b32 s7, 0xbda907db
	v_mov_b64_e32 v[84:85], s[0:1]
	s_mov_b32 s8, 0xa17f65f6
	v_mul_f64 v[66:67], v[64:65], 0.5
	v_fma_f64 v[96:97], s[6:7], v[64:65], v[84:85]
	s_mov_b32 s9, 0xbe927e4f
	s_mov_b32 s10, 0x19f4ec90
	v_add_f64 v[70:71], -v[66:67], 1.0
	v_fma_f64 v[96:97], v[64:65], v[96:97], s[8:9]
	s_mov_b32 s11, 0x3efa01a0
	s_mov_b32 s12, 0x16c16967
	v_add_f64 v[82:83], -v[70:71], 1.0
	v_fma_f64 v[96:97], v[64:65], v[96:97], s[10:11]
	s_mov_b32 s13, 0xbf56c16c
	s_mov_b32 s14, 0x55555555
	v_add_f64 v[66:67], v[82:83], -v[66:67]
	v_fma_f64 v[96:97], v[64:65], v[96:97], s[12:13]
	s_mov_b32 s15, 0x3fa55555
	v_mul_f64 v[82:83], v[64:65], v[64:65]
	v_fma_f64 v[96:97], v[64:65], v[96:97], s[14:15]
	v_fma_f64 v[66:67], v[22:23], -v[30:31], v[66:67]
	s_mov_b32 s0, 0xb42fdfa7
	v_fmac_f64_e32 v[66:67], v[82:83], v[96:97]
	s_mov_b32 s1, 0xbe5ae600
	s_mov_b32 s16, 0xf9a43bb8
	v_add_f64 v[66:67], v[70:71], v[66:67]
	s_mov_b32 s17, 0x3de5e0b2
	v_mov_b64_e32 v[70:71], s[0:1]
	s_mov_b32 s18, 0x796cde01
	v_fma_f64 v[82:83], s[16:17], v[64:65], v[70:71]
	s_mov_b32 s19, 0x3ec71de3
	s_mov_b32 s20, 0x19e83e5c
	v_fma_f64 v[82:83], v[64:65], v[82:83], s[18:19]
	s_mov_b32 s21, 0xbf2a01a0
	;; [unrolled: 3-line block ×3, first 2 shown]
	v_fma_f64 v[82:83], v[64:65], v[82:83], s[22:23]
	v_mul_f64 v[96:97], v[22:23], -v[64:65]
	v_mul_f64 v[98:99], v[30:31], 0.5
	v_fmac_f64_e32 v[98:99], v[96:97], v[82:83]
	v_fma_f64 v[30:31], v[64:65], v[98:99], -v[30:31]
	s_mov_b32 s25, 0xbfc55555
	s_mov_b32 s24, s14
	v_fmac_f64_e32 v[30:31], s[24:25], v[96:97]
	v_add_f64 v[22:23], v[22:23], -v[30:31]
	v_and_b32_e32 v30, 1, v49
	v_cmp_eq_u32_e32 vcc, 0, v30
	s_mov_b32 s26, 0
	s_mov_b32 s27, 0x40140000
	v_cndmask_b32_e32 v64, v66, v22, vcc
	v_cndmask_b32_e32 v22, v67, v23, vcc
	v_lshlrev_b32_e32 v23, 30, v49
	v_xor_b32_e32 v23, v23, v17
	v_and_b32_e32 v23, 0x80000000, v23
	v_xor_b32_e32 v49, v22, v23
	v_div_scale_f64 v[22:23], s[0:1], v[24:25], v[24:25], s[26:27]
	v_rcp_f64_e32 v[30:31], v[22:23]
	s_movk_i32 s28, 0x1f8
	v_cmp_class_f64_e64 s[0:1], v[16:17], s28
	v_mov_b32_e32 v69, 0x7ff80000
	s_nop 0
	v_cndmask_b32_e64 v16, 0, v64, s[0:1]
	v_fma_f64 v[64:65], -v[22:23], v[30:31], 1.0
	v_fmac_f64_e32 v[30:31], v[30:31], v[64:65]
	v_fma_f64 v[64:65], -v[22:23], v[30:31], 1.0
	v_fmac_f64_e32 v[30:31], v[30:31], v[64:65]
	v_div_scale_f64 v[64:65], vcc, s[26:27], v[24:25], s[26:27]
	v_mul_f64 v[66:67], v[64:65], v[30:31]
	v_fma_f64 v[22:23], -v[22:23], v[66:67], v[64:65]
	v_div_scale_f64 v[64:65], s[28:29], v[86:87], v[86:87], v[80:81]
	v_rcp_f64_e32 v[82:83], v[64:65]
	v_div_fmas_f64 v[22:23], v[22:23], v[30:31], v[66:67]
	v_div_fixup_f64 v[22:23], v[22:23], v[24:25], s[26:27]
	v_cndmask_b32_e64 v17, v69, v49, s[0:1]
	v_fma_f64 v[30:31], -v[64:65], v[82:83], 1.0
	v_fmac_f64_e32 v[82:83], v[82:83], v[30:31]
	v_fma_f64 v[30:31], -v[64:65], v[82:83], 1.0
	v_fmac_f64_e32 v[82:83], v[82:83], v[30:31]
	v_div_scale_f64 v[30:31], vcc, v[80:81], v[86:87], v[80:81]
	v_mul_f64 v[66:67], v[30:31], v[82:83]
	v_fma_f64 v[30:31], -v[64:65], v[66:67], v[30:31]
	v_and_b32_e32 v49, 1, v68
	s_nop 0
	v_div_fmas_f64 v[30:31], v[30:31], v[82:83], v[66:67]
	v_div_fixup_f64 v[30:31], v[30:31], v[86:87], v[80:81]
	v_mul_f64 v[22:23], v[22:23], v[30:31]
	v_mul_f64 v[30:31], v[50:51], v[50:51]
	v_mul_f64 v[64:65], v[30:31], 0.5
	v_fmac_f64_e32 v[84:85], s[6:7], v[30:31]
	v_add_f64 v[66:67], -v[64:65], 1.0
	v_fma_f64 v[82:83], v[30:31], v[84:85], s[8:9]
	v_add_f64 v[80:81], -v[66:67], 1.0
	v_fma_f64 v[82:83], v[30:31], v[82:83], s[10:11]
	v_add_f64 v[64:65], v[80:81], -v[64:65]
	v_fma_f64 v[82:83], v[30:31], v[82:83], s[12:13]
	v_mul_f64 v[80:81], v[30:31], v[30:31]
	v_fma_f64 v[82:83], v[30:31], v[82:83], s[14:15]
	v_fma_f64 v[64:65], v[50:51], -v[52:53], v[64:65]
	v_fmac_f64_e32 v[64:65], v[80:81], v[82:83]
	v_fmac_f64_e32 v[70:71], s[16:17], v[30:31]
	v_add_f64 v[64:65], v[66:67], v[64:65]
	v_fma_f64 v[66:67], v[30:31], v[70:71], s[18:19]
	v_fma_f64 v[66:67], v[30:31], v[66:67], s[20:21]
	;; [unrolled: 1-line block ×3, first 2 shown]
	v_mul_f64 v[70:71], v[50:51], -v[30:31]
	v_mul_f64 v[80:81], v[52:53], 0.5
	v_fmac_f64_e32 v[80:81], v[70:71], v[66:67]
	v_fma_f64 v[30:31], v[30:31], v[80:81], -v[52:53]
	v_fmac_f64_e32 v[30:31], s[24:25], v[70:71]
	v_add_f64 v[30:31], v[50:51], -v[30:31]
	v_xor_b32_e32 v31, 0x80000000, v31
	v_cmp_eq_u32_e32 vcc, 0, v49
	v_lshlrev_b32_e32 v49, 30, v68
	v_and_b32_e32 v49, 0x80000000, v49
	v_cndmask_b32_e32 v31, v31, v65, vcc
	v_cndmask_b32_e32 v30, v30, v64, vcc
	v_xor_b32_e32 v31, v31, v49
	v_cndmask_b32_e64 v30, 0, v30, s[0:1]
	v_cndmask_b32_e64 v31, v69, v31, s[0:1]
	s_mov_b32 s0, 0
	s_brev_b32 s1, 8
	v_mul_f64 v[22:23], v[22:23], v[30:31]
	v_cmp_gt_f64_e32 vcc, s[0:1], v[24:25]
	v_fmac_f64_e32 v[22:23], v[54:55], v[16:17]
	s_mov_b32 s0, 0x33d43651
	v_cndmask_b32_e64 v16, 0, 1, vcc
	v_lshlrev_b32_e32 v16, 8, v16
	v_ldexp_f64 v[16:17], v[24:25], v16
	v_rsq_f64_e32 v[24:25], v[16:17]
	s_mov_b32 s1, 0x3fe98845
	v_mul_f64 v[22:23], v[22:23], s[0:1]
	v_mul_f64 v[30:31], v[16:17], v[24:25]
	v_mul_f64 v[24:25], v[24:25], 0.5
	v_fma_f64 v[50:51], -v[24:25], v[30:31], 0.5
	v_fmac_f64_e32 v[30:31], v[30:31], v[50:51]
	v_fma_f64 v[52:53], -v[30:31], v[30:31], v[16:17]
	v_fmac_f64_e32 v[24:25], v[24:25], v[50:51]
	v_fmac_f64_e32 v[30:31], v[52:53], v[24:25]
	v_fma_f64 v[50:51], -v[30:31], v[30:31], v[16:17]
	v_fmac_f64_e32 v[30:31], v[50:51], v[24:25]
	v_mov_b32_e32 v24, 0xffffff80
	v_cndmask_b32_e32 v24, 0, v24, vcc
	v_ldexp_f64 v[24:25], v[30:31], v24
	v_mov_b32_e32 v30, 0x260
	v_cmp_class_f64_e32 vcc, v[16:17], v30
	s_nop 1
	v_cndmask_b32_e32 v17, v25, v17, vcc
	v_cndmask_b32_e32 v16, v24, v16, vcc
	v_div_scale_f64 v[24:25], s[0:1], v[16:17], v[16:17], v[22:23]
	v_rcp_f64_e32 v[30:31], v[24:25]
	s_nop 0
	v_fma_f64 v[50:51], -v[24:25], v[30:31], 1.0
	v_fmac_f64_e32 v[30:31], v[30:31], v[50:51]
	v_fma_f64 v[50:51], -v[24:25], v[30:31], 1.0
	v_fmac_f64_e32 v[30:31], v[30:31], v[50:51]
	v_div_scale_f64 v[50:51], vcc, v[22:23], v[16:17], v[22:23]
	v_mul_f64 v[52:53], v[50:51], v[30:31]
	v_fma_f64 v[24:25], -v[24:25], v[52:53], v[50:51]
	s_nop 1
	v_div_fmas_f64 v[24:25], v[24:25], v[30:31], v[52:53]
	v_div_fixup_f64 v[16:17], v[24:25], v[16:17], v[22:23]
.LBB1_80:
	s_or_b64 exec, exec, s[4:5]
	s_mov_b32 s0, 0
	s_mov_b32 s1, 0x40140000
	v_cmp_ge_f64_e32 vcc, s[0:1], v[36:37]
                                        ; implicit-def: $vgpr22_vgpr23
	s_and_saveexec_b64 s[0:1], vcc
	s_xor_b64 s[0:1], exec, s[0:1]
	s_cbranch_execz .LBB1_90
; %bb.81:
	v_mov_b32_e32 v22, 0
	v_cmp_neq_f64_e32 vcc, 0, v[36:37]
	v_mov_b32_e32 v23, 0xfff00000
	s_and_saveexec_b64 s[4:5], vcc
	s_cbranch_execz .LBB1_89
; %bb.82:
	v_mov_b32_e32 v22, 0
	v_cmp_ngt_f64_e32 vcc, 0, v[36:37]
	v_mov_b32_e32 v23, 0x7ff80000
	s_and_saveexec_b64 s[6:7], vcc
	s_cbranch_execz .LBB1_88
; %bb.83:
	s_mov_b32 s8, 0x88e368f1
	v_mul_f64 v[22:23], v[36:37], v[36:37]
	s_mov_b32 s9, 0x3ee4f8b5
	v_mul_f64 v[30:31], v[22:23], 0
	v_cmp_ngt_f64_e32 vcc, s[8:9], v[36:37]
                                        ; implicit-def: $vgpr24_vgpr25
	s_and_saveexec_b64 s[8:9], vcc
	s_xor_b64 s[8:9], exec, s[8:9]
	s_cbranch_execz .LBB1_85
; %bb.84:
	s_mov_b32 s10, 0xad1c8325
	s_mov_b32 s11, 0xc1f1dc53
	v_add_f64 v[24:25], v[30:31], s[10:11]
	v_mov_b32_e32 v50, 0xc772990d
	v_mov_b32_e32 v51, 0x427c7751
	s_mov_b32 s10, 0xa696b78c
	v_fmac_f64_e32 v[50:51], v[22:23], v[24:25]
	v_mov_b32_e32 v24, 0xe0d900f7
	v_mov_b32_e32 v25, 0xc2ec5614
	s_mov_b32 s11, 0x407f3902
	v_fmac_f64_e32 v[24:25], v[22:23], v[50:51]
	v_add_f64 v[50:51], v[30:31], s[10:11]
	v_mov_b32_e32 v52, 0x36a21a67
	v_mov_b32_e32 v53, 0x410536cb
	v_fmac_f64_e32 v[52:53], v[22:23], v[50:51]
	v_mov_b32_e32 v50, 0x2eac0634
	v_mov_b32_e32 v51, 0x41871934
	v_fmac_f64_e32 v[50:51], v[22:23], v[52:53]
	;; [unrolled: 3-line block ×6, first 2 shown]
	v_mov_b32_e32 v52, 0xc7b662cc
	v_mov_b32_e32 v53, 0x43b7be34
	s_mov_b32 s10, 0x80462bbb
	v_fmac_f64_e32 v[52:53], v[22:23], v[50:51]
	v_mov_b32_e32 v50, 0x69ff5fb4
	v_mov_b32_e32 v51, 0x43413ef8
	s_mov_b32 s11, 0xc01721fb
	v_fmac_f64_e32 v[50:51], v[22:23], v[24:25]
	v_add_f64 v[24:25], v[22:23], s[10:11]
	s_mov_b32 s10, 0xa621dd6f
	s_mov_b32 s11, 0xc03e78a4
	v_add_f64 v[54:55], v[22:23], s[10:11]
	v_mul_f64 v[24:25], v[24:25], v[54:55]
	v_mul_f64 v[24:25], v[24:25], v[50:51]
	v_div_scale_f64 v[50:51], s[10:11], v[52:53], v[52:53], v[24:25]
	v_rcp_f64_e32 v[54:55], v[50:51]
	s_nop 0
	v_fma_f64 v[64:65], -v[50:51], v[54:55], 1.0
	v_fmac_f64_e32 v[54:55], v[54:55], v[64:65]
	v_fma_f64 v[64:65], -v[50:51], v[54:55], 1.0
	v_fmac_f64_e32 v[54:55], v[54:55], v[64:65]
	v_div_scale_f64 v[64:65], vcc, v[24:25], v[52:53], v[24:25]
	v_mul_f64 v[66:67], v[64:65], v[54:55]
	v_fma_f64 v[50:51], -v[50:51], v[66:67], v[64:65]
	s_nop 1
	v_div_fmas_f64 v[50:51], v[50:51], v[54:55], v[66:67]
	v_div_fixup_f64 v[24:25], v[50:51], v[52:53], v[24:25]
.LBB1_85:
	s_andn2_saveexec_b64 s[8:9], s[8:9]
; %bb.86:
	s_mov_b32 s10, 0
	s_mov_b32 s11, 0xbfd00000
	v_fma_f64 v[24:25], v[22:23], s[10:11], 1.0
; %bb.87:
	s_or_b64 exec, exec, s[8:9]
	s_mov_b32 s8, 0xe896898f
	s_mov_b32 s9, 0x40ce7437
	v_add_f64 v[50:51], v[30:31], s[8:9]
	v_mov_b32_e32 v52, 0x32e48896
	v_mov_b32_e32 v53, 0xc16bf81f
	v_fmac_f64_e32 v[52:53], v[22:23], v[50:51]
	v_mov_b32_e32 v50, 0xf0284cdd
	v_mov_b32_e32 v51, 0x41f43f78
	v_fmac_f64_e32 v[50:51], v[22:23], v[52:53]
	;; [unrolled: 3-line block ×4, first 2 shown]
	v_mov_b32_e32 v52, 0xd1d8cc02
	v_mov_b32_e32 v53, 0xc328a121
	s_mov_b32 s8, 0x576dfcb6
	v_fmac_f64_e32 v[52:53], v[22:23], v[50:51]
	v_mov_b32_e32 v50, 0x660b4003
	v_mov_b32_e32 v51, 0x4363a94b
	s_mov_b32 s9, 0x40904522
	v_fmac_f64_e32 v[50:51], v[22:23], v[52:53]
	v_add_f64 v[30:31], v[30:31], s[8:9]
	v_mov_b32_e32 v52, 0xa907bc0c
	v_mov_b32_e32 v53, 0x41231b76
	v_fmac_f64_e32 v[52:53], v[22:23], v[30:31]
	v_mov_b32_e32 v30, 0x5164d101
	v_mov_b32_e32 v31, 0x41b00763
	v_fmac_f64_e32 v[30:31], v[22:23], v[52:53]
	;; [unrolled: 3-line block ×7, first 2 shown]
	v_div_scale_f64 v[22:23], s[8:9], v[30:31], v[30:31], v[52:53]
	v_rcp_f64_e32 v[50:51], v[22:23]
	s_mov_b32 s8, 0x55555555
	s_mov_b32 s9, 0x3fe55555
	v_frexp_exp_i32_f64_e32 v49, v[36:37]
	v_fma_f64 v[54:55], -v[22:23], v[50:51], 1.0
	v_fmac_f64_e32 v[50:51], v[50:51], v[54:55]
	v_fma_f64 v[54:55], -v[22:23], v[50:51], 1.0
	v_fmac_f64_e32 v[50:51], v[50:51], v[54:55]
	v_div_scale_f64 v[54:55], vcc, v[52:53], v[30:31], v[52:53]
	v_mul_f64 v[64:65], v[54:55], v[50:51]
	v_fma_f64 v[22:23], -v[22:23], v[64:65], v[54:55]
	s_nop 1
	v_div_fmas_f64 v[22:23], v[22:23], v[50:51], v[64:65]
	v_div_fixup_f64 v[22:23], v[22:23], v[30:31], v[52:53]
	v_frexp_mant_f64_e32 v[30:31], v[36:37]
	v_mov_b32_e32 v50, 0x3ff00000
	v_cmp_gt_f64_e32 vcc, s[8:9], v[30:31]
	s_mov_b32 s8, 0xbf559e2b
	s_mov_b32 s9, 0x3fc3ab76
	v_cndmask_b32_e64 v51, v50, 2.0, vcc
	v_mov_b32_e32 v50, 0
	v_mul_f64 v[30:31], v[30:31], v[50:51]
	v_add_f64 v[50:51], v[30:31], 1.0
	v_rcp_f64_e32 v[52:53], v[50:51]
	v_add_f64 v[64:65], v[50:51], -1.0
	v_add_f64 v[54:55], v[30:31], -1.0
	v_add_f64 v[30:31], v[30:31], -v[64:65]
	v_fma_f64 v[64:65], -v[50:51], v[52:53], 1.0
	v_fmac_f64_e32 v[52:53], v[64:65], v[52:53]
	v_fma_f64 v[64:65], -v[50:51], v[52:53], 1.0
	v_fmac_f64_e32 v[52:53], v[64:65], v[52:53]
	v_mul_f64 v[64:65], v[54:55], v[52:53]
	v_mul_f64 v[66:67], v[50:51], v[64:65]
	v_fma_f64 v[50:51], v[64:65], v[50:51], -v[66:67]
	v_fmac_f64_e32 v[50:51], v[64:65], v[30:31]
	v_add_f64 v[30:31], v[66:67], v[50:51]
	v_add_f64 v[68:69], v[54:55], -v[30:31]
	v_add_f64 v[66:67], v[30:31], -v[66:67]
	;; [unrolled: 1-line block ×5, first 2 shown]
	v_add_f64 v[30:31], v[50:51], v[30:31]
	v_add_f64 v[30:31], v[68:69], v[30:31]
	v_mul_f64 v[30:31], v[52:53], v[30:31]
	v_add_f64 v[50:51], v[64:65], v[30:31]
	v_add_f64 v[52:53], v[50:51], -v[64:65]
	v_add_f64 v[30:31], v[30:31], -v[52:53]
	v_mul_f64 v[52:53], v[50:51], v[50:51]
	v_mov_b32_e32 v54, 0x6b47b09a
	v_mov_b32_e32 v55, 0x3fc38538
	v_fmac_f64_e32 v[54:55], s[8:9], v[52:53]
	v_mov_b32_e32 v64, 0xd7f4df2e
	v_mov_b32_e32 v65, 0x3fc7474d
	v_fmac_f64_e32 v[64:65], v[52:53], v[54:55]
	;; [unrolled: 3-line block ×6, first 2 shown]
	v_ldexp_f64 v[54:55], v[50:51], 1
	v_mul_f64 v[50:51], v[50:51], v[52:53]
	v_mul_f64 v[50:51], v[50:51], v[64:65]
	v_add_f64 v[52:53], v[54:55], v[50:51]
	v_add_f64 v[54:55], v[52:53], -v[54:55]
	v_ldexp_f64 v[30:31], v[30:31], 1
	v_add_f64 v[50:51], v[50:51], -v[54:55]
	v_add_f64 v[30:31], v[30:31], v[50:51]
	v_add_f64 v[50:51], v[52:53], v[30:31]
	v_subbrev_co_u32_e32 v49, vcc, 0, v49, vcc
	v_add_f64 v[52:53], v[50:51], -v[52:53]
	s_mov_b32 s8, 0xfefa39ef
	v_add_f64 v[30:31], v[30:31], -v[52:53]
	v_cvt_f64_i32_e32 v[52:53], v49
	s_mov_b32 s9, 0x3fe62e42
	v_mul_f64 v[54:55], v[52:53], s[8:9]
	v_fma_f64 v[64:65], v[52:53], s[8:9], -v[54:55]
	s_mov_b32 s8, 0x3b39803f
	s_mov_b32 s9, 0x3c7abc9e
	v_fmac_f64_e32 v[64:65], s[8:9], v[52:53]
	v_add_f64 v[52:53], v[54:55], v[64:65]
	v_add_f64 v[54:55], v[52:53], -v[54:55]
	v_add_f64 v[54:55], v[64:65], -v[54:55]
	v_add_f64 v[64:65], v[52:53], v[50:51]
	v_add_f64 v[66:67], v[64:65], -v[52:53]
	v_add_f64 v[68:69], v[64:65], -v[66:67]
	;; [unrolled: 1-line block ×4, first 2 shown]
	v_add_f64 v[50:51], v[50:51], v[52:53]
	v_add_f64 v[52:53], v[54:55], v[30:31]
	v_add_f64 v[66:67], v[52:53], -v[54:55]
	v_add_f64 v[68:69], v[52:53], -v[66:67]
	v_add_f64 v[50:51], v[52:53], v[50:51]
	v_add_f64 v[54:55], v[54:55], -v[68:69]
	v_add_f64 v[30:31], v[30:31], -v[66:67]
	v_add_f64 v[52:53], v[64:65], v[50:51]
	v_add_f64 v[30:31], v[30:31], v[54:55]
	v_add_f64 v[54:55], v[52:53], -v[64:65]
	v_add_f64 v[50:51], v[50:51], -v[54:55]
	v_add_f64 v[30:31], v[30:31], v[50:51]
	s_mov_b32 s8, 0x6dc9c883
	v_add_f64 v[30:31], v[52:53], v[30:31]
	s_mov_b32 s9, 0x3fe45f30
	v_mul_f64 v[30:31], v[30:31], s[8:9]
	v_fmac_f64_e32 v[22:23], v[30:31], v[24:25]
.LBB1_88:
	s_or_b64 exec, exec, s[6:7]
.LBB1_89:
	s_or_b64 exec, exec, s[4:5]
.LBB1_90:
	s_andn2_saveexec_b64 s[4:5], s[0:1]
	s_cbranch_execz .LBB1_100
; %bb.91:
	s_mov_b32 s9, 0xbfe921fb
	s_mov_b32 s8, 0x54442d18
	;; [unrolled: 1-line block ×3, first 2 shown]
	v_add_f64 v[22:23], v[36:37], s[8:9]
	s_mov_b32 s1, 0x41d00000
	v_cmp_nlt_f64_e64 s[6:7], |v[22:23]|, s[0:1]
	v_trig_preop_f64 v[66:67], |v[22:23]|, 0
	v_trig_preop_f64 v[64:65], |v[22:23]|, 1
	;; [unrolled: 1-line block ×3, first 2 shown]
                                        ; implicit-def: $vgpr49
                                        ; implicit-def: $vgpr24_vgpr25
                                        ; implicit-def: $vgpr30_vgpr31
	s_and_saveexec_b64 s[0:1], s[6:7]
	s_xor_b64 s[10:11], exec, s[0:1]
	s_cbranch_execz .LBB1_93
; %bb.92:
	s_mov_b32 s0, 0
	s_mov_b32 s1, 0x7b000000
	s_movk_i32 s9, 0xff80
	v_and_b32_e32 v30, 0x7fffffff, v23
	v_ldexp_f64 v[24:25], |v[22:23]|, s9
	v_cmp_ge_f64_e64 vcc, |v[22:23]|, s[0:1]
	s_mov_b32 s0, 0
	s_mov_b32 s1, 0x7ff00000
	v_cndmask_b32_e32 v25, v30, v25, vcc
	v_cndmask_b32_e32 v24, v22, v24, vcc
	v_mul_f64 v[50:51], v[66:67], v[24:25]
	v_mul_f64 v[30:31], v[64:65], v[24:25]
	v_fma_f64 v[52:53], v[66:67], v[24:25], -v[50:51]
	v_add_f64 v[68:69], v[30:31], v[52:53]
	v_add_f64 v[70:71], v[50:51], v[68:69]
	v_ldexp_f64 v[80:81], v[70:71], -2
	v_fract_f64_e32 v[82:83], v[80:81]
	v_cmp_neq_f64_e64 vcc, |v[80:81]|, s[0:1]
	v_add_f64 v[50:51], v[70:71], -v[50:51]
	v_add_f64 v[50:51], v[68:69], -v[50:51]
	v_cndmask_b32_e32 v81, 0, v83, vcc
	v_cndmask_b32_e32 v80, 0, v82, vcc
	v_add_f64 v[82:83], v[68:69], -v[30:31]
	v_add_f64 v[52:53], v[52:53], -v[82:83]
	;; [unrolled: 1-line block ×4, first 2 shown]
	v_add_f64 v[52:53], v[52:53], v[82:83]
	v_fma_f64 v[30:31], v[64:65], v[24:25], -v[30:31]
	v_mul_f64 v[82:83], v[54:55], v[24:25]
	v_add_f64 v[86:87], v[82:83], v[30:31]
	v_add_f64 v[96:97], v[86:87], v[52:53]
	v_add_f64 v[70:71], v[96:97], -v[86:87]
	v_add_f64 v[52:53], v[52:53], -v[70:71]
	;; [unrolled: 1-line block ×4, first 2 shown]
	v_add_f64 v[52:53], v[52:53], v[70:71]
	v_add_f64 v[70:71], v[86:87], -v[82:83]
	v_add_f64 v[30:31], v[30:31], -v[70:71]
	;; [unrolled: 1-line block ×4, first 2 shown]
	v_add_f64 v[68:69], v[50:51], v[96:97]
	v_add_f64 v[30:31], v[30:31], v[70:71]
	v_add_f64 v[50:51], v[68:69], -v[50:51]
	v_add_f64 v[30:31], v[30:31], v[52:53]
	v_fma_f64 v[24:25], v[54:55], v[24:25], -v[82:83]
	v_add_f64 v[50:51], v[96:97], -v[50:51]
	v_add_f64 v[24:25], v[24:25], v[30:31]
	v_ldexp_f64 v[30:31], v[80:81], 2
	v_add_f64 v[24:25], v[50:51], v[24:25]
	v_add_f64 v[50:51], v[68:69], v[30:31]
	v_mov_b32_e32 v49, 0x40100000
	v_cmp_gt_f64_e32 vcc, 0, v[50:51]
	v_mov_b32_e32 v84, 0
	s_mov_b32 s9, 0x3ff921fb
	v_cndmask_b32_e32 v85, 0, v49, vcc
	v_add_f64 v[30:31], v[30:31], v[84:85]
	v_add_f64 v[50:51], v[68:69], v[30:31]
	v_cvt_i32_f64_e32 v49, v[50:51]
	v_cvt_f64_i32_e32 v[50:51], v49
	v_add_f64 v[30:31], v[30:31], -v[50:51]
	v_add_f64 v[50:51], v[68:69], v[30:31]
	v_add_f64 v[30:31], v[50:51], -v[30:31]
	v_add_f64 v[30:31], v[68:69], -v[30:31]
	v_add_f64 v[24:25], v[24:25], v[30:31]
	v_cmp_le_f64_e32 vcc, 0.5, v[50:51]
	v_mov_b32_e32 v30, 0x3ff00000
	s_nop 0
	v_cndmask_b32_e32 v85, 0, v30, vcc
	v_add_f64 v[30:31], v[50:51], -v[84:85]
	v_add_f64 v[50:51], v[30:31], v[24:25]
	v_addc_co_u32_e64 v49, s[0:1], 0, v49, vcc
	v_add_f64 v[30:31], v[50:51], -v[30:31]
	v_add_f64 v[24:25], v[24:25], -v[30:31]
	v_mul_f64 v[30:31], v[50:51], s[8:9]
	s_mov_b32 s0, 0x33145c07
	v_fma_f64 v[52:53], v[50:51], s[8:9], -v[30:31]
	s_mov_b32 s1, 0x3c91a626
	v_fmac_f64_e32 v[52:53], s[0:1], v[50:51]
	v_fmac_f64_e32 v[52:53], s[8:9], v[24:25]
	v_add_f64 v[24:25], v[30:31], v[52:53]
	v_add_f64 v[30:31], v[24:25], -v[30:31]
	v_add_f64 v[30:31], v[52:53], -v[30:31]
	s_andn2_saveexec_b64 s[0:1], s[10:11]
	s_cbranch_execz .LBB1_95
	s_branch .LBB1_94
.LBB1_93:
	s_andn2_saveexec_b64 s[0:1], s[10:11]
	s_cbranch_execz .LBB1_95
.LBB1_94:
	s_mov_b32 s8, 0x6dc9c883
	s_mov_b32 s9, 0x3fe45f30
	v_mul_f64 v[24:25], |v[22:23]|, s[8:9]
	s_mov_b32 s8, 0x54442d18
	v_rndne_f64_e32 v[50:51], v[24:25]
	s_mov_b32 s9, 0xbff921fb
	v_fma_f64 v[24:25], v[50:51], s[8:9], |v[22:23]|
	s_mov_b32 s9, 0xbc91a626
	s_mov_b32 s8, 0x33145c00
	v_mul_f64 v[52:53], v[50:51], s[8:9]
	v_add_f64 v[70:71], v[24:25], v[52:53]
	v_fma_f64 v[30:31], s[8:9], v[50:51], v[24:25]
	s_mov_b32 s9, 0x3c91a626
	v_add_f64 v[24:25], v[24:25], -v[70:71]
	v_fma_f64 v[68:69], s[8:9], v[50:51], v[52:53]
	v_add_f64 v[24:25], v[24:25], v[52:53]
	v_add_f64 v[52:53], v[70:71], -v[30:31]
	v_add_f64 v[24:25], v[52:53], v[24:25]
	s_mov_b32 s8, 0x252049c0
	v_add_f64 v[52:53], v[24:25], -v[68:69]
	s_mov_b32 s9, 0xb97b839a
	v_fmac_f64_e32 v[52:53], s[8:9], v[50:51]
	v_add_f64 v[24:25], v[30:31], v[52:53]
	v_add_f64 v[30:31], v[24:25], -v[30:31]
	v_add_f64 v[30:31], v[52:53], -v[30:31]
	v_cvt_i32_f64_e32 v49, v[50:51]
.LBB1_95:
	s_or_b64 exec, exec, s[0:1]
                                        ; implicit-def: $vgpr68
                                        ; implicit-def: $vgpr50_vgpr51
                                        ; implicit-def: $vgpr52_vgpr53
	s_and_saveexec_b64 s[0:1], s[6:7]
	s_xor_b64 s[6:7], exec, s[0:1]
	s_cbranch_execz .LBB1_97
; %bb.96:
	s_mov_b32 s0, 0
	s_mov_b32 s1, 0x7b000000
	s_movk_i32 s8, 0xff80
	v_and_b32_e32 v52, 0x7fffffff, v23
	v_ldexp_f64 v[50:51], |v[22:23]|, s8
	v_cmp_ge_f64_e64 vcc, |v[22:23]|, s[0:1]
	s_mov_b32 s0, 0
	s_mov_b32 s1, 0x7ff00000
	v_cndmask_b32_e32 v51, v52, v51, vcc
	v_cndmask_b32_e32 v50, v22, v50, vcc
	v_mul_f64 v[68:69], v[66:67], v[50:51]
	v_mul_f64 v[52:53], v[64:65], v[50:51]
	v_fma_f64 v[66:67], v[66:67], v[50:51], -v[68:69]
	v_add_f64 v[70:71], v[52:53], v[66:67]
	v_add_f64 v[80:81], v[68:69], v[70:71]
	v_ldexp_f64 v[82:83], v[80:81], -2
	v_fract_f64_e32 v[84:85], v[82:83]
	v_cmp_neq_f64_e64 vcc, |v[82:83]|, s[0:1]
	v_add_f64 v[68:69], v[80:81], -v[68:69]
	v_add_f64 v[68:69], v[70:71], -v[68:69]
	v_cndmask_b32_e32 v83, 0, v85, vcc
	v_cndmask_b32_e32 v82, 0, v84, vcc
	v_add_f64 v[84:85], v[70:71], -v[52:53]
	v_add_f64 v[66:67], v[66:67], -v[84:85]
	;; [unrolled: 1-line block ×4, first 2 shown]
	v_fma_f64 v[52:53], v[64:65], v[50:51], -v[52:53]
	v_mul_f64 v[64:65], v[54:55], v[50:51]
	v_add_f64 v[66:67], v[66:67], v[84:85]
	v_add_f64 v[84:85], v[64:65], v[52:53]
	;; [unrolled: 1-line block ×3, first 2 shown]
	v_add_f64 v[80:81], v[96:97], -v[84:85]
	v_add_f64 v[66:67], v[66:67], -v[80:81]
	;; [unrolled: 1-line block ×4, first 2 shown]
	v_add_f64 v[66:67], v[66:67], v[80:81]
	v_add_f64 v[80:81], v[84:85], -v[64:65]
	v_add_f64 v[52:53], v[52:53], -v[80:81]
	;; [unrolled: 1-line block ×4, first 2 shown]
	v_add_f64 v[52:53], v[52:53], v[80:81]
	v_add_f64 v[52:53], v[52:53], v[66:67]
	v_fma_f64 v[50:51], v[54:55], v[50:51], -v[64:65]
	v_add_f64 v[70:71], v[68:69], v[96:97]
	v_add_f64 v[50:51], v[50:51], v[52:53]
	v_ldexp_f64 v[52:53], v[82:83], 2
	v_add_f64 v[54:55], v[70:71], v[52:53]
	v_mov_b32_e32 v64, 0x40100000
	v_cmp_gt_f64_e32 vcc, 0, v[54:55]
	v_mov_b32_e32 v86, 0
	v_add_f64 v[68:69], v[70:71], -v[68:69]
	v_cndmask_b32_e32 v87, 0, v64, vcc
	v_add_f64 v[52:53], v[52:53], v[86:87]
	v_add_f64 v[54:55], v[70:71], v[52:53]
	v_cvt_i32_f64_e32 v64, v[54:55]
	v_cvt_f64_i32_e32 v[54:55], v64
	v_add_f64 v[52:53], v[52:53], -v[54:55]
	v_add_f64 v[54:55], v[70:71], v[52:53]
	v_add_f64 v[68:69], v[96:97], -v[68:69]
	v_add_f64 v[52:53], v[54:55], -v[52:53]
	v_add_f64 v[50:51], v[68:69], v[50:51]
	v_add_f64 v[52:53], v[70:71], -v[52:53]
	v_add_f64 v[50:51], v[50:51], v[52:53]
	v_cmp_le_f64_e32 vcc, 0.5, v[54:55]
	v_mov_b32_e32 v52, 0x3ff00000
	s_mov_b32 s8, 0x33145c07
	v_cndmask_b32_e32 v87, 0, v52, vcc
	v_addc_co_u32_e64 v68, s[0:1], 0, v64, vcc
	v_add_f64 v[52:53], v[54:55], -v[86:87]
	v_add_f64 v[54:55], v[52:53], v[50:51]
	s_mov_b32 s0, 0x54442d18
	v_add_f64 v[52:53], v[54:55], -v[52:53]
	s_mov_b32 s1, 0x3ff921fb
	v_add_f64 v[50:51], v[50:51], -v[52:53]
	v_mul_f64 v[52:53], v[54:55], s[0:1]
	v_fma_f64 v[64:65], v[54:55], s[0:1], -v[52:53]
	s_mov_b32 s9, 0x3c91a626
	v_fmac_f64_e32 v[64:65], s[8:9], v[54:55]
	v_fmac_f64_e32 v[64:65], s[0:1], v[50:51]
	v_add_f64 v[50:51], v[52:53], v[64:65]
	v_add_f64 v[52:53], v[50:51], -v[52:53]
	v_add_f64 v[52:53], v[64:65], -v[52:53]
	s_andn2_saveexec_b64 s[0:1], s[6:7]
	s_cbranch_execnz .LBB1_98
	s_branch .LBB1_99
.LBB1_97:
	s_andn2_saveexec_b64 s[0:1], s[6:7]
	s_cbranch_execz .LBB1_99
.LBB1_98:
	s_mov_b32 s6, 0x6dc9c883
	s_mov_b32 s7, 0x3fe45f30
	v_mul_f64 v[50:51], |v[22:23]|, s[6:7]
	s_mov_b32 s6, 0x54442d18
	v_rndne_f64_e32 v[54:55], v[50:51]
	s_mov_b32 s7, 0xbff921fb
	v_fma_f64 v[50:51], v[54:55], s[6:7], |v[22:23]|
	s_mov_b32 s7, 0xbc91a626
	s_mov_b32 s6, 0x33145c00
	v_mul_f64 v[64:65], v[54:55], s[6:7]
	v_add_f64 v[68:69], v[50:51], v[64:65]
	v_fma_f64 v[52:53], s[6:7], v[54:55], v[50:51]
	s_mov_b32 s7, 0x3c91a626
	v_add_f64 v[50:51], v[50:51], -v[68:69]
	v_fma_f64 v[66:67], s[6:7], v[54:55], v[64:65]
	v_add_f64 v[50:51], v[50:51], v[64:65]
	v_add_f64 v[64:65], v[68:69], -v[52:53]
	v_add_f64 v[50:51], v[64:65], v[50:51]
	s_mov_b32 s6, 0x252049c0
	v_add_f64 v[64:65], v[50:51], -v[66:67]
	s_mov_b32 s7, 0xb97b839a
	v_fmac_f64_e32 v[64:65], s[6:7], v[54:55]
	v_add_f64 v[50:51], v[52:53], v[64:65]
	v_add_f64 v[52:53], v[50:51], -v[52:53]
	v_add_f64 v[52:53], v[64:65], -v[52:53]
	v_cvt_i32_f64_e32 v68, v[54:55]
.LBB1_99:
	s_or_b64 exec, exec, s[0:1]
	s_mov_b32 s0, 0
	v_mul_f64 v[54:55], v[36:37], v[36:37]
	s_mov_b32 s1, 0x40390000
	v_div_scale_f64 v[64:65], s[6:7], v[54:55], v[54:55], s[0:1]
	v_rcp_f64_e32 v[66:67], v[64:65]
	v_mov_b32_e32 v82, 0xb1759c7f
	v_mov_b32_e32 v83, 0x408ac370
	;; [unrolled: 1-line block ×3, first 2 shown]
	v_fma_f64 v[70:71], -v[64:65], v[66:67], 1.0
	v_fmac_f64_e32 v[66:67], v[66:67], v[70:71]
	v_fma_f64 v[70:71], -v[64:65], v[66:67], 1.0
	v_fmac_f64_e32 v[66:67], v[66:67], v[70:71]
	v_div_scale_f64 v[70:71], vcc, s[0:1], v[54:55], s[0:1]
	v_mul_f64 v[80:81], v[70:71], v[66:67]
	v_fma_f64 v[64:65], -v[64:65], v[80:81], v[70:71]
	v_mov_b32_e32 v70, 0xab5454e3
	s_nop 0
	v_div_fmas_f64 v[64:65], v[64:65], v[66:67], v[80:81]
	v_div_fixup_f64 v[54:55], v[64:65], v[54:55], s[0:1]
	v_mov_b32_e32 v64, 0x983b6b27
	v_mov_b32_e32 v65, 0x3f4a1d30
	v_fmac_f64_e32 v[64:65], 0, v[54:55]
	v_mov_b32_e32 v66, 0xb35dd1cf
	v_mov_b32_e32 v67, 0x3fb534b0
	v_fmac_f64_e32 v[66:67], v[54:55], v[64:65]
	;; [unrolled: 3-line block ×7, first 2 shown]
	v_mov_b32_e32 v71, 0x3fb5ebc5
	v_fmac_f64_e32 v[70:71], v[54:55], v[64:65]
	v_mov_b32_e32 v64, 0xc9b3069f
	v_mov_b32_e32 v65, 0x3ff40e72
	v_fmac_f64_e32 v[64:65], v[54:55], v[70:71]
	v_mov_b32_e32 v70, 0xe68162bb
	v_mov_b32_e32 v71, 0x4015e247
	v_fmac_f64_e32 v[70:71], v[54:55], v[64:65]
	v_mov_b32_e32 v64, 0xea1b21a1
	v_mov_b32_e32 v65, 0x40218618
	v_fmac_f64_e32 v[64:65], v[54:55], v[70:71]
	v_mov_b32_e32 v70, 0xed423a19
	v_mov_b32_e32 v71, 0x40153965
	v_fmac_f64_e32 v[70:71], v[54:55], v[64:65]
	v_fma_f64 v[64:65], v[54:55], v[70:71], 1.0
	v_mov_b32_e32 v70, 0x38a5384a
	v_mov_b32_e32 v71, 0xbf874742
	v_fmac_f64_e32 v[70:71], 0, v[54:55]
	v_mov_b32_e32 v80, 0x3a321174
	v_mov_b32_e32 v81, 0xbff4853b
	v_fmac_f64_e32 v[80:81], v[54:55], v[70:71]
	;; [unrolled: 3-line block ×9, first 2 shown]
	v_fmac_f64_e32 v[82:83], v[54:55], v[70:71]
	v_mov_b32_e32 v70, 0xbd748cb5
	v_mov_b32_e32 v71, 0x40ae54cd
	v_fmac_f64_e32 v[70:71], v[54:55], v[82:83]
	v_mov_b32_e32 v82, 0xbdefd63e
	v_mov_b32_e32 v83, 0x40bc4877
	;; [unrolled: 3-line block ×4, first 2 shown]
	v_fma_f64 v[66:67], v[54:55], v[66:67], 1.0
	v_fmac_f64_e32 v[82:83], v[54:55], v[70:71]
	v_div_scale_f64 v[70:71], s[0:1], v[64:65], v[64:65], v[66:67]
	v_rcp_f64_e32 v[84:85], v[70:71]
	v_mov_b32_e32 v87, 0x406e402f
	v_fmac_f64_e32 v[86:87], v[54:55], v[82:83]
	s_mov_b32 s0, 0x9037ab78
	v_fma_f64 v[54:55], -v[70:71], v[84:85], 1.0
	v_fmac_f64_e32 v[84:85], v[84:85], v[54:55]
	v_fma_f64 v[54:55], -v[70:71], v[84:85], 1.0
	v_fmac_f64_e32 v[84:85], v[84:85], v[54:55]
	v_div_scale_f64 v[54:55], vcc, v[66:67], v[64:65], v[66:67]
	v_mul_f64 v[82:83], v[54:55], v[84:85]
	v_fma_f64 v[54:55], -v[70:71], v[82:83], v[54:55]
	s_mov_b32 s1, 0x3e21eeb6
	s_nop 0
	v_div_fmas_f64 v[54:55], v[54:55], v[84:85], v[82:83]
	s_mov_b32 s6, 0x46cc5e42
	v_div_fixup_f64 v[54:55], v[54:55], v[64:65], v[66:67]
	v_mul_f64 v[64:65], v[24:25], v[24:25]
	s_mov_b32 s7, 0xbda907db
	v_mov_b64_e32 v[84:85], s[0:1]
	s_mov_b32 s8, 0xa17f65f6
	v_mul_f64 v[66:67], v[64:65], 0.5
	v_fma_f64 v[96:97], s[6:7], v[64:65], v[84:85]
	s_mov_b32 s9, 0xbe927e4f
	s_mov_b32 s10, 0x19f4ec90
	v_add_f64 v[70:71], -v[66:67], 1.0
	v_fma_f64 v[96:97], v[64:65], v[96:97], s[8:9]
	s_mov_b32 s11, 0x3efa01a0
	s_mov_b32 s12, 0x16c16967
	v_add_f64 v[82:83], -v[70:71], 1.0
	v_fma_f64 v[96:97], v[64:65], v[96:97], s[10:11]
	s_mov_b32 s13, 0xbf56c16c
	s_mov_b32 s14, 0x55555555
	v_add_f64 v[66:67], v[82:83], -v[66:67]
	v_fma_f64 v[96:97], v[64:65], v[96:97], s[12:13]
	s_mov_b32 s15, 0x3fa55555
	v_mul_f64 v[82:83], v[64:65], v[64:65]
	v_fma_f64 v[96:97], v[64:65], v[96:97], s[14:15]
	v_fma_f64 v[66:67], v[24:25], -v[30:31], v[66:67]
	s_mov_b32 s0, 0xb42fdfa7
	v_fmac_f64_e32 v[66:67], v[82:83], v[96:97]
	s_mov_b32 s1, 0xbe5ae600
	s_mov_b32 s16, 0xf9a43bb8
	v_add_f64 v[66:67], v[70:71], v[66:67]
	s_mov_b32 s17, 0x3de5e0b2
	v_mov_b64_e32 v[70:71], s[0:1]
	s_mov_b32 s18, 0x796cde01
	v_fma_f64 v[82:83], s[16:17], v[64:65], v[70:71]
	s_mov_b32 s19, 0x3ec71de3
	s_mov_b32 s20, 0x19e83e5c
	v_fma_f64 v[82:83], v[64:65], v[82:83], s[18:19]
	s_mov_b32 s21, 0xbf2a01a0
	;; [unrolled: 3-line block ×3, first 2 shown]
	v_fma_f64 v[82:83], v[64:65], v[82:83], s[22:23]
	v_mul_f64 v[96:97], v[24:25], -v[64:65]
	v_mul_f64 v[98:99], v[30:31], 0.5
	v_fmac_f64_e32 v[98:99], v[96:97], v[82:83]
	v_fma_f64 v[30:31], v[64:65], v[98:99], -v[30:31]
	s_mov_b32 s25, 0xbfc55555
	s_mov_b32 s24, s14
	v_fmac_f64_e32 v[30:31], s[24:25], v[96:97]
	v_add_f64 v[24:25], v[24:25], -v[30:31]
	v_and_b32_e32 v30, 1, v49
	v_cmp_eq_u32_e32 vcc, 0, v30
	s_mov_b32 s26, 0
	s_mov_b32 s27, 0x40140000
	v_cndmask_b32_e32 v64, v66, v24, vcc
	v_cndmask_b32_e32 v24, v67, v25, vcc
	v_lshlrev_b32_e32 v25, 30, v49
	v_xor_b32_e32 v25, v25, v23
	v_and_b32_e32 v25, 0x80000000, v25
	v_xor_b32_e32 v49, v24, v25
	v_div_scale_f64 v[24:25], s[0:1], v[36:37], v[36:37], s[26:27]
	v_rcp_f64_e32 v[30:31], v[24:25]
	s_movk_i32 s28, 0x1f8
	v_cmp_class_f64_e64 s[0:1], v[22:23], s28
	v_mov_b32_e32 v69, 0x7ff80000
	s_nop 0
	v_cndmask_b32_e64 v22, 0, v64, s[0:1]
	v_fma_f64 v[64:65], -v[24:25], v[30:31], 1.0
	v_fmac_f64_e32 v[30:31], v[30:31], v[64:65]
	v_fma_f64 v[64:65], -v[24:25], v[30:31], 1.0
	v_fmac_f64_e32 v[30:31], v[30:31], v[64:65]
	v_div_scale_f64 v[64:65], vcc, s[26:27], v[36:37], s[26:27]
	v_mul_f64 v[66:67], v[64:65], v[30:31]
	v_fma_f64 v[24:25], -v[24:25], v[66:67], v[64:65]
	v_div_scale_f64 v[64:65], s[28:29], v[86:87], v[86:87], v[80:81]
	v_rcp_f64_e32 v[82:83], v[64:65]
	v_div_fmas_f64 v[24:25], v[24:25], v[30:31], v[66:67]
	v_div_fixup_f64 v[24:25], v[24:25], v[36:37], s[26:27]
	v_cndmask_b32_e64 v23, v69, v49, s[0:1]
	v_fma_f64 v[30:31], -v[64:65], v[82:83], 1.0
	v_fmac_f64_e32 v[82:83], v[82:83], v[30:31]
	v_fma_f64 v[30:31], -v[64:65], v[82:83], 1.0
	v_fmac_f64_e32 v[82:83], v[82:83], v[30:31]
	v_div_scale_f64 v[30:31], vcc, v[80:81], v[86:87], v[80:81]
	v_mul_f64 v[66:67], v[30:31], v[82:83]
	v_fma_f64 v[30:31], -v[64:65], v[66:67], v[30:31]
	v_and_b32_e32 v49, 1, v68
	s_nop 0
	v_div_fmas_f64 v[30:31], v[30:31], v[82:83], v[66:67]
	v_div_fixup_f64 v[30:31], v[30:31], v[86:87], v[80:81]
	v_mul_f64 v[24:25], v[24:25], v[30:31]
	v_mul_f64 v[30:31], v[50:51], v[50:51]
	v_mul_f64 v[64:65], v[30:31], 0.5
	v_fmac_f64_e32 v[84:85], s[6:7], v[30:31]
	v_add_f64 v[66:67], -v[64:65], 1.0
	v_fma_f64 v[82:83], v[30:31], v[84:85], s[8:9]
	v_add_f64 v[80:81], -v[66:67], 1.0
	v_fma_f64 v[82:83], v[30:31], v[82:83], s[10:11]
	v_add_f64 v[64:65], v[80:81], -v[64:65]
	v_fma_f64 v[82:83], v[30:31], v[82:83], s[12:13]
	v_mul_f64 v[80:81], v[30:31], v[30:31]
	v_fma_f64 v[82:83], v[30:31], v[82:83], s[14:15]
	v_fma_f64 v[64:65], v[50:51], -v[52:53], v[64:65]
	v_fmac_f64_e32 v[64:65], v[80:81], v[82:83]
	v_fmac_f64_e32 v[70:71], s[16:17], v[30:31]
	v_add_f64 v[64:65], v[66:67], v[64:65]
	v_fma_f64 v[66:67], v[30:31], v[70:71], s[18:19]
	v_fma_f64 v[66:67], v[30:31], v[66:67], s[20:21]
	;; [unrolled: 1-line block ×3, first 2 shown]
	v_mul_f64 v[70:71], v[50:51], -v[30:31]
	v_mul_f64 v[80:81], v[52:53], 0.5
	v_fmac_f64_e32 v[80:81], v[70:71], v[66:67]
	v_fma_f64 v[30:31], v[30:31], v[80:81], -v[52:53]
	v_fmac_f64_e32 v[30:31], s[24:25], v[70:71]
	v_add_f64 v[30:31], v[50:51], -v[30:31]
	v_xor_b32_e32 v31, 0x80000000, v31
	v_cmp_eq_u32_e32 vcc, 0, v49
	v_lshlrev_b32_e32 v49, 30, v68
	v_and_b32_e32 v49, 0x80000000, v49
	v_cndmask_b32_e32 v31, v31, v65, vcc
	v_cndmask_b32_e32 v30, v30, v64, vcc
	v_xor_b32_e32 v31, v31, v49
	v_cndmask_b32_e64 v30, 0, v30, s[0:1]
	v_cndmask_b32_e64 v31, v69, v31, s[0:1]
	s_mov_b32 s0, 0
	s_brev_b32 s1, 8
	v_mul_f64 v[24:25], v[24:25], v[30:31]
	v_cmp_gt_f64_e32 vcc, s[0:1], v[36:37]
	v_fmac_f64_e32 v[24:25], v[54:55], v[22:23]
	s_mov_b32 s0, 0x33d43651
	v_cndmask_b32_e64 v22, 0, 1, vcc
	v_lshlrev_b32_e32 v22, 8, v22
	v_ldexp_f64 v[22:23], v[36:37], v22
	v_rsq_f64_e32 v[30:31], v[22:23]
	s_mov_b32 s1, 0x3fe98845
	v_mul_f64 v[24:25], v[24:25], s[0:1]
	v_mul_f64 v[36:37], v[22:23], v[30:31]
	v_mul_f64 v[30:31], v[30:31], 0.5
	v_fma_f64 v[50:51], -v[30:31], v[36:37], 0.5
	v_fmac_f64_e32 v[36:37], v[36:37], v[50:51]
	v_fma_f64 v[52:53], -v[36:37], v[36:37], v[22:23]
	v_fmac_f64_e32 v[30:31], v[30:31], v[50:51]
	v_fmac_f64_e32 v[36:37], v[52:53], v[30:31]
	v_fma_f64 v[50:51], -v[36:37], v[36:37], v[22:23]
	v_fmac_f64_e32 v[36:37], v[50:51], v[30:31]
	v_mov_b32_e32 v30, 0xffffff80
	v_cndmask_b32_e32 v30, 0, v30, vcc
	v_ldexp_f64 v[30:31], v[36:37], v30
	v_mov_b32_e32 v36, 0x260
	v_cmp_class_f64_e32 vcc, v[22:23], v36
	s_nop 1
	v_cndmask_b32_e32 v23, v31, v23, vcc
	v_cndmask_b32_e32 v22, v30, v22, vcc
	v_div_scale_f64 v[30:31], s[0:1], v[22:23], v[22:23], v[24:25]
	v_rcp_f64_e32 v[36:37], v[30:31]
	s_nop 0
	v_fma_f64 v[50:51], -v[30:31], v[36:37], 1.0
	v_fmac_f64_e32 v[36:37], v[36:37], v[50:51]
	v_fma_f64 v[50:51], -v[30:31], v[36:37], 1.0
	v_fmac_f64_e32 v[36:37], v[36:37], v[50:51]
	v_div_scale_f64 v[50:51], vcc, v[24:25], v[22:23], v[24:25]
	v_mul_f64 v[52:53], v[50:51], v[36:37]
	v_fma_f64 v[30:31], -v[30:31], v[52:53], v[50:51]
	s_nop 1
	v_div_fmas_f64 v[30:31], v[30:31], v[36:37], v[52:53]
	v_div_fixup_f64 v[22:23], v[30:31], v[22:23], v[24:25]
.LBB1_100:
	s_or_b64 exec, exec, s[4:5]
	s_mov_b32 s0, 0
	s_mov_b32 s1, 0x40140000
	v_cmp_ge_f64_e32 vcc, s[0:1], v[38:39]
	s_and_saveexec_b64 s[0:1], vcc
	s_xor_b64 s[0:1], exec, s[0:1]
	s_cbranch_execz .LBB1_110
; %bb.101:
	v_mov_b32_e32 v24, 0
	v_cmp_neq_f64_e32 vcc, 0, v[38:39]
	v_mov_b32_e32 v25, 0xfff00000
	s_and_saveexec_b64 s[4:5], vcc
	s_cbranch_execz .LBB1_109
; %bb.102:
	v_mov_b32_e32 v24, 0
	v_cmp_ngt_f64_e32 vcc, 0, v[38:39]
	v_mov_b32_e32 v25, 0x7ff80000
	s_and_saveexec_b64 s[6:7], vcc
	s_cbranch_execz .LBB1_108
; %bb.103:
	s_mov_b32 s8, 0x88e368f1
	v_mul_f64 v[24:25], v[38:39], v[38:39]
	s_mov_b32 s9, 0x3ee4f8b5
	v_mul_f64 v[36:37], v[24:25], 0
	v_cmp_ngt_f64_e32 vcc, s[8:9], v[38:39]
                                        ; implicit-def: $vgpr30_vgpr31
	s_and_saveexec_b64 s[8:9], vcc
	s_xor_b64 s[8:9], exec, s[8:9]
	s_cbranch_execz .LBB1_105
; %bb.104:
	s_mov_b32 s10, 0xad1c8325
	s_mov_b32 s11, 0xc1f1dc53
	v_add_f64 v[30:31], v[36:37], s[10:11]
	v_mov_b32_e32 v50, 0xc772990d
	v_mov_b32_e32 v51, 0x427c7751
	s_mov_b32 s10, 0xa696b78c
	v_fmac_f64_e32 v[50:51], v[24:25], v[30:31]
	v_mov_b32_e32 v30, 0xe0d900f7
	v_mov_b32_e32 v31, 0xc2ec5614
	s_mov_b32 s11, 0x407f3902
	v_fmac_f64_e32 v[30:31], v[24:25], v[50:51]
	v_add_f64 v[50:51], v[36:37], s[10:11]
	v_mov_b32_e32 v52, 0x36a21a67
	v_mov_b32_e32 v53, 0x410536cb
	v_fmac_f64_e32 v[52:53], v[24:25], v[50:51]
	v_mov_b32_e32 v50, 0x2eac0634
	v_mov_b32_e32 v51, 0x41871934
	v_fmac_f64_e32 v[50:51], v[24:25], v[52:53]
	;; [unrolled: 3-line block ×6, first 2 shown]
	v_mov_b32_e32 v52, 0xc7b662cc
	v_mov_b32_e32 v53, 0x43b7be34
	s_mov_b32 s10, 0x80462bbb
	v_fmac_f64_e32 v[52:53], v[24:25], v[50:51]
	v_mov_b32_e32 v50, 0x69ff5fb4
	v_mov_b32_e32 v51, 0x43413ef8
	s_mov_b32 s11, 0xc01721fb
	v_fmac_f64_e32 v[50:51], v[24:25], v[30:31]
	v_add_f64 v[30:31], v[24:25], s[10:11]
	s_mov_b32 s10, 0xa621dd6f
	s_mov_b32 s11, 0xc03e78a4
	v_add_f64 v[54:55], v[24:25], s[10:11]
	v_mul_f64 v[30:31], v[30:31], v[54:55]
	v_mul_f64 v[30:31], v[30:31], v[50:51]
	v_div_scale_f64 v[50:51], s[10:11], v[52:53], v[52:53], v[30:31]
	v_rcp_f64_e32 v[54:55], v[50:51]
	s_nop 0
	v_fma_f64 v[64:65], -v[50:51], v[54:55], 1.0
	v_fmac_f64_e32 v[54:55], v[54:55], v[64:65]
	v_fma_f64 v[64:65], -v[50:51], v[54:55], 1.0
	v_fmac_f64_e32 v[54:55], v[54:55], v[64:65]
	v_div_scale_f64 v[64:65], vcc, v[30:31], v[52:53], v[30:31]
	v_mul_f64 v[66:67], v[64:65], v[54:55]
	v_fma_f64 v[50:51], -v[50:51], v[66:67], v[64:65]
	s_nop 1
	v_div_fmas_f64 v[50:51], v[50:51], v[54:55], v[66:67]
	v_div_fixup_f64 v[30:31], v[50:51], v[52:53], v[30:31]
.LBB1_105:
	s_andn2_saveexec_b64 s[8:9], s[8:9]
; %bb.106:
	s_mov_b32 s10, 0
	s_mov_b32 s11, 0xbfd00000
	v_fma_f64 v[30:31], v[24:25], s[10:11], 1.0
; %bb.107:
	s_or_b64 exec, exec, s[8:9]
	s_mov_b32 s8, 0xe896898f
	s_mov_b32 s9, 0x40ce7437
	v_add_f64 v[50:51], v[36:37], s[8:9]
	v_mov_b32_e32 v52, 0x32e48896
	v_mov_b32_e32 v53, 0xc16bf81f
	v_fmac_f64_e32 v[52:53], v[24:25], v[50:51]
	v_mov_b32_e32 v50, 0xf0284cdd
	v_mov_b32_e32 v51, 0x41f43f78
	v_fmac_f64_e32 v[50:51], v[24:25], v[52:53]
	;; [unrolled: 3-line block ×4, first 2 shown]
	v_mov_b32_e32 v52, 0xd1d8cc02
	v_mov_b32_e32 v53, 0xc328a121
	s_mov_b32 s8, 0x576dfcb6
	v_fmac_f64_e32 v[52:53], v[24:25], v[50:51]
	v_mov_b32_e32 v50, 0x660b4003
	v_mov_b32_e32 v51, 0x4363a94b
	s_mov_b32 s9, 0x40904522
	v_fmac_f64_e32 v[50:51], v[24:25], v[52:53]
	v_add_f64 v[36:37], v[36:37], s[8:9]
	v_mov_b32_e32 v52, 0xa907bc0c
	v_mov_b32_e32 v53, 0x41231b76
	v_fmac_f64_e32 v[52:53], v[24:25], v[36:37]
	v_mov_b32_e32 v36, 0x5164d101
	v_mov_b32_e32 v37, 0x41b00763
	v_fmac_f64_e32 v[36:37], v[24:25], v[52:53]
	;; [unrolled: 3-line block ×7, first 2 shown]
	v_div_scale_f64 v[24:25], s[8:9], v[36:37], v[36:37], v[52:53]
	v_rcp_f64_e32 v[50:51], v[24:25]
	s_mov_b32 s8, 0x55555555
	s_mov_b32 s9, 0x3fe55555
	v_frexp_exp_i32_f64_e32 v49, v[38:39]
	v_fma_f64 v[54:55], -v[24:25], v[50:51], 1.0
	v_fmac_f64_e32 v[50:51], v[50:51], v[54:55]
	v_fma_f64 v[54:55], -v[24:25], v[50:51], 1.0
	v_fmac_f64_e32 v[50:51], v[50:51], v[54:55]
	v_div_scale_f64 v[54:55], vcc, v[52:53], v[36:37], v[52:53]
	v_mul_f64 v[64:65], v[54:55], v[50:51]
	v_fma_f64 v[24:25], -v[24:25], v[64:65], v[54:55]
	s_nop 1
	v_div_fmas_f64 v[24:25], v[24:25], v[50:51], v[64:65]
	v_div_fixup_f64 v[24:25], v[24:25], v[36:37], v[52:53]
	v_frexp_mant_f64_e32 v[36:37], v[38:39]
	v_mov_b32_e32 v38, 0x3ff00000
	v_cmp_gt_f64_e32 vcc, s[8:9], v[36:37]
	s_mov_b32 s8, 0xbf559e2b
	s_mov_b32 s9, 0x3fc3ab76
	v_cndmask_b32_e64 v39, v38, 2.0, vcc
	v_mov_b32_e32 v38, 0
	v_mul_f64 v[36:37], v[36:37], v[38:39]
	v_add_f64 v[38:39], v[36:37], 1.0
	v_rcp_f64_e32 v[50:51], v[38:39]
	v_add_f64 v[54:55], v[38:39], -1.0
	v_add_f64 v[52:53], v[36:37], -1.0
	v_add_f64 v[36:37], v[36:37], -v[54:55]
	v_fma_f64 v[54:55], -v[38:39], v[50:51], 1.0
	v_fmac_f64_e32 v[50:51], v[54:55], v[50:51]
	v_fma_f64 v[54:55], -v[38:39], v[50:51], 1.0
	v_fmac_f64_e32 v[50:51], v[54:55], v[50:51]
	v_mul_f64 v[54:55], v[52:53], v[50:51]
	v_mul_f64 v[64:65], v[38:39], v[54:55]
	v_fma_f64 v[38:39], v[54:55], v[38:39], -v[64:65]
	v_fmac_f64_e32 v[38:39], v[54:55], v[36:37]
	v_add_f64 v[36:37], v[64:65], v[38:39]
	v_add_f64 v[66:67], v[52:53], -v[36:37]
	v_add_f64 v[64:65], v[36:37], -v[64:65]
	;; [unrolled: 1-line block ×5, first 2 shown]
	v_add_f64 v[36:37], v[38:39], v[36:37]
	v_add_f64 v[36:37], v[66:67], v[36:37]
	v_mul_f64 v[36:37], v[50:51], v[36:37]
	v_add_f64 v[38:39], v[54:55], v[36:37]
	v_add_f64 v[50:51], v[38:39], -v[54:55]
	v_add_f64 v[36:37], v[36:37], -v[50:51]
	v_mul_f64 v[50:51], v[38:39], v[38:39]
	v_mov_b32_e32 v52, 0x6b47b09a
	v_mov_b32_e32 v53, 0x3fc38538
	v_fmac_f64_e32 v[52:53], s[8:9], v[50:51]
	v_mov_b32_e32 v54, 0xd7f4df2e
	v_mov_b32_e32 v55, 0x3fc7474d
	v_fmac_f64_e32 v[54:55], v[50:51], v[52:53]
	;; [unrolled: 3-line block ×6, first 2 shown]
	v_ldexp_f64 v[52:53], v[38:39], 1
	v_mul_f64 v[38:39], v[38:39], v[50:51]
	v_mul_f64 v[38:39], v[38:39], v[54:55]
	v_add_f64 v[50:51], v[52:53], v[38:39]
	v_add_f64 v[52:53], v[50:51], -v[52:53]
	v_ldexp_f64 v[36:37], v[36:37], 1
	v_add_f64 v[38:39], v[38:39], -v[52:53]
	v_add_f64 v[36:37], v[36:37], v[38:39]
	v_add_f64 v[38:39], v[50:51], v[36:37]
	v_subbrev_co_u32_e32 v49, vcc, 0, v49, vcc
	v_add_f64 v[50:51], v[38:39], -v[50:51]
	s_mov_b32 s8, 0xfefa39ef
	v_add_f64 v[36:37], v[36:37], -v[50:51]
	v_cvt_f64_i32_e32 v[50:51], v49
	s_mov_b32 s9, 0x3fe62e42
	v_mul_f64 v[52:53], v[50:51], s[8:9]
	v_fma_f64 v[54:55], v[50:51], s[8:9], -v[52:53]
	s_mov_b32 s8, 0x3b39803f
	s_mov_b32 s9, 0x3c7abc9e
	v_fmac_f64_e32 v[54:55], s[8:9], v[50:51]
	v_add_f64 v[50:51], v[52:53], v[54:55]
	v_add_f64 v[52:53], v[50:51], -v[52:53]
	v_add_f64 v[52:53], v[54:55], -v[52:53]
	v_add_f64 v[54:55], v[50:51], v[38:39]
	v_add_f64 v[64:65], v[54:55], -v[50:51]
	v_add_f64 v[66:67], v[54:55], -v[64:65]
	;; [unrolled: 1-line block ×4, first 2 shown]
	v_add_f64 v[38:39], v[38:39], v[50:51]
	v_add_f64 v[50:51], v[52:53], v[36:37]
	v_add_f64 v[64:65], v[50:51], -v[52:53]
	v_add_f64 v[66:67], v[50:51], -v[64:65]
	v_add_f64 v[38:39], v[50:51], v[38:39]
	v_add_f64 v[52:53], v[52:53], -v[66:67]
	v_add_f64 v[36:37], v[36:37], -v[64:65]
	v_add_f64 v[50:51], v[54:55], v[38:39]
	v_add_f64 v[36:37], v[36:37], v[52:53]
	v_add_f64 v[52:53], v[50:51], -v[54:55]
	v_add_f64 v[38:39], v[38:39], -v[52:53]
	v_add_f64 v[36:37], v[36:37], v[38:39]
	s_mov_b32 s8, 0x6dc9c883
	v_add_f64 v[36:37], v[50:51], v[36:37]
	s_mov_b32 s9, 0x3fe45f30
	v_mul_f64 v[36:37], v[36:37], s[8:9]
	v_fmac_f64_e32 v[24:25], v[36:37], v[30:31]
.LBB1_108:
	s_or_b64 exec, exec, s[6:7]
.LBB1_109:
	s_or_b64 exec, exec, s[4:5]
                                        ; implicit-def: $vgpr38_vgpr39
.LBB1_110:
	s_andn2_saveexec_b64 s[4:5], s[0:1]
	s_cbranch_execz .LBB1_120
; %bb.111:
	s_mov_b32 s9, 0xbfe921fb
	s_mov_b32 s8, 0x54442d18
	;; [unrolled: 1-line block ×3, first 2 shown]
	v_add_f64 v[24:25], v[38:39], s[8:9]
	s_mov_b32 s1, 0x41d00000
	v_cmp_nlt_f64_e64 s[6:7], |v[24:25]|, s[0:1]
	v_trig_preop_f64 v[66:67], |v[24:25]|, 0
	v_trig_preop_f64 v[64:65], |v[24:25]|, 1
	v_trig_preop_f64 v[54:55], |v[24:25]|, 2
                                        ; implicit-def: $vgpr49
                                        ; implicit-def: $vgpr30_vgpr31
                                        ; implicit-def: $vgpr36_vgpr37
	s_and_saveexec_b64 s[0:1], s[6:7]
	s_xor_b64 s[10:11], exec, s[0:1]
	s_cbranch_execz .LBB1_113
; %bb.112:
	s_mov_b32 s0, 0
	s_mov_b32 s1, 0x7b000000
	s_movk_i32 s9, 0xff80
	v_and_b32_e32 v36, 0x7fffffff, v25
	v_ldexp_f64 v[30:31], |v[24:25]|, s9
	v_cmp_ge_f64_e64 vcc, |v[24:25]|, s[0:1]
	s_mov_b32 s0, 0
	s_mov_b32 s1, 0x7ff00000
	v_cndmask_b32_e32 v31, v36, v31, vcc
	v_cndmask_b32_e32 v30, v24, v30, vcc
	v_mul_f64 v[50:51], v[66:67], v[30:31]
	v_mul_f64 v[36:37], v[64:65], v[30:31]
	v_fma_f64 v[52:53], v[66:67], v[30:31], -v[50:51]
	v_add_f64 v[68:69], v[36:37], v[52:53]
	v_add_f64 v[70:71], v[50:51], v[68:69]
	v_ldexp_f64 v[80:81], v[70:71], -2
	v_fract_f64_e32 v[82:83], v[80:81]
	v_cmp_neq_f64_e64 vcc, |v[80:81]|, s[0:1]
	v_add_f64 v[50:51], v[70:71], -v[50:51]
	v_add_f64 v[50:51], v[68:69], -v[50:51]
	v_cndmask_b32_e32 v81, 0, v83, vcc
	v_cndmask_b32_e32 v80, 0, v82, vcc
	v_add_f64 v[82:83], v[68:69], -v[36:37]
	v_add_f64 v[52:53], v[52:53], -v[82:83]
	v_add_f64 v[82:83], v[68:69], -v[82:83]
	v_add_f64 v[82:83], v[36:37], -v[82:83]
	v_add_f64 v[52:53], v[52:53], v[82:83]
	v_fma_f64 v[36:37], v[64:65], v[30:31], -v[36:37]
	v_mul_f64 v[82:83], v[54:55], v[30:31]
	v_add_f64 v[86:87], v[82:83], v[36:37]
	v_add_f64 v[96:97], v[86:87], v[52:53]
	v_add_f64 v[70:71], v[96:97], -v[86:87]
	v_add_f64 v[52:53], v[52:53], -v[70:71]
	;; [unrolled: 1-line block ×4, first 2 shown]
	v_add_f64 v[52:53], v[52:53], v[70:71]
	v_add_f64 v[70:71], v[86:87], -v[82:83]
	v_add_f64 v[36:37], v[36:37], -v[70:71]
	;; [unrolled: 1-line block ×4, first 2 shown]
	v_add_f64 v[68:69], v[50:51], v[96:97]
	v_add_f64 v[36:37], v[36:37], v[70:71]
	v_add_f64 v[50:51], v[68:69], -v[50:51]
	v_add_f64 v[36:37], v[36:37], v[52:53]
	v_fma_f64 v[30:31], v[54:55], v[30:31], -v[82:83]
	v_add_f64 v[50:51], v[96:97], -v[50:51]
	v_add_f64 v[30:31], v[30:31], v[36:37]
	v_ldexp_f64 v[36:37], v[80:81], 2
	v_add_f64 v[30:31], v[50:51], v[30:31]
	v_add_f64 v[50:51], v[68:69], v[36:37]
	v_mov_b32_e32 v49, 0x40100000
	v_cmp_gt_f64_e32 vcc, 0, v[50:51]
	v_mov_b32_e32 v84, 0
	s_mov_b32 s9, 0x3ff921fb
	v_cndmask_b32_e32 v85, 0, v49, vcc
	v_add_f64 v[36:37], v[36:37], v[84:85]
	v_add_f64 v[50:51], v[68:69], v[36:37]
	v_cvt_i32_f64_e32 v49, v[50:51]
	v_cvt_f64_i32_e32 v[50:51], v49
	v_add_f64 v[36:37], v[36:37], -v[50:51]
	v_add_f64 v[50:51], v[68:69], v[36:37]
	v_add_f64 v[36:37], v[50:51], -v[36:37]
	v_add_f64 v[36:37], v[68:69], -v[36:37]
	v_add_f64 v[30:31], v[30:31], v[36:37]
	v_cmp_le_f64_e32 vcc, 0.5, v[50:51]
	v_mov_b32_e32 v36, 0x3ff00000
	s_nop 0
	v_cndmask_b32_e32 v85, 0, v36, vcc
	v_add_f64 v[36:37], v[50:51], -v[84:85]
	v_add_f64 v[50:51], v[36:37], v[30:31]
	v_addc_co_u32_e64 v49, s[0:1], 0, v49, vcc
	v_add_f64 v[36:37], v[50:51], -v[36:37]
	v_add_f64 v[30:31], v[30:31], -v[36:37]
	v_mul_f64 v[36:37], v[50:51], s[8:9]
	s_mov_b32 s0, 0x33145c07
	v_fma_f64 v[52:53], v[50:51], s[8:9], -v[36:37]
	s_mov_b32 s1, 0x3c91a626
	v_fmac_f64_e32 v[52:53], s[0:1], v[50:51]
	v_fmac_f64_e32 v[52:53], s[8:9], v[30:31]
	v_add_f64 v[30:31], v[36:37], v[52:53]
	v_add_f64 v[36:37], v[30:31], -v[36:37]
	v_add_f64 v[36:37], v[52:53], -v[36:37]
	s_andn2_saveexec_b64 s[0:1], s[10:11]
	s_cbranch_execz .LBB1_115
	s_branch .LBB1_114
.LBB1_113:
	s_andn2_saveexec_b64 s[0:1], s[10:11]
	s_cbranch_execz .LBB1_115
.LBB1_114:
	s_mov_b32 s8, 0x6dc9c883
	s_mov_b32 s9, 0x3fe45f30
	v_mul_f64 v[30:31], |v[24:25]|, s[8:9]
	s_mov_b32 s8, 0x54442d18
	v_rndne_f64_e32 v[50:51], v[30:31]
	s_mov_b32 s9, 0xbff921fb
	v_fma_f64 v[30:31], v[50:51], s[8:9], |v[24:25]|
	s_mov_b32 s9, 0xbc91a626
	s_mov_b32 s8, 0x33145c00
	v_mul_f64 v[52:53], v[50:51], s[8:9]
	v_add_f64 v[70:71], v[30:31], v[52:53]
	v_fma_f64 v[36:37], s[8:9], v[50:51], v[30:31]
	s_mov_b32 s9, 0x3c91a626
	v_add_f64 v[30:31], v[30:31], -v[70:71]
	v_fma_f64 v[68:69], s[8:9], v[50:51], v[52:53]
	v_add_f64 v[30:31], v[30:31], v[52:53]
	v_add_f64 v[52:53], v[70:71], -v[36:37]
	v_add_f64 v[30:31], v[52:53], v[30:31]
	s_mov_b32 s8, 0x252049c0
	v_add_f64 v[52:53], v[30:31], -v[68:69]
	s_mov_b32 s9, 0xb97b839a
	v_fmac_f64_e32 v[52:53], s[8:9], v[50:51]
	v_add_f64 v[30:31], v[36:37], v[52:53]
	v_add_f64 v[36:37], v[30:31], -v[36:37]
	v_add_f64 v[36:37], v[52:53], -v[36:37]
	v_cvt_i32_f64_e32 v49, v[50:51]
.LBB1_115:
	s_or_b64 exec, exec, s[0:1]
                                        ; implicit-def: $vgpr68
                                        ; implicit-def: $vgpr50_vgpr51
                                        ; implicit-def: $vgpr52_vgpr53
	s_and_saveexec_b64 s[0:1], s[6:7]
	s_xor_b64 s[6:7], exec, s[0:1]
	s_cbranch_execz .LBB1_117
; %bb.116:
	s_mov_b32 s0, 0
	s_mov_b32 s1, 0x7b000000
	s_movk_i32 s8, 0xff80
	v_and_b32_e32 v52, 0x7fffffff, v25
	v_ldexp_f64 v[50:51], |v[24:25]|, s8
	v_cmp_ge_f64_e64 vcc, |v[24:25]|, s[0:1]
	s_mov_b32 s0, 0
	s_mov_b32 s1, 0x7ff00000
	v_cndmask_b32_e32 v51, v52, v51, vcc
	v_cndmask_b32_e32 v50, v24, v50, vcc
	v_mul_f64 v[68:69], v[66:67], v[50:51]
	v_mul_f64 v[52:53], v[64:65], v[50:51]
	v_fma_f64 v[66:67], v[66:67], v[50:51], -v[68:69]
	v_add_f64 v[70:71], v[52:53], v[66:67]
	v_add_f64 v[80:81], v[68:69], v[70:71]
	v_ldexp_f64 v[82:83], v[80:81], -2
	v_fract_f64_e32 v[84:85], v[82:83]
	v_cmp_neq_f64_e64 vcc, |v[82:83]|, s[0:1]
	v_add_f64 v[68:69], v[80:81], -v[68:69]
	v_add_f64 v[68:69], v[70:71], -v[68:69]
	v_cndmask_b32_e32 v83, 0, v85, vcc
	v_cndmask_b32_e32 v82, 0, v84, vcc
	v_add_f64 v[84:85], v[70:71], -v[52:53]
	v_add_f64 v[66:67], v[66:67], -v[84:85]
	;; [unrolled: 1-line block ×4, first 2 shown]
	v_fma_f64 v[52:53], v[64:65], v[50:51], -v[52:53]
	v_mul_f64 v[64:65], v[54:55], v[50:51]
	v_add_f64 v[66:67], v[66:67], v[84:85]
	v_add_f64 v[84:85], v[64:65], v[52:53]
	v_add_f64 v[96:97], v[84:85], v[66:67]
	v_add_f64 v[80:81], v[96:97], -v[84:85]
	v_add_f64 v[66:67], v[66:67], -v[80:81]
	;; [unrolled: 1-line block ×4, first 2 shown]
	v_add_f64 v[66:67], v[66:67], v[80:81]
	v_add_f64 v[80:81], v[84:85], -v[64:65]
	v_add_f64 v[52:53], v[52:53], -v[80:81]
	;; [unrolled: 1-line block ×4, first 2 shown]
	v_add_f64 v[52:53], v[52:53], v[80:81]
	v_add_f64 v[52:53], v[52:53], v[66:67]
	v_fma_f64 v[50:51], v[54:55], v[50:51], -v[64:65]
	v_add_f64 v[70:71], v[68:69], v[96:97]
	v_add_f64 v[50:51], v[50:51], v[52:53]
	v_ldexp_f64 v[52:53], v[82:83], 2
	v_add_f64 v[54:55], v[70:71], v[52:53]
	v_mov_b32_e32 v64, 0x40100000
	v_cmp_gt_f64_e32 vcc, 0, v[54:55]
	v_mov_b32_e32 v86, 0
	v_add_f64 v[68:69], v[70:71], -v[68:69]
	v_cndmask_b32_e32 v87, 0, v64, vcc
	v_add_f64 v[52:53], v[52:53], v[86:87]
	v_add_f64 v[54:55], v[70:71], v[52:53]
	v_cvt_i32_f64_e32 v64, v[54:55]
	v_cvt_f64_i32_e32 v[54:55], v64
	v_add_f64 v[52:53], v[52:53], -v[54:55]
	v_add_f64 v[54:55], v[70:71], v[52:53]
	v_add_f64 v[68:69], v[96:97], -v[68:69]
	v_add_f64 v[52:53], v[54:55], -v[52:53]
	v_add_f64 v[50:51], v[68:69], v[50:51]
	v_add_f64 v[52:53], v[70:71], -v[52:53]
	v_add_f64 v[50:51], v[50:51], v[52:53]
	v_cmp_le_f64_e32 vcc, 0.5, v[54:55]
	v_mov_b32_e32 v52, 0x3ff00000
	s_mov_b32 s8, 0x33145c07
	v_cndmask_b32_e32 v87, 0, v52, vcc
	v_addc_co_u32_e64 v68, s[0:1], 0, v64, vcc
	v_add_f64 v[52:53], v[54:55], -v[86:87]
	v_add_f64 v[54:55], v[52:53], v[50:51]
	s_mov_b32 s0, 0x54442d18
	v_add_f64 v[52:53], v[54:55], -v[52:53]
	s_mov_b32 s1, 0x3ff921fb
	v_add_f64 v[50:51], v[50:51], -v[52:53]
	v_mul_f64 v[52:53], v[54:55], s[0:1]
	v_fma_f64 v[64:65], v[54:55], s[0:1], -v[52:53]
	s_mov_b32 s9, 0x3c91a626
	v_fmac_f64_e32 v[64:65], s[8:9], v[54:55]
	v_fmac_f64_e32 v[64:65], s[0:1], v[50:51]
	v_add_f64 v[50:51], v[52:53], v[64:65]
	v_add_f64 v[52:53], v[50:51], -v[52:53]
	v_add_f64 v[52:53], v[64:65], -v[52:53]
	s_andn2_saveexec_b64 s[0:1], s[6:7]
	s_cbranch_execnz .LBB1_118
	s_branch .LBB1_119
.LBB1_117:
	s_andn2_saveexec_b64 s[0:1], s[6:7]
	s_cbranch_execz .LBB1_119
.LBB1_118:
	s_mov_b32 s6, 0x6dc9c883
	s_mov_b32 s7, 0x3fe45f30
	v_mul_f64 v[50:51], |v[24:25]|, s[6:7]
	s_mov_b32 s6, 0x54442d18
	v_rndne_f64_e32 v[54:55], v[50:51]
	s_mov_b32 s7, 0xbff921fb
	v_fma_f64 v[50:51], v[54:55], s[6:7], |v[24:25]|
	s_mov_b32 s7, 0xbc91a626
	s_mov_b32 s6, 0x33145c00
	v_mul_f64 v[64:65], v[54:55], s[6:7]
	v_add_f64 v[68:69], v[50:51], v[64:65]
	v_fma_f64 v[52:53], s[6:7], v[54:55], v[50:51]
	s_mov_b32 s7, 0x3c91a626
	v_add_f64 v[50:51], v[50:51], -v[68:69]
	v_fma_f64 v[66:67], s[6:7], v[54:55], v[64:65]
	v_add_f64 v[50:51], v[50:51], v[64:65]
	v_add_f64 v[64:65], v[68:69], -v[52:53]
	v_add_f64 v[50:51], v[64:65], v[50:51]
	s_mov_b32 s6, 0x252049c0
	v_add_f64 v[64:65], v[50:51], -v[66:67]
	s_mov_b32 s7, 0xb97b839a
	v_fmac_f64_e32 v[64:65], s[6:7], v[54:55]
	v_add_f64 v[50:51], v[52:53], v[64:65]
	v_add_f64 v[52:53], v[50:51], -v[52:53]
	v_add_f64 v[52:53], v[64:65], -v[52:53]
	v_cvt_i32_f64_e32 v68, v[54:55]
.LBB1_119:
	s_or_b64 exec, exec, s[0:1]
	s_mov_b32 s0, 0
	v_mul_f64 v[54:55], v[38:39], v[38:39]
	s_mov_b32 s1, 0x40390000
	v_div_scale_f64 v[64:65], s[6:7], v[54:55], v[54:55], s[0:1]
	v_rcp_f64_e32 v[66:67], v[64:65]
	v_mov_b32_e32 v82, 0xb1759c7f
	v_mov_b32_e32 v83, 0x408ac370
	;; [unrolled: 1-line block ×3, first 2 shown]
	v_fma_f64 v[70:71], -v[64:65], v[66:67], 1.0
	v_fmac_f64_e32 v[66:67], v[66:67], v[70:71]
	v_fma_f64 v[70:71], -v[64:65], v[66:67], 1.0
	v_fmac_f64_e32 v[66:67], v[66:67], v[70:71]
	v_div_scale_f64 v[70:71], vcc, s[0:1], v[54:55], s[0:1]
	v_mul_f64 v[80:81], v[70:71], v[66:67]
	v_fma_f64 v[64:65], -v[64:65], v[80:81], v[70:71]
	v_mov_b32_e32 v70, 0xab5454e3
	s_nop 0
	v_div_fmas_f64 v[64:65], v[64:65], v[66:67], v[80:81]
	v_div_fixup_f64 v[54:55], v[64:65], v[54:55], s[0:1]
	v_mov_b32_e32 v64, 0x983b6b27
	v_mov_b32_e32 v65, 0x3f4a1d30
	v_fmac_f64_e32 v[64:65], 0, v[54:55]
	v_mov_b32_e32 v66, 0xb35dd1cf
	v_mov_b32_e32 v67, 0x3fb534b0
	v_fmac_f64_e32 v[66:67], v[54:55], v[64:65]
	;; [unrolled: 3-line block ×7, first 2 shown]
	v_mov_b32_e32 v71, 0x3fb5ebc5
	v_fmac_f64_e32 v[70:71], v[54:55], v[64:65]
	v_mov_b32_e32 v64, 0xc9b3069f
	v_mov_b32_e32 v65, 0x3ff40e72
	v_fmac_f64_e32 v[64:65], v[54:55], v[70:71]
	v_mov_b32_e32 v70, 0xe68162bb
	;; [unrolled: 3-line block ×4, first 2 shown]
	v_mov_b32_e32 v71, 0x40153965
	v_fmac_f64_e32 v[70:71], v[54:55], v[64:65]
	v_fma_f64 v[64:65], v[54:55], v[70:71], 1.0
	v_mov_b32_e32 v70, 0x38a5384a
	v_mov_b32_e32 v71, 0xbf874742
	v_fmac_f64_e32 v[70:71], 0, v[54:55]
	v_mov_b32_e32 v80, 0x3a321174
	v_mov_b32_e32 v81, 0xbff4853b
	v_fmac_f64_e32 v[80:81], v[54:55], v[70:71]
	;; [unrolled: 3-line block ×9, first 2 shown]
	v_fmac_f64_e32 v[82:83], v[54:55], v[70:71]
	v_mov_b32_e32 v70, 0xbd748cb5
	v_mov_b32_e32 v71, 0x40ae54cd
	v_fmac_f64_e32 v[70:71], v[54:55], v[82:83]
	v_mov_b32_e32 v82, 0xbdefd63e
	v_mov_b32_e32 v83, 0x40bc4877
	v_fmac_f64_e32 v[82:83], v[54:55], v[70:71]
	v_mov_b32_e32 v70, 0x1d733b11
	v_mov_b32_e32 v71, 0x40b72aba
	v_fmac_f64_e32 v[70:71], v[54:55], v[82:83]
	v_mov_b32_e32 v82, 0xc7319e82
	v_mov_b32_e32 v83, 0x40a01c2f
	v_fma_f64 v[66:67], v[54:55], v[66:67], 1.0
	v_fmac_f64_e32 v[82:83], v[54:55], v[70:71]
	v_div_scale_f64 v[70:71], s[0:1], v[64:65], v[64:65], v[66:67]
	v_rcp_f64_e32 v[84:85], v[70:71]
	v_mov_b32_e32 v87, 0x406e402f
	v_fmac_f64_e32 v[86:87], v[54:55], v[82:83]
	s_mov_b32 s0, 0x9037ab78
	v_fma_f64 v[54:55], -v[70:71], v[84:85], 1.0
	v_fmac_f64_e32 v[84:85], v[84:85], v[54:55]
	v_fma_f64 v[54:55], -v[70:71], v[84:85], 1.0
	v_fmac_f64_e32 v[84:85], v[84:85], v[54:55]
	v_div_scale_f64 v[54:55], vcc, v[66:67], v[64:65], v[66:67]
	v_mul_f64 v[82:83], v[54:55], v[84:85]
	v_fma_f64 v[54:55], -v[70:71], v[82:83], v[54:55]
	s_mov_b32 s1, 0x3e21eeb6
	s_nop 0
	v_div_fmas_f64 v[54:55], v[54:55], v[84:85], v[82:83]
	s_mov_b32 s6, 0x46cc5e42
	v_div_fixup_f64 v[54:55], v[54:55], v[64:65], v[66:67]
	v_mul_f64 v[64:65], v[30:31], v[30:31]
	s_mov_b32 s7, 0xbda907db
	v_mov_b64_e32 v[84:85], s[0:1]
	s_mov_b32 s8, 0xa17f65f6
	v_mul_f64 v[66:67], v[64:65], 0.5
	v_fma_f64 v[96:97], s[6:7], v[64:65], v[84:85]
	s_mov_b32 s9, 0xbe927e4f
	s_mov_b32 s10, 0x19f4ec90
	v_add_f64 v[70:71], -v[66:67], 1.0
	v_fma_f64 v[96:97], v[64:65], v[96:97], s[8:9]
	s_mov_b32 s11, 0x3efa01a0
	s_mov_b32 s12, 0x16c16967
	v_add_f64 v[82:83], -v[70:71], 1.0
	v_fma_f64 v[96:97], v[64:65], v[96:97], s[10:11]
	s_mov_b32 s13, 0xbf56c16c
	s_mov_b32 s14, 0x55555555
	v_add_f64 v[66:67], v[82:83], -v[66:67]
	v_fma_f64 v[96:97], v[64:65], v[96:97], s[12:13]
	s_mov_b32 s15, 0x3fa55555
	v_mul_f64 v[82:83], v[64:65], v[64:65]
	v_fma_f64 v[96:97], v[64:65], v[96:97], s[14:15]
	v_fma_f64 v[66:67], v[30:31], -v[36:37], v[66:67]
	s_mov_b32 s0, 0xb42fdfa7
	v_fmac_f64_e32 v[66:67], v[82:83], v[96:97]
	s_mov_b32 s1, 0xbe5ae600
	s_mov_b32 s16, 0xf9a43bb8
	v_add_f64 v[66:67], v[70:71], v[66:67]
	s_mov_b32 s17, 0x3de5e0b2
	v_mov_b64_e32 v[70:71], s[0:1]
	s_mov_b32 s18, 0x796cde01
	v_fma_f64 v[82:83], s[16:17], v[64:65], v[70:71]
	s_mov_b32 s19, 0x3ec71de3
	s_mov_b32 s20, 0x19e83e5c
	v_fma_f64 v[82:83], v[64:65], v[82:83], s[18:19]
	s_mov_b32 s21, 0xbf2a01a0
	;; [unrolled: 3-line block ×3, first 2 shown]
	v_fma_f64 v[82:83], v[64:65], v[82:83], s[22:23]
	v_mul_f64 v[96:97], v[30:31], -v[64:65]
	v_mul_f64 v[98:99], v[36:37], 0.5
	v_fmac_f64_e32 v[98:99], v[96:97], v[82:83]
	v_fma_f64 v[36:37], v[64:65], v[98:99], -v[36:37]
	s_mov_b32 s25, 0xbfc55555
	s_mov_b32 s24, s14
	v_fmac_f64_e32 v[36:37], s[24:25], v[96:97]
	v_add_f64 v[30:31], v[30:31], -v[36:37]
	v_and_b32_e32 v36, 1, v49
	v_cmp_eq_u32_e32 vcc, 0, v36
	s_mov_b32 s26, 0
	s_mov_b32 s27, 0x40140000
	v_cndmask_b32_e32 v64, v66, v30, vcc
	v_cndmask_b32_e32 v30, v67, v31, vcc
	v_lshlrev_b32_e32 v31, 30, v49
	v_xor_b32_e32 v31, v31, v25
	v_and_b32_e32 v31, 0x80000000, v31
	v_xor_b32_e32 v49, v30, v31
	v_div_scale_f64 v[30:31], s[0:1], v[38:39], v[38:39], s[26:27]
	v_rcp_f64_e32 v[36:37], v[30:31]
	s_movk_i32 s28, 0x1f8
	v_cmp_class_f64_e64 s[0:1], v[24:25], s28
	v_mov_b32_e32 v69, 0x7ff80000
	s_nop 0
	v_cndmask_b32_e64 v24, 0, v64, s[0:1]
	v_fma_f64 v[64:65], -v[30:31], v[36:37], 1.0
	v_fmac_f64_e32 v[36:37], v[36:37], v[64:65]
	v_fma_f64 v[64:65], -v[30:31], v[36:37], 1.0
	v_fmac_f64_e32 v[36:37], v[36:37], v[64:65]
	v_div_scale_f64 v[64:65], vcc, s[26:27], v[38:39], s[26:27]
	v_mul_f64 v[66:67], v[64:65], v[36:37]
	v_fma_f64 v[30:31], -v[30:31], v[66:67], v[64:65]
	v_div_scale_f64 v[64:65], s[28:29], v[86:87], v[86:87], v[80:81]
	v_rcp_f64_e32 v[82:83], v[64:65]
	v_div_fmas_f64 v[30:31], v[30:31], v[36:37], v[66:67]
	v_div_fixup_f64 v[30:31], v[30:31], v[38:39], s[26:27]
	v_cndmask_b32_e64 v25, v69, v49, s[0:1]
	v_fma_f64 v[36:37], -v[64:65], v[82:83], 1.0
	v_fmac_f64_e32 v[82:83], v[82:83], v[36:37]
	v_fma_f64 v[36:37], -v[64:65], v[82:83], 1.0
	v_fmac_f64_e32 v[82:83], v[82:83], v[36:37]
	v_div_scale_f64 v[36:37], vcc, v[80:81], v[86:87], v[80:81]
	v_mul_f64 v[66:67], v[36:37], v[82:83]
	v_fma_f64 v[36:37], -v[64:65], v[66:67], v[36:37]
	v_and_b32_e32 v49, 1, v68
	s_nop 0
	v_div_fmas_f64 v[36:37], v[36:37], v[82:83], v[66:67]
	v_div_fixup_f64 v[36:37], v[36:37], v[86:87], v[80:81]
	v_mul_f64 v[30:31], v[30:31], v[36:37]
	v_mul_f64 v[36:37], v[50:51], v[50:51]
	v_mul_f64 v[64:65], v[36:37], 0.5
	v_fmac_f64_e32 v[84:85], s[6:7], v[36:37]
	v_add_f64 v[66:67], -v[64:65], 1.0
	v_fma_f64 v[82:83], v[36:37], v[84:85], s[8:9]
	v_add_f64 v[80:81], -v[66:67], 1.0
	v_fma_f64 v[82:83], v[36:37], v[82:83], s[10:11]
	v_add_f64 v[64:65], v[80:81], -v[64:65]
	v_fma_f64 v[82:83], v[36:37], v[82:83], s[12:13]
	v_mul_f64 v[80:81], v[36:37], v[36:37]
	v_fma_f64 v[82:83], v[36:37], v[82:83], s[14:15]
	v_fma_f64 v[64:65], v[50:51], -v[52:53], v[64:65]
	v_fmac_f64_e32 v[64:65], v[80:81], v[82:83]
	v_fmac_f64_e32 v[70:71], s[16:17], v[36:37]
	v_add_f64 v[64:65], v[66:67], v[64:65]
	v_fma_f64 v[66:67], v[36:37], v[70:71], s[18:19]
	v_fma_f64 v[66:67], v[36:37], v[66:67], s[20:21]
	;; [unrolled: 1-line block ×3, first 2 shown]
	v_mul_f64 v[70:71], v[50:51], -v[36:37]
	v_mul_f64 v[80:81], v[52:53], 0.5
	v_fmac_f64_e32 v[80:81], v[70:71], v[66:67]
	v_fma_f64 v[36:37], v[36:37], v[80:81], -v[52:53]
	v_fmac_f64_e32 v[36:37], s[24:25], v[70:71]
	v_add_f64 v[36:37], v[50:51], -v[36:37]
	v_xor_b32_e32 v37, 0x80000000, v37
	v_cmp_eq_u32_e32 vcc, 0, v49
	v_lshlrev_b32_e32 v49, 30, v68
	v_and_b32_e32 v49, 0x80000000, v49
	v_cndmask_b32_e32 v37, v37, v65, vcc
	v_cndmask_b32_e32 v36, v36, v64, vcc
	v_xor_b32_e32 v37, v37, v49
	v_cndmask_b32_e64 v36, 0, v36, s[0:1]
	v_cndmask_b32_e64 v37, v69, v37, s[0:1]
	s_mov_b32 s0, 0
	s_brev_b32 s1, 8
	v_mul_f64 v[30:31], v[30:31], v[36:37]
	v_cmp_gt_f64_e32 vcc, s[0:1], v[38:39]
	v_fmac_f64_e32 v[30:31], v[54:55], v[24:25]
	s_mov_b32 s0, 0x33d43651
	v_cndmask_b32_e64 v24, 0, 1, vcc
	v_lshlrev_b32_e32 v24, 8, v24
	v_ldexp_f64 v[24:25], v[38:39], v24
	v_rsq_f64_e32 v[36:37], v[24:25]
	s_mov_b32 s1, 0x3fe98845
	v_mul_f64 v[30:31], v[30:31], s[0:1]
	v_mul_f64 v[38:39], v[24:25], v[36:37]
	v_mul_f64 v[36:37], v[36:37], 0.5
	v_fma_f64 v[50:51], -v[36:37], v[38:39], 0.5
	v_fmac_f64_e32 v[38:39], v[38:39], v[50:51]
	v_fma_f64 v[52:53], -v[38:39], v[38:39], v[24:25]
	v_fmac_f64_e32 v[36:37], v[36:37], v[50:51]
	v_fmac_f64_e32 v[38:39], v[52:53], v[36:37]
	v_fma_f64 v[50:51], -v[38:39], v[38:39], v[24:25]
	v_fmac_f64_e32 v[38:39], v[50:51], v[36:37]
	v_mov_b32_e32 v36, 0xffffff80
	v_cndmask_b32_e32 v36, 0, v36, vcc
	v_ldexp_f64 v[36:37], v[38:39], v36
	v_mov_b32_e32 v38, 0x260
	v_cmp_class_f64_e32 vcc, v[24:25], v38
	s_nop 1
	v_cndmask_b32_e32 v25, v37, v25, vcc
	v_cndmask_b32_e32 v24, v36, v24, vcc
	v_div_scale_f64 v[36:37], s[0:1], v[24:25], v[24:25], v[30:31]
	v_rcp_f64_e32 v[38:39], v[36:37]
	s_nop 0
	v_fma_f64 v[50:51], -v[36:37], v[38:39], 1.0
	v_fmac_f64_e32 v[38:39], v[38:39], v[50:51]
	v_fma_f64 v[50:51], -v[36:37], v[38:39], 1.0
	v_fmac_f64_e32 v[38:39], v[38:39], v[50:51]
	v_div_scale_f64 v[50:51], vcc, v[30:31], v[24:25], v[30:31]
	v_mul_f64 v[52:53], v[50:51], v[38:39]
	v_fma_f64 v[36:37], -v[36:37], v[52:53], v[50:51]
	s_nop 1
	v_div_fmas_f64 v[36:37], v[36:37], v[38:39], v[52:53]
	v_div_fixup_f64 v[24:25], v[36:37], v[24:25], v[30:31]
.LBB1_120:
	s_or_b64 exec, exec, s[4:5]
	s_mov_b32 s0, 0
	s_mov_b32 s1, 0x40140000
	v_cmp_ge_f64_e32 vcc, s[0:1], v[32:33]
                                        ; implicit-def: $vgpr30_vgpr31
	s_and_saveexec_b64 s[0:1], vcc
	s_xor_b64 s[0:1], exec, s[0:1]
	s_cbranch_execz .LBB1_130
; %bb.121:
	v_mov_b32_e32 v30, 0
	v_cmp_neq_f64_e32 vcc, 0, v[32:33]
	v_mov_b32_e32 v31, 0xfff00000
	s_and_saveexec_b64 s[4:5], vcc
	s_cbranch_execz .LBB1_129
; %bb.122:
	v_mov_b32_e32 v30, 0
	v_cmp_ngt_f64_e32 vcc, 0, v[32:33]
	v_mov_b32_e32 v31, 0x7ff80000
	s_and_saveexec_b64 s[6:7], vcc
	s_cbranch_execz .LBB1_128
; %bb.123:
	s_mov_b32 s8, 0x88e368f1
	v_mul_f64 v[30:31], v[32:33], v[32:33]
	s_mov_b32 s9, 0x3ee4f8b5
	v_mul_f64 v[38:39], v[30:31], 0
	v_cmp_ngt_f64_e32 vcc, s[8:9], v[32:33]
                                        ; implicit-def: $vgpr36_vgpr37
	s_and_saveexec_b64 s[8:9], vcc
	s_xor_b64 s[8:9], exec, s[8:9]
	s_cbranch_execz .LBB1_125
; %bb.124:
	s_mov_b32 s10, 0xad1c8325
	s_mov_b32 s11, 0xc1f1dc53
	v_add_f64 v[36:37], v[38:39], s[10:11]
	v_mov_b32_e32 v50, 0xc772990d
	v_mov_b32_e32 v51, 0x427c7751
	s_mov_b32 s10, 0xa696b78c
	v_fmac_f64_e32 v[50:51], v[30:31], v[36:37]
	v_mov_b32_e32 v36, 0xe0d900f7
	v_mov_b32_e32 v37, 0xc2ec5614
	s_mov_b32 s11, 0x407f3902
	v_fmac_f64_e32 v[36:37], v[30:31], v[50:51]
	v_add_f64 v[50:51], v[38:39], s[10:11]
	v_mov_b32_e32 v52, 0x36a21a67
	v_mov_b32_e32 v53, 0x410536cb
	v_fmac_f64_e32 v[52:53], v[30:31], v[50:51]
	v_mov_b32_e32 v50, 0x2eac0634
	v_mov_b32_e32 v51, 0x41871934
	v_fmac_f64_e32 v[50:51], v[30:31], v[52:53]
	;; [unrolled: 3-line block ×6, first 2 shown]
	v_mov_b32_e32 v52, 0xc7b662cc
	v_mov_b32_e32 v53, 0x43b7be34
	s_mov_b32 s10, 0x80462bbb
	v_fmac_f64_e32 v[52:53], v[30:31], v[50:51]
	v_mov_b32_e32 v50, 0x69ff5fb4
	v_mov_b32_e32 v51, 0x43413ef8
	s_mov_b32 s11, 0xc01721fb
	v_fmac_f64_e32 v[50:51], v[30:31], v[36:37]
	v_add_f64 v[36:37], v[30:31], s[10:11]
	s_mov_b32 s10, 0xa621dd6f
	s_mov_b32 s11, 0xc03e78a4
	v_add_f64 v[54:55], v[30:31], s[10:11]
	v_mul_f64 v[36:37], v[36:37], v[54:55]
	v_mul_f64 v[36:37], v[36:37], v[50:51]
	v_div_scale_f64 v[50:51], s[10:11], v[52:53], v[52:53], v[36:37]
	v_rcp_f64_e32 v[54:55], v[50:51]
	s_nop 0
	v_fma_f64 v[64:65], -v[50:51], v[54:55], 1.0
	v_fmac_f64_e32 v[54:55], v[54:55], v[64:65]
	v_fma_f64 v[64:65], -v[50:51], v[54:55], 1.0
	v_fmac_f64_e32 v[54:55], v[54:55], v[64:65]
	v_div_scale_f64 v[64:65], vcc, v[36:37], v[52:53], v[36:37]
	v_mul_f64 v[66:67], v[64:65], v[54:55]
	v_fma_f64 v[50:51], -v[50:51], v[66:67], v[64:65]
	s_nop 1
	v_div_fmas_f64 v[50:51], v[50:51], v[54:55], v[66:67]
	v_div_fixup_f64 v[36:37], v[50:51], v[52:53], v[36:37]
.LBB1_125:
	s_andn2_saveexec_b64 s[8:9], s[8:9]
; %bb.126:
	s_mov_b32 s10, 0
	s_mov_b32 s11, 0xbfd00000
	v_fma_f64 v[36:37], v[30:31], s[10:11], 1.0
; %bb.127:
	s_or_b64 exec, exec, s[8:9]
	s_mov_b32 s8, 0xe896898f
	s_mov_b32 s9, 0x40ce7437
	v_add_f64 v[50:51], v[38:39], s[8:9]
	v_mov_b32_e32 v52, 0x32e48896
	v_mov_b32_e32 v53, 0xc16bf81f
	v_fmac_f64_e32 v[52:53], v[30:31], v[50:51]
	v_mov_b32_e32 v50, 0xf0284cdd
	v_mov_b32_e32 v51, 0x41f43f78
	v_fmac_f64_e32 v[50:51], v[30:31], v[52:53]
	;; [unrolled: 3-line block ×4, first 2 shown]
	v_mov_b32_e32 v52, 0xd1d8cc02
	v_mov_b32_e32 v53, 0xc328a121
	s_mov_b32 s8, 0x576dfcb6
	v_fmac_f64_e32 v[52:53], v[30:31], v[50:51]
	v_mov_b32_e32 v50, 0x660b4003
	v_mov_b32_e32 v51, 0x4363a94b
	s_mov_b32 s9, 0x40904522
	v_fmac_f64_e32 v[50:51], v[30:31], v[52:53]
	v_add_f64 v[38:39], v[38:39], s[8:9]
	v_mov_b32_e32 v52, 0xa907bc0c
	v_mov_b32_e32 v53, 0x41231b76
	v_fmac_f64_e32 v[52:53], v[30:31], v[38:39]
	v_mov_b32_e32 v38, 0x5164d101
	v_mov_b32_e32 v39, 0x41b00763
	v_fmac_f64_e32 v[38:39], v[30:31], v[52:53]
	;; [unrolled: 3-line block ×7, first 2 shown]
	v_div_scale_f64 v[30:31], s[8:9], v[38:39], v[38:39], v[52:53]
	v_rcp_f64_e32 v[50:51], v[30:31]
	s_mov_b32 s8, 0x55555555
	s_mov_b32 s9, 0x3fe55555
	v_frexp_exp_i32_f64_e32 v49, v[32:33]
	v_fma_f64 v[54:55], -v[30:31], v[50:51], 1.0
	v_fmac_f64_e32 v[50:51], v[50:51], v[54:55]
	v_fma_f64 v[54:55], -v[30:31], v[50:51], 1.0
	v_fmac_f64_e32 v[50:51], v[50:51], v[54:55]
	v_div_scale_f64 v[54:55], vcc, v[52:53], v[38:39], v[52:53]
	v_mul_f64 v[64:65], v[54:55], v[50:51]
	v_fma_f64 v[30:31], -v[30:31], v[64:65], v[54:55]
	s_nop 1
	v_div_fmas_f64 v[30:31], v[30:31], v[50:51], v[64:65]
	v_div_fixup_f64 v[30:31], v[30:31], v[38:39], v[52:53]
	v_frexp_mant_f64_e32 v[38:39], v[32:33]
	v_mov_b32_e32 v50, 0x3ff00000
	v_cmp_gt_f64_e32 vcc, s[8:9], v[38:39]
	s_mov_b32 s8, 0xbf559e2b
	s_mov_b32 s9, 0x3fc3ab76
	v_cndmask_b32_e64 v51, v50, 2.0, vcc
	v_mov_b32_e32 v50, 0
	v_mul_f64 v[38:39], v[38:39], v[50:51]
	v_add_f64 v[50:51], v[38:39], 1.0
	v_rcp_f64_e32 v[52:53], v[50:51]
	v_add_f64 v[64:65], v[50:51], -1.0
	v_add_f64 v[54:55], v[38:39], -1.0
	v_add_f64 v[38:39], v[38:39], -v[64:65]
	v_fma_f64 v[64:65], -v[50:51], v[52:53], 1.0
	v_fmac_f64_e32 v[52:53], v[64:65], v[52:53]
	v_fma_f64 v[64:65], -v[50:51], v[52:53], 1.0
	v_fmac_f64_e32 v[52:53], v[64:65], v[52:53]
	v_mul_f64 v[64:65], v[54:55], v[52:53]
	v_mul_f64 v[66:67], v[50:51], v[64:65]
	v_fma_f64 v[50:51], v[64:65], v[50:51], -v[66:67]
	v_fmac_f64_e32 v[50:51], v[64:65], v[38:39]
	v_add_f64 v[38:39], v[66:67], v[50:51]
	v_add_f64 v[68:69], v[54:55], -v[38:39]
	v_add_f64 v[66:67], v[38:39], -v[66:67]
	;; [unrolled: 1-line block ×5, first 2 shown]
	v_add_f64 v[38:39], v[50:51], v[38:39]
	v_add_f64 v[38:39], v[68:69], v[38:39]
	v_mul_f64 v[38:39], v[52:53], v[38:39]
	v_add_f64 v[50:51], v[64:65], v[38:39]
	v_add_f64 v[52:53], v[50:51], -v[64:65]
	v_add_f64 v[38:39], v[38:39], -v[52:53]
	v_mul_f64 v[52:53], v[50:51], v[50:51]
	v_mov_b32_e32 v54, 0x6b47b09a
	v_mov_b32_e32 v55, 0x3fc38538
	v_fmac_f64_e32 v[54:55], s[8:9], v[52:53]
	v_mov_b32_e32 v64, 0xd7f4df2e
	v_mov_b32_e32 v65, 0x3fc7474d
	v_fmac_f64_e32 v[64:65], v[52:53], v[54:55]
	;; [unrolled: 3-line block ×6, first 2 shown]
	v_ldexp_f64 v[54:55], v[50:51], 1
	v_mul_f64 v[50:51], v[50:51], v[52:53]
	v_mul_f64 v[50:51], v[50:51], v[64:65]
	v_add_f64 v[52:53], v[54:55], v[50:51]
	v_add_f64 v[54:55], v[52:53], -v[54:55]
	v_ldexp_f64 v[38:39], v[38:39], 1
	v_add_f64 v[50:51], v[50:51], -v[54:55]
	v_add_f64 v[38:39], v[38:39], v[50:51]
	v_add_f64 v[50:51], v[52:53], v[38:39]
	v_subbrev_co_u32_e32 v49, vcc, 0, v49, vcc
	v_add_f64 v[52:53], v[50:51], -v[52:53]
	s_mov_b32 s8, 0xfefa39ef
	v_add_f64 v[38:39], v[38:39], -v[52:53]
	v_cvt_f64_i32_e32 v[52:53], v49
	s_mov_b32 s9, 0x3fe62e42
	v_mul_f64 v[54:55], v[52:53], s[8:9]
	v_fma_f64 v[64:65], v[52:53], s[8:9], -v[54:55]
	s_mov_b32 s8, 0x3b39803f
	s_mov_b32 s9, 0x3c7abc9e
	v_fmac_f64_e32 v[64:65], s[8:9], v[52:53]
	v_add_f64 v[52:53], v[54:55], v[64:65]
	v_add_f64 v[54:55], v[52:53], -v[54:55]
	v_add_f64 v[54:55], v[64:65], -v[54:55]
	v_add_f64 v[64:65], v[52:53], v[50:51]
	v_add_f64 v[66:67], v[64:65], -v[52:53]
	v_add_f64 v[68:69], v[64:65], -v[66:67]
	;; [unrolled: 1-line block ×4, first 2 shown]
	v_add_f64 v[50:51], v[50:51], v[52:53]
	v_add_f64 v[52:53], v[54:55], v[38:39]
	v_add_f64 v[66:67], v[52:53], -v[54:55]
	v_add_f64 v[68:69], v[52:53], -v[66:67]
	v_add_f64 v[50:51], v[52:53], v[50:51]
	v_add_f64 v[54:55], v[54:55], -v[68:69]
	v_add_f64 v[38:39], v[38:39], -v[66:67]
	v_add_f64 v[52:53], v[64:65], v[50:51]
	v_add_f64 v[38:39], v[38:39], v[54:55]
	v_add_f64 v[54:55], v[52:53], -v[64:65]
	v_add_f64 v[50:51], v[50:51], -v[54:55]
	v_add_f64 v[38:39], v[38:39], v[50:51]
	s_mov_b32 s8, 0x6dc9c883
	v_add_f64 v[38:39], v[52:53], v[38:39]
	s_mov_b32 s9, 0x3fe45f30
	v_mul_f64 v[38:39], v[38:39], s[8:9]
	v_fmac_f64_e32 v[30:31], v[38:39], v[36:37]
.LBB1_128:
	s_or_b64 exec, exec, s[6:7]
.LBB1_129:
	s_or_b64 exec, exec, s[4:5]
.LBB1_130:
	s_andn2_saveexec_b64 s[4:5], s[0:1]
	s_cbranch_execz .LBB1_140
; %bb.131:
	s_mov_b32 s9, 0xbfe921fb
	s_mov_b32 s8, 0x54442d18
	;; [unrolled: 1-line block ×3, first 2 shown]
	v_add_f64 v[30:31], v[32:33], s[8:9]
	s_mov_b32 s1, 0x41d00000
	v_cmp_nlt_f64_e64 s[6:7], |v[30:31]|, s[0:1]
	v_trig_preop_f64 v[66:67], |v[30:31]|, 0
	v_trig_preop_f64 v[64:65], |v[30:31]|, 1
	;; [unrolled: 1-line block ×3, first 2 shown]
                                        ; implicit-def: $vgpr49
                                        ; implicit-def: $vgpr36_vgpr37
                                        ; implicit-def: $vgpr38_vgpr39
	s_and_saveexec_b64 s[0:1], s[6:7]
	s_xor_b64 s[10:11], exec, s[0:1]
	s_cbranch_execz .LBB1_133
; %bb.132:
	s_mov_b32 s0, 0
	s_mov_b32 s1, 0x7b000000
	s_movk_i32 s9, 0xff80
	v_and_b32_e32 v38, 0x7fffffff, v31
	v_ldexp_f64 v[36:37], |v[30:31]|, s9
	v_cmp_ge_f64_e64 vcc, |v[30:31]|, s[0:1]
	s_mov_b32 s0, 0
	s_mov_b32 s1, 0x7ff00000
	v_cndmask_b32_e32 v37, v38, v37, vcc
	v_cndmask_b32_e32 v36, v30, v36, vcc
	v_mul_f64 v[50:51], v[66:67], v[36:37]
	v_mul_f64 v[38:39], v[64:65], v[36:37]
	v_fma_f64 v[52:53], v[66:67], v[36:37], -v[50:51]
	v_add_f64 v[68:69], v[38:39], v[52:53]
	v_add_f64 v[70:71], v[50:51], v[68:69]
	v_ldexp_f64 v[80:81], v[70:71], -2
	v_fract_f64_e32 v[82:83], v[80:81]
	v_cmp_neq_f64_e64 vcc, |v[80:81]|, s[0:1]
	v_add_f64 v[50:51], v[70:71], -v[50:51]
	v_add_f64 v[50:51], v[68:69], -v[50:51]
	v_cndmask_b32_e32 v81, 0, v83, vcc
	v_cndmask_b32_e32 v80, 0, v82, vcc
	v_add_f64 v[82:83], v[68:69], -v[38:39]
	v_add_f64 v[52:53], v[52:53], -v[82:83]
	;; [unrolled: 1-line block ×4, first 2 shown]
	v_add_f64 v[52:53], v[52:53], v[82:83]
	v_fma_f64 v[38:39], v[64:65], v[36:37], -v[38:39]
	v_mul_f64 v[82:83], v[54:55], v[36:37]
	v_add_f64 v[86:87], v[82:83], v[38:39]
	v_add_f64 v[96:97], v[86:87], v[52:53]
	v_add_f64 v[70:71], v[96:97], -v[86:87]
	v_add_f64 v[52:53], v[52:53], -v[70:71]
	;; [unrolled: 1-line block ×4, first 2 shown]
	v_add_f64 v[52:53], v[52:53], v[70:71]
	v_add_f64 v[70:71], v[86:87], -v[82:83]
	v_add_f64 v[38:39], v[38:39], -v[70:71]
	;; [unrolled: 1-line block ×4, first 2 shown]
	v_add_f64 v[68:69], v[50:51], v[96:97]
	v_add_f64 v[38:39], v[38:39], v[70:71]
	v_add_f64 v[50:51], v[68:69], -v[50:51]
	v_add_f64 v[38:39], v[38:39], v[52:53]
	v_fma_f64 v[36:37], v[54:55], v[36:37], -v[82:83]
	v_add_f64 v[50:51], v[96:97], -v[50:51]
	v_add_f64 v[36:37], v[36:37], v[38:39]
	v_ldexp_f64 v[38:39], v[80:81], 2
	v_add_f64 v[36:37], v[50:51], v[36:37]
	v_add_f64 v[50:51], v[68:69], v[38:39]
	v_mov_b32_e32 v49, 0x40100000
	v_cmp_gt_f64_e32 vcc, 0, v[50:51]
	v_mov_b32_e32 v84, 0
	s_mov_b32 s9, 0x3ff921fb
	v_cndmask_b32_e32 v85, 0, v49, vcc
	v_add_f64 v[38:39], v[38:39], v[84:85]
	v_add_f64 v[50:51], v[68:69], v[38:39]
	v_cvt_i32_f64_e32 v49, v[50:51]
	v_cvt_f64_i32_e32 v[50:51], v49
	v_add_f64 v[38:39], v[38:39], -v[50:51]
	v_add_f64 v[50:51], v[68:69], v[38:39]
	v_add_f64 v[38:39], v[50:51], -v[38:39]
	v_add_f64 v[38:39], v[68:69], -v[38:39]
	v_add_f64 v[36:37], v[36:37], v[38:39]
	v_cmp_le_f64_e32 vcc, 0.5, v[50:51]
	v_mov_b32_e32 v38, 0x3ff00000
	s_nop 0
	v_cndmask_b32_e32 v85, 0, v38, vcc
	v_add_f64 v[38:39], v[50:51], -v[84:85]
	v_add_f64 v[50:51], v[38:39], v[36:37]
	v_addc_co_u32_e64 v49, s[0:1], 0, v49, vcc
	v_add_f64 v[38:39], v[50:51], -v[38:39]
	v_add_f64 v[36:37], v[36:37], -v[38:39]
	v_mul_f64 v[38:39], v[50:51], s[8:9]
	s_mov_b32 s0, 0x33145c07
	v_fma_f64 v[52:53], v[50:51], s[8:9], -v[38:39]
	s_mov_b32 s1, 0x3c91a626
	v_fmac_f64_e32 v[52:53], s[0:1], v[50:51]
	v_fmac_f64_e32 v[52:53], s[8:9], v[36:37]
	v_add_f64 v[36:37], v[38:39], v[52:53]
	v_add_f64 v[38:39], v[36:37], -v[38:39]
	v_add_f64 v[38:39], v[52:53], -v[38:39]
	s_andn2_saveexec_b64 s[0:1], s[10:11]
	s_cbranch_execz .LBB1_135
	s_branch .LBB1_134
.LBB1_133:
	s_andn2_saveexec_b64 s[0:1], s[10:11]
	s_cbranch_execz .LBB1_135
.LBB1_134:
	s_mov_b32 s8, 0x6dc9c883
	s_mov_b32 s9, 0x3fe45f30
	v_mul_f64 v[36:37], |v[30:31]|, s[8:9]
	s_mov_b32 s8, 0x54442d18
	v_rndne_f64_e32 v[50:51], v[36:37]
	s_mov_b32 s9, 0xbff921fb
	v_fma_f64 v[36:37], v[50:51], s[8:9], |v[30:31]|
	s_mov_b32 s9, 0xbc91a626
	s_mov_b32 s8, 0x33145c00
	v_mul_f64 v[52:53], v[50:51], s[8:9]
	v_add_f64 v[70:71], v[36:37], v[52:53]
	v_fma_f64 v[38:39], s[8:9], v[50:51], v[36:37]
	s_mov_b32 s9, 0x3c91a626
	v_add_f64 v[36:37], v[36:37], -v[70:71]
	v_fma_f64 v[68:69], s[8:9], v[50:51], v[52:53]
	v_add_f64 v[36:37], v[36:37], v[52:53]
	v_add_f64 v[52:53], v[70:71], -v[38:39]
	v_add_f64 v[36:37], v[52:53], v[36:37]
	s_mov_b32 s8, 0x252049c0
	v_add_f64 v[52:53], v[36:37], -v[68:69]
	s_mov_b32 s9, 0xb97b839a
	v_fmac_f64_e32 v[52:53], s[8:9], v[50:51]
	v_add_f64 v[36:37], v[38:39], v[52:53]
	v_add_f64 v[38:39], v[36:37], -v[38:39]
	v_add_f64 v[38:39], v[52:53], -v[38:39]
	v_cvt_i32_f64_e32 v49, v[50:51]
.LBB1_135:
	s_or_b64 exec, exec, s[0:1]
                                        ; implicit-def: $vgpr68
                                        ; implicit-def: $vgpr50_vgpr51
                                        ; implicit-def: $vgpr52_vgpr53
	s_and_saveexec_b64 s[0:1], s[6:7]
	s_xor_b64 s[6:7], exec, s[0:1]
	s_cbranch_execz .LBB1_137
; %bb.136:
	s_mov_b32 s0, 0
	s_mov_b32 s1, 0x7b000000
	s_movk_i32 s8, 0xff80
	v_and_b32_e32 v52, 0x7fffffff, v31
	v_ldexp_f64 v[50:51], |v[30:31]|, s8
	v_cmp_ge_f64_e64 vcc, |v[30:31]|, s[0:1]
	s_mov_b32 s0, 0
	s_mov_b32 s1, 0x7ff00000
	v_cndmask_b32_e32 v51, v52, v51, vcc
	v_cndmask_b32_e32 v50, v30, v50, vcc
	v_mul_f64 v[68:69], v[66:67], v[50:51]
	v_mul_f64 v[52:53], v[64:65], v[50:51]
	v_fma_f64 v[66:67], v[66:67], v[50:51], -v[68:69]
	v_add_f64 v[70:71], v[52:53], v[66:67]
	v_add_f64 v[80:81], v[68:69], v[70:71]
	v_ldexp_f64 v[82:83], v[80:81], -2
	v_fract_f64_e32 v[84:85], v[82:83]
	v_cmp_neq_f64_e64 vcc, |v[82:83]|, s[0:1]
	v_add_f64 v[68:69], v[80:81], -v[68:69]
	v_add_f64 v[68:69], v[70:71], -v[68:69]
	v_cndmask_b32_e32 v83, 0, v85, vcc
	v_cndmask_b32_e32 v82, 0, v84, vcc
	v_add_f64 v[84:85], v[70:71], -v[52:53]
	v_add_f64 v[66:67], v[66:67], -v[84:85]
	;; [unrolled: 1-line block ×4, first 2 shown]
	v_fma_f64 v[52:53], v[64:65], v[50:51], -v[52:53]
	v_mul_f64 v[64:65], v[54:55], v[50:51]
	v_add_f64 v[66:67], v[66:67], v[84:85]
	v_add_f64 v[84:85], v[64:65], v[52:53]
	;; [unrolled: 1-line block ×3, first 2 shown]
	v_add_f64 v[80:81], v[96:97], -v[84:85]
	v_add_f64 v[66:67], v[66:67], -v[80:81]
	;; [unrolled: 1-line block ×4, first 2 shown]
	v_add_f64 v[66:67], v[66:67], v[80:81]
	v_add_f64 v[80:81], v[84:85], -v[64:65]
	v_add_f64 v[52:53], v[52:53], -v[80:81]
	;; [unrolled: 1-line block ×4, first 2 shown]
	v_add_f64 v[52:53], v[52:53], v[80:81]
	v_add_f64 v[52:53], v[52:53], v[66:67]
	v_fma_f64 v[50:51], v[54:55], v[50:51], -v[64:65]
	v_add_f64 v[70:71], v[68:69], v[96:97]
	v_add_f64 v[50:51], v[50:51], v[52:53]
	v_ldexp_f64 v[52:53], v[82:83], 2
	v_add_f64 v[54:55], v[70:71], v[52:53]
	v_mov_b32_e32 v64, 0x40100000
	v_cmp_gt_f64_e32 vcc, 0, v[54:55]
	v_mov_b32_e32 v86, 0
	v_add_f64 v[68:69], v[70:71], -v[68:69]
	v_cndmask_b32_e32 v87, 0, v64, vcc
	v_add_f64 v[52:53], v[52:53], v[86:87]
	v_add_f64 v[54:55], v[70:71], v[52:53]
	v_cvt_i32_f64_e32 v64, v[54:55]
	v_cvt_f64_i32_e32 v[54:55], v64
	v_add_f64 v[52:53], v[52:53], -v[54:55]
	v_add_f64 v[54:55], v[70:71], v[52:53]
	v_add_f64 v[68:69], v[96:97], -v[68:69]
	v_add_f64 v[52:53], v[54:55], -v[52:53]
	v_add_f64 v[50:51], v[68:69], v[50:51]
	v_add_f64 v[52:53], v[70:71], -v[52:53]
	v_add_f64 v[50:51], v[50:51], v[52:53]
	v_cmp_le_f64_e32 vcc, 0.5, v[54:55]
	v_mov_b32_e32 v52, 0x3ff00000
	s_mov_b32 s8, 0x33145c07
	v_cndmask_b32_e32 v87, 0, v52, vcc
	v_addc_co_u32_e64 v68, s[0:1], 0, v64, vcc
	v_add_f64 v[52:53], v[54:55], -v[86:87]
	v_add_f64 v[54:55], v[52:53], v[50:51]
	s_mov_b32 s0, 0x54442d18
	v_add_f64 v[52:53], v[54:55], -v[52:53]
	s_mov_b32 s1, 0x3ff921fb
	v_add_f64 v[50:51], v[50:51], -v[52:53]
	v_mul_f64 v[52:53], v[54:55], s[0:1]
	v_fma_f64 v[64:65], v[54:55], s[0:1], -v[52:53]
	s_mov_b32 s9, 0x3c91a626
	v_fmac_f64_e32 v[64:65], s[8:9], v[54:55]
	v_fmac_f64_e32 v[64:65], s[0:1], v[50:51]
	v_add_f64 v[50:51], v[52:53], v[64:65]
	v_add_f64 v[52:53], v[50:51], -v[52:53]
	v_add_f64 v[52:53], v[64:65], -v[52:53]
	s_andn2_saveexec_b64 s[0:1], s[6:7]
	s_cbranch_execnz .LBB1_138
	s_branch .LBB1_139
.LBB1_137:
	s_andn2_saveexec_b64 s[0:1], s[6:7]
	s_cbranch_execz .LBB1_139
.LBB1_138:
	s_mov_b32 s6, 0x6dc9c883
	s_mov_b32 s7, 0x3fe45f30
	v_mul_f64 v[50:51], |v[30:31]|, s[6:7]
	s_mov_b32 s6, 0x54442d18
	v_rndne_f64_e32 v[54:55], v[50:51]
	s_mov_b32 s7, 0xbff921fb
	v_fma_f64 v[50:51], v[54:55], s[6:7], |v[30:31]|
	s_mov_b32 s7, 0xbc91a626
	s_mov_b32 s6, 0x33145c00
	v_mul_f64 v[64:65], v[54:55], s[6:7]
	v_add_f64 v[68:69], v[50:51], v[64:65]
	v_fma_f64 v[52:53], s[6:7], v[54:55], v[50:51]
	s_mov_b32 s7, 0x3c91a626
	v_add_f64 v[50:51], v[50:51], -v[68:69]
	v_fma_f64 v[66:67], s[6:7], v[54:55], v[64:65]
	v_add_f64 v[50:51], v[50:51], v[64:65]
	v_add_f64 v[64:65], v[68:69], -v[52:53]
	v_add_f64 v[50:51], v[64:65], v[50:51]
	s_mov_b32 s6, 0x252049c0
	v_add_f64 v[64:65], v[50:51], -v[66:67]
	s_mov_b32 s7, 0xb97b839a
	v_fmac_f64_e32 v[64:65], s[6:7], v[54:55]
	v_add_f64 v[50:51], v[52:53], v[64:65]
	v_add_f64 v[52:53], v[50:51], -v[52:53]
	v_add_f64 v[52:53], v[64:65], -v[52:53]
	v_cvt_i32_f64_e32 v68, v[54:55]
.LBB1_139:
	s_or_b64 exec, exec, s[0:1]
	s_mov_b32 s0, 0
	v_mul_f64 v[54:55], v[32:33], v[32:33]
	s_mov_b32 s1, 0x40390000
	v_div_scale_f64 v[64:65], s[6:7], v[54:55], v[54:55], s[0:1]
	v_rcp_f64_e32 v[66:67], v[64:65]
	v_mov_b32_e32 v82, 0xb1759c7f
	v_mov_b32_e32 v83, 0x408ac370
	;; [unrolled: 1-line block ×3, first 2 shown]
	v_fma_f64 v[70:71], -v[64:65], v[66:67], 1.0
	v_fmac_f64_e32 v[66:67], v[66:67], v[70:71]
	v_fma_f64 v[70:71], -v[64:65], v[66:67], 1.0
	v_fmac_f64_e32 v[66:67], v[66:67], v[70:71]
	v_div_scale_f64 v[70:71], vcc, s[0:1], v[54:55], s[0:1]
	v_mul_f64 v[80:81], v[70:71], v[66:67]
	v_fma_f64 v[64:65], -v[64:65], v[80:81], v[70:71]
	v_mov_b32_e32 v70, 0xab5454e3
	s_nop 0
	v_div_fmas_f64 v[64:65], v[64:65], v[66:67], v[80:81]
	v_div_fixup_f64 v[54:55], v[64:65], v[54:55], s[0:1]
	v_mov_b32_e32 v64, 0x983b6b27
	v_mov_b32_e32 v65, 0x3f4a1d30
	v_fmac_f64_e32 v[64:65], 0, v[54:55]
	v_mov_b32_e32 v66, 0xb35dd1cf
	v_mov_b32_e32 v67, 0x3fb534b0
	v_fmac_f64_e32 v[66:67], v[54:55], v[64:65]
	;; [unrolled: 3-line block ×7, first 2 shown]
	v_mov_b32_e32 v71, 0x3fb5ebc5
	v_fmac_f64_e32 v[70:71], v[54:55], v[64:65]
	v_mov_b32_e32 v64, 0xc9b3069f
	v_mov_b32_e32 v65, 0x3ff40e72
	v_fmac_f64_e32 v[64:65], v[54:55], v[70:71]
	v_mov_b32_e32 v70, 0xe68162bb
	;; [unrolled: 3-line block ×4, first 2 shown]
	v_mov_b32_e32 v71, 0x40153965
	v_fmac_f64_e32 v[70:71], v[54:55], v[64:65]
	v_fma_f64 v[64:65], v[54:55], v[70:71], 1.0
	v_mov_b32_e32 v70, 0x38a5384a
	v_mov_b32_e32 v71, 0xbf874742
	v_fmac_f64_e32 v[70:71], 0, v[54:55]
	v_mov_b32_e32 v80, 0x3a321174
	v_mov_b32_e32 v81, 0xbff4853b
	v_fmac_f64_e32 v[80:81], v[54:55], v[70:71]
	;; [unrolled: 3-line block ×9, first 2 shown]
	v_fmac_f64_e32 v[82:83], v[54:55], v[70:71]
	v_mov_b32_e32 v70, 0xbd748cb5
	v_mov_b32_e32 v71, 0x40ae54cd
	v_fmac_f64_e32 v[70:71], v[54:55], v[82:83]
	v_mov_b32_e32 v82, 0xbdefd63e
	v_mov_b32_e32 v83, 0x40bc4877
	;; [unrolled: 3-line block ×4, first 2 shown]
	v_fma_f64 v[66:67], v[54:55], v[66:67], 1.0
	v_fmac_f64_e32 v[82:83], v[54:55], v[70:71]
	v_div_scale_f64 v[70:71], s[0:1], v[64:65], v[64:65], v[66:67]
	v_rcp_f64_e32 v[84:85], v[70:71]
	v_mov_b32_e32 v87, 0x406e402f
	v_fmac_f64_e32 v[86:87], v[54:55], v[82:83]
	s_mov_b32 s0, 0x9037ab78
	v_fma_f64 v[54:55], -v[70:71], v[84:85], 1.0
	v_fmac_f64_e32 v[84:85], v[84:85], v[54:55]
	v_fma_f64 v[54:55], -v[70:71], v[84:85], 1.0
	v_fmac_f64_e32 v[84:85], v[84:85], v[54:55]
	v_div_scale_f64 v[54:55], vcc, v[66:67], v[64:65], v[66:67]
	v_mul_f64 v[82:83], v[54:55], v[84:85]
	v_fma_f64 v[54:55], -v[70:71], v[82:83], v[54:55]
	s_mov_b32 s1, 0x3e21eeb6
	s_nop 0
	v_div_fmas_f64 v[54:55], v[54:55], v[84:85], v[82:83]
	s_mov_b32 s6, 0x46cc5e42
	v_div_fixup_f64 v[54:55], v[54:55], v[64:65], v[66:67]
	v_mul_f64 v[64:65], v[36:37], v[36:37]
	s_mov_b32 s7, 0xbda907db
	v_mov_b64_e32 v[84:85], s[0:1]
	s_mov_b32 s8, 0xa17f65f6
	v_mul_f64 v[66:67], v[64:65], 0.5
	v_fma_f64 v[96:97], s[6:7], v[64:65], v[84:85]
	s_mov_b32 s9, 0xbe927e4f
	s_mov_b32 s10, 0x19f4ec90
	v_add_f64 v[70:71], -v[66:67], 1.0
	v_fma_f64 v[96:97], v[64:65], v[96:97], s[8:9]
	s_mov_b32 s11, 0x3efa01a0
	s_mov_b32 s12, 0x16c16967
	v_add_f64 v[82:83], -v[70:71], 1.0
	v_fma_f64 v[96:97], v[64:65], v[96:97], s[10:11]
	s_mov_b32 s13, 0xbf56c16c
	s_mov_b32 s14, 0x55555555
	v_add_f64 v[66:67], v[82:83], -v[66:67]
	v_fma_f64 v[96:97], v[64:65], v[96:97], s[12:13]
	s_mov_b32 s15, 0x3fa55555
	v_mul_f64 v[82:83], v[64:65], v[64:65]
	v_fma_f64 v[96:97], v[64:65], v[96:97], s[14:15]
	v_fma_f64 v[66:67], v[36:37], -v[38:39], v[66:67]
	s_mov_b32 s0, 0xb42fdfa7
	v_fmac_f64_e32 v[66:67], v[82:83], v[96:97]
	s_mov_b32 s1, 0xbe5ae600
	s_mov_b32 s16, 0xf9a43bb8
	v_add_f64 v[66:67], v[70:71], v[66:67]
	s_mov_b32 s17, 0x3de5e0b2
	v_mov_b64_e32 v[70:71], s[0:1]
	s_mov_b32 s18, 0x796cde01
	v_fma_f64 v[82:83], s[16:17], v[64:65], v[70:71]
	s_mov_b32 s19, 0x3ec71de3
	s_mov_b32 s20, 0x19e83e5c
	v_fma_f64 v[82:83], v[64:65], v[82:83], s[18:19]
	s_mov_b32 s21, 0xbf2a01a0
	;; [unrolled: 3-line block ×3, first 2 shown]
	v_fma_f64 v[82:83], v[64:65], v[82:83], s[22:23]
	v_mul_f64 v[96:97], v[36:37], -v[64:65]
	v_mul_f64 v[98:99], v[38:39], 0.5
	v_fmac_f64_e32 v[98:99], v[96:97], v[82:83]
	v_fma_f64 v[38:39], v[64:65], v[98:99], -v[38:39]
	s_mov_b32 s25, 0xbfc55555
	s_mov_b32 s24, s14
	v_fmac_f64_e32 v[38:39], s[24:25], v[96:97]
	v_add_f64 v[36:37], v[36:37], -v[38:39]
	v_and_b32_e32 v38, 1, v49
	v_cmp_eq_u32_e32 vcc, 0, v38
	s_mov_b32 s26, 0
	s_mov_b32 s27, 0x40140000
	v_cndmask_b32_e32 v64, v66, v36, vcc
	v_cndmask_b32_e32 v36, v67, v37, vcc
	v_lshlrev_b32_e32 v37, 30, v49
	v_xor_b32_e32 v37, v37, v31
	v_and_b32_e32 v37, 0x80000000, v37
	v_xor_b32_e32 v49, v36, v37
	v_div_scale_f64 v[36:37], s[0:1], v[32:33], v[32:33], s[26:27]
	v_rcp_f64_e32 v[38:39], v[36:37]
	s_movk_i32 s28, 0x1f8
	v_cmp_class_f64_e64 s[0:1], v[30:31], s28
	v_mov_b32_e32 v69, 0x7ff80000
	s_nop 0
	v_cndmask_b32_e64 v30, 0, v64, s[0:1]
	v_fma_f64 v[64:65], -v[36:37], v[38:39], 1.0
	v_fmac_f64_e32 v[38:39], v[38:39], v[64:65]
	v_fma_f64 v[64:65], -v[36:37], v[38:39], 1.0
	v_fmac_f64_e32 v[38:39], v[38:39], v[64:65]
	v_div_scale_f64 v[64:65], vcc, s[26:27], v[32:33], s[26:27]
	v_mul_f64 v[66:67], v[64:65], v[38:39]
	v_fma_f64 v[36:37], -v[36:37], v[66:67], v[64:65]
	v_div_scale_f64 v[64:65], s[28:29], v[86:87], v[86:87], v[80:81]
	v_rcp_f64_e32 v[82:83], v[64:65]
	v_div_fmas_f64 v[36:37], v[36:37], v[38:39], v[66:67]
	v_div_fixup_f64 v[36:37], v[36:37], v[32:33], s[26:27]
	v_cndmask_b32_e64 v31, v69, v49, s[0:1]
	v_fma_f64 v[38:39], -v[64:65], v[82:83], 1.0
	v_fmac_f64_e32 v[82:83], v[82:83], v[38:39]
	v_fma_f64 v[38:39], -v[64:65], v[82:83], 1.0
	v_fmac_f64_e32 v[82:83], v[82:83], v[38:39]
	v_div_scale_f64 v[38:39], vcc, v[80:81], v[86:87], v[80:81]
	v_mul_f64 v[66:67], v[38:39], v[82:83]
	v_fma_f64 v[38:39], -v[64:65], v[66:67], v[38:39]
	v_and_b32_e32 v49, 1, v68
	s_nop 0
	v_div_fmas_f64 v[38:39], v[38:39], v[82:83], v[66:67]
	v_div_fixup_f64 v[38:39], v[38:39], v[86:87], v[80:81]
	v_mul_f64 v[36:37], v[36:37], v[38:39]
	v_mul_f64 v[38:39], v[50:51], v[50:51]
	v_mul_f64 v[64:65], v[38:39], 0.5
	v_fmac_f64_e32 v[84:85], s[6:7], v[38:39]
	v_add_f64 v[66:67], -v[64:65], 1.0
	v_fma_f64 v[82:83], v[38:39], v[84:85], s[8:9]
	v_add_f64 v[80:81], -v[66:67], 1.0
	v_fma_f64 v[82:83], v[38:39], v[82:83], s[10:11]
	v_add_f64 v[64:65], v[80:81], -v[64:65]
	v_fma_f64 v[82:83], v[38:39], v[82:83], s[12:13]
	v_mul_f64 v[80:81], v[38:39], v[38:39]
	v_fma_f64 v[82:83], v[38:39], v[82:83], s[14:15]
	v_fma_f64 v[64:65], v[50:51], -v[52:53], v[64:65]
	v_fmac_f64_e32 v[64:65], v[80:81], v[82:83]
	v_fmac_f64_e32 v[70:71], s[16:17], v[38:39]
	v_add_f64 v[64:65], v[66:67], v[64:65]
	v_fma_f64 v[66:67], v[38:39], v[70:71], s[18:19]
	v_fma_f64 v[66:67], v[38:39], v[66:67], s[20:21]
	;; [unrolled: 1-line block ×3, first 2 shown]
	v_mul_f64 v[70:71], v[50:51], -v[38:39]
	v_mul_f64 v[80:81], v[52:53], 0.5
	v_fmac_f64_e32 v[80:81], v[70:71], v[66:67]
	v_fma_f64 v[38:39], v[38:39], v[80:81], -v[52:53]
	v_fmac_f64_e32 v[38:39], s[24:25], v[70:71]
	v_add_f64 v[38:39], v[50:51], -v[38:39]
	v_xor_b32_e32 v39, 0x80000000, v39
	v_cmp_eq_u32_e32 vcc, 0, v49
	v_lshlrev_b32_e32 v49, 30, v68
	v_and_b32_e32 v49, 0x80000000, v49
	v_cndmask_b32_e32 v39, v39, v65, vcc
	v_cndmask_b32_e32 v38, v38, v64, vcc
	v_xor_b32_e32 v39, v39, v49
	v_cndmask_b32_e64 v38, 0, v38, s[0:1]
	v_cndmask_b32_e64 v39, v69, v39, s[0:1]
	s_mov_b32 s0, 0
	s_brev_b32 s1, 8
	v_mul_f64 v[36:37], v[36:37], v[38:39]
	v_cmp_gt_f64_e32 vcc, s[0:1], v[32:33]
	v_fmac_f64_e32 v[36:37], v[54:55], v[30:31]
	s_mov_b32 s0, 0x33d43651
	v_cndmask_b32_e64 v30, 0, 1, vcc
	v_lshlrev_b32_e32 v30, 8, v30
	v_ldexp_f64 v[30:31], v[32:33], v30
	v_rsq_f64_e32 v[32:33], v[30:31]
	s_mov_b32 s1, 0x3fe98845
	v_mul_f64 v[36:37], v[36:37], s[0:1]
	v_mul_f64 v[38:39], v[30:31], v[32:33]
	v_mul_f64 v[32:33], v[32:33], 0.5
	v_fma_f64 v[50:51], -v[32:33], v[38:39], 0.5
	v_fmac_f64_e32 v[38:39], v[38:39], v[50:51]
	v_fma_f64 v[52:53], -v[38:39], v[38:39], v[30:31]
	v_fmac_f64_e32 v[32:33], v[32:33], v[50:51]
	v_fmac_f64_e32 v[38:39], v[52:53], v[32:33]
	v_fma_f64 v[50:51], -v[38:39], v[38:39], v[30:31]
	v_fmac_f64_e32 v[38:39], v[50:51], v[32:33]
	v_mov_b32_e32 v32, 0xffffff80
	v_cndmask_b32_e32 v32, 0, v32, vcc
	v_ldexp_f64 v[32:33], v[38:39], v32
	v_mov_b32_e32 v38, 0x260
	v_cmp_class_f64_e32 vcc, v[30:31], v38
	s_nop 1
	v_cndmask_b32_e32 v31, v33, v31, vcc
	v_cndmask_b32_e32 v30, v32, v30, vcc
	v_div_scale_f64 v[32:33], s[0:1], v[30:31], v[30:31], v[36:37]
	v_rcp_f64_e32 v[38:39], v[32:33]
	s_nop 0
	v_fma_f64 v[50:51], -v[32:33], v[38:39], 1.0
	v_fmac_f64_e32 v[38:39], v[38:39], v[50:51]
	v_fma_f64 v[50:51], -v[32:33], v[38:39], 1.0
	v_fmac_f64_e32 v[38:39], v[38:39], v[50:51]
	v_div_scale_f64 v[50:51], vcc, v[36:37], v[30:31], v[36:37]
	v_mul_f64 v[52:53], v[50:51], v[38:39]
	v_fma_f64 v[32:33], -v[32:33], v[52:53], v[50:51]
	s_nop 1
	v_div_fmas_f64 v[32:33], v[32:33], v[38:39], v[52:53]
	v_div_fixup_f64 v[30:31], v[32:33], v[30:31], v[36:37]
.LBB1_140:
	s_or_b64 exec, exec, s[4:5]
	s_mov_b32 s0, 0
	s_mov_b32 s1, 0x40140000
	v_cmp_ge_f64_e32 vcc, s[0:1], v[34:35]
	s_and_saveexec_b64 s[0:1], vcc
	s_xor_b64 s[0:1], exec, s[0:1]
	s_cbranch_execz .LBB1_150
; %bb.141:
	v_mov_b32_e32 v32, 0
	v_cmp_neq_f64_e32 vcc, 0, v[34:35]
	v_mov_b32_e32 v33, 0xfff00000
	s_and_saveexec_b64 s[4:5], vcc
	s_cbranch_execz .LBB1_149
; %bb.142:
	v_mov_b32_e32 v32, 0
	v_cmp_ngt_f64_e32 vcc, 0, v[34:35]
	v_mov_b32_e32 v33, 0x7ff80000
	s_and_saveexec_b64 s[6:7], vcc
	s_cbranch_execz .LBB1_148
; %bb.143:
	s_mov_b32 s8, 0x88e368f1
	v_mul_f64 v[32:33], v[34:35], v[34:35]
	s_mov_b32 s9, 0x3ee4f8b5
	v_mul_f64 v[38:39], v[32:33], 0
	v_cmp_ngt_f64_e32 vcc, s[8:9], v[34:35]
                                        ; implicit-def: $vgpr36_vgpr37
	s_and_saveexec_b64 s[8:9], vcc
	s_xor_b64 s[8:9], exec, s[8:9]
	s_cbranch_execz .LBB1_145
; %bb.144:
	s_mov_b32 s10, 0xad1c8325
	s_mov_b32 s11, 0xc1f1dc53
	v_add_f64 v[36:37], v[38:39], s[10:11]
	v_mov_b32_e32 v50, 0xc772990d
	v_mov_b32_e32 v51, 0x427c7751
	s_mov_b32 s10, 0xa696b78c
	v_fmac_f64_e32 v[50:51], v[32:33], v[36:37]
	v_mov_b32_e32 v36, 0xe0d900f7
	v_mov_b32_e32 v37, 0xc2ec5614
	s_mov_b32 s11, 0x407f3902
	v_fmac_f64_e32 v[36:37], v[32:33], v[50:51]
	v_add_f64 v[50:51], v[38:39], s[10:11]
	v_mov_b32_e32 v52, 0x36a21a67
	v_mov_b32_e32 v53, 0x410536cb
	v_fmac_f64_e32 v[52:53], v[32:33], v[50:51]
	v_mov_b32_e32 v50, 0x2eac0634
	v_mov_b32_e32 v51, 0x41871934
	v_fmac_f64_e32 v[50:51], v[32:33], v[52:53]
	;; [unrolled: 3-line block ×6, first 2 shown]
	v_mov_b32_e32 v52, 0xc7b662cc
	v_mov_b32_e32 v53, 0x43b7be34
	s_mov_b32 s10, 0x80462bbb
	v_fmac_f64_e32 v[52:53], v[32:33], v[50:51]
	v_mov_b32_e32 v50, 0x69ff5fb4
	v_mov_b32_e32 v51, 0x43413ef8
	s_mov_b32 s11, 0xc01721fb
	v_fmac_f64_e32 v[50:51], v[32:33], v[36:37]
	v_add_f64 v[36:37], v[32:33], s[10:11]
	s_mov_b32 s10, 0xa621dd6f
	s_mov_b32 s11, 0xc03e78a4
	v_add_f64 v[54:55], v[32:33], s[10:11]
	v_mul_f64 v[36:37], v[36:37], v[54:55]
	v_mul_f64 v[36:37], v[36:37], v[50:51]
	v_div_scale_f64 v[50:51], s[10:11], v[52:53], v[52:53], v[36:37]
	v_rcp_f64_e32 v[54:55], v[50:51]
	s_nop 0
	v_fma_f64 v[64:65], -v[50:51], v[54:55], 1.0
	v_fmac_f64_e32 v[54:55], v[54:55], v[64:65]
	v_fma_f64 v[64:65], -v[50:51], v[54:55], 1.0
	v_fmac_f64_e32 v[54:55], v[54:55], v[64:65]
	v_div_scale_f64 v[64:65], vcc, v[36:37], v[52:53], v[36:37]
	v_mul_f64 v[66:67], v[64:65], v[54:55]
	v_fma_f64 v[50:51], -v[50:51], v[66:67], v[64:65]
	s_nop 1
	v_div_fmas_f64 v[50:51], v[50:51], v[54:55], v[66:67]
	v_div_fixup_f64 v[36:37], v[50:51], v[52:53], v[36:37]
.LBB1_145:
	s_andn2_saveexec_b64 s[8:9], s[8:9]
; %bb.146:
	s_mov_b32 s10, 0
	s_mov_b32 s11, 0xbfd00000
	v_fma_f64 v[36:37], v[32:33], s[10:11], 1.0
; %bb.147:
	s_or_b64 exec, exec, s[8:9]
	s_mov_b32 s8, 0xe896898f
	s_mov_b32 s9, 0x40ce7437
	v_add_f64 v[50:51], v[38:39], s[8:9]
	v_mov_b32_e32 v52, 0x32e48896
	v_mov_b32_e32 v53, 0xc16bf81f
	v_fmac_f64_e32 v[52:53], v[32:33], v[50:51]
	v_mov_b32_e32 v50, 0xf0284cdd
	v_mov_b32_e32 v51, 0x41f43f78
	v_fmac_f64_e32 v[50:51], v[32:33], v[52:53]
	;; [unrolled: 3-line block ×4, first 2 shown]
	v_mov_b32_e32 v52, 0xd1d8cc02
	v_mov_b32_e32 v53, 0xc328a121
	s_mov_b32 s8, 0x576dfcb6
	v_fmac_f64_e32 v[52:53], v[32:33], v[50:51]
	v_mov_b32_e32 v50, 0x660b4003
	v_mov_b32_e32 v51, 0x4363a94b
	s_mov_b32 s9, 0x40904522
	v_fmac_f64_e32 v[50:51], v[32:33], v[52:53]
	v_add_f64 v[38:39], v[38:39], s[8:9]
	v_mov_b32_e32 v52, 0xa907bc0c
	v_mov_b32_e32 v53, 0x41231b76
	v_fmac_f64_e32 v[52:53], v[32:33], v[38:39]
	v_mov_b32_e32 v38, 0x5164d101
	v_mov_b32_e32 v39, 0x41b00763
	v_fmac_f64_e32 v[38:39], v[32:33], v[52:53]
	;; [unrolled: 3-line block ×7, first 2 shown]
	v_div_scale_f64 v[32:33], s[8:9], v[38:39], v[38:39], v[52:53]
	v_rcp_f64_e32 v[50:51], v[32:33]
	s_mov_b32 s8, 0x55555555
	v_frexp_exp_i32_f64_e32 v49, v[34:35]
	v_frexp_mant_f64_e32 v[34:35], v[34:35]
	v_fma_f64 v[54:55], -v[32:33], v[50:51], 1.0
	v_fmac_f64_e32 v[50:51], v[50:51], v[54:55]
	v_fma_f64 v[54:55], -v[32:33], v[50:51], 1.0
	v_fmac_f64_e32 v[50:51], v[50:51], v[54:55]
	v_div_scale_f64 v[54:55], vcc, v[52:53], v[38:39], v[52:53]
	v_mul_f64 v[64:65], v[54:55], v[50:51]
	v_fma_f64 v[32:33], -v[32:33], v[64:65], v[54:55]
	s_mov_b32 s9, 0x3fe55555
	s_nop 0
	v_div_fmas_f64 v[32:33], v[32:33], v[50:51], v[64:65]
	v_div_fixup_f64 v[32:33], v[32:33], v[38:39], v[52:53]
	v_mov_b32_e32 v38, 0x3ff00000
	v_cmp_gt_f64_e32 vcc, s[8:9], v[34:35]
	s_mov_b32 s8, 0xbf559e2b
	s_mov_b32 s9, 0x3fc3ab76
	v_cndmask_b32_e64 v39, v38, 2.0, vcc
	v_mov_b32_e32 v38, 0
	v_mul_f64 v[34:35], v[34:35], v[38:39]
	v_add_f64 v[38:39], v[34:35], 1.0
	v_rcp_f64_e32 v[50:51], v[38:39]
	v_add_f64 v[54:55], v[38:39], -1.0
	v_add_f64 v[52:53], v[34:35], -1.0
	v_add_f64 v[34:35], v[34:35], -v[54:55]
	v_fma_f64 v[54:55], -v[38:39], v[50:51], 1.0
	v_fmac_f64_e32 v[50:51], v[54:55], v[50:51]
	v_fma_f64 v[54:55], -v[38:39], v[50:51], 1.0
	v_fmac_f64_e32 v[50:51], v[54:55], v[50:51]
	v_mul_f64 v[54:55], v[52:53], v[50:51]
	v_mul_f64 v[64:65], v[38:39], v[54:55]
	v_fma_f64 v[38:39], v[54:55], v[38:39], -v[64:65]
	v_fmac_f64_e32 v[38:39], v[54:55], v[34:35]
	v_add_f64 v[34:35], v[64:65], v[38:39]
	v_add_f64 v[66:67], v[52:53], -v[34:35]
	v_add_f64 v[64:65], v[34:35], -v[64:65]
	;; [unrolled: 1-line block ×5, first 2 shown]
	v_add_f64 v[34:35], v[38:39], v[34:35]
	v_add_f64 v[34:35], v[66:67], v[34:35]
	v_mul_f64 v[34:35], v[50:51], v[34:35]
	v_add_f64 v[38:39], v[54:55], v[34:35]
	v_add_f64 v[50:51], v[38:39], -v[54:55]
	v_add_f64 v[34:35], v[34:35], -v[50:51]
	v_mul_f64 v[50:51], v[38:39], v[38:39]
	v_mov_b32_e32 v52, 0x6b47b09a
	v_mov_b32_e32 v53, 0x3fc38538
	v_fmac_f64_e32 v[52:53], s[8:9], v[50:51]
	v_mov_b32_e32 v54, 0xd7f4df2e
	v_mov_b32_e32 v55, 0x3fc7474d
	v_fmac_f64_e32 v[54:55], v[50:51], v[52:53]
	;; [unrolled: 3-line block ×6, first 2 shown]
	v_ldexp_f64 v[52:53], v[38:39], 1
	v_mul_f64 v[38:39], v[38:39], v[50:51]
	v_mul_f64 v[38:39], v[38:39], v[54:55]
	v_add_f64 v[50:51], v[52:53], v[38:39]
	v_add_f64 v[52:53], v[50:51], -v[52:53]
	v_ldexp_f64 v[34:35], v[34:35], 1
	v_add_f64 v[38:39], v[38:39], -v[52:53]
	v_add_f64 v[34:35], v[34:35], v[38:39]
	v_add_f64 v[38:39], v[50:51], v[34:35]
	v_subbrev_co_u32_e32 v49, vcc, 0, v49, vcc
	v_add_f64 v[50:51], v[38:39], -v[50:51]
	s_mov_b32 s8, 0xfefa39ef
	v_add_f64 v[34:35], v[34:35], -v[50:51]
	v_cvt_f64_i32_e32 v[50:51], v49
	s_mov_b32 s9, 0x3fe62e42
	v_mul_f64 v[52:53], v[50:51], s[8:9]
	v_fma_f64 v[54:55], v[50:51], s[8:9], -v[52:53]
	s_mov_b32 s8, 0x3b39803f
	s_mov_b32 s9, 0x3c7abc9e
	v_fmac_f64_e32 v[54:55], s[8:9], v[50:51]
	v_add_f64 v[50:51], v[52:53], v[54:55]
	v_add_f64 v[52:53], v[50:51], -v[52:53]
	v_add_f64 v[52:53], v[54:55], -v[52:53]
	v_add_f64 v[54:55], v[50:51], v[38:39]
	v_add_f64 v[64:65], v[54:55], -v[50:51]
	v_add_f64 v[66:67], v[54:55], -v[64:65]
	;; [unrolled: 1-line block ×4, first 2 shown]
	v_add_f64 v[38:39], v[38:39], v[50:51]
	v_add_f64 v[50:51], v[52:53], v[34:35]
	v_add_f64 v[64:65], v[50:51], -v[52:53]
	v_add_f64 v[66:67], v[50:51], -v[64:65]
	v_add_f64 v[38:39], v[50:51], v[38:39]
	v_add_f64 v[52:53], v[52:53], -v[66:67]
	v_add_f64 v[34:35], v[34:35], -v[64:65]
	v_add_f64 v[50:51], v[54:55], v[38:39]
	v_add_f64 v[34:35], v[34:35], v[52:53]
	v_add_f64 v[52:53], v[50:51], -v[54:55]
	v_add_f64 v[38:39], v[38:39], -v[52:53]
	v_add_f64 v[34:35], v[34:35], v[38:39]
	s_mov_b32 s8, 0x6dc9c883
	v_add_f64 v[34:35], v[50:51], v[34:35]
	s_mov_b32 s9, 0x3fe45f30
	v_mul_f64 v[34:35], v[34:35], s[8:9]
	v_fmac_f64_e32 v[32:33], v[34:35], v[36:37]
.LBB1_148:
	s_or_b64 exec, exec, s[6:7]
.LBB1_149:
	s_or_b64 exec, exec, s[4:5]
                                        ; implicit-def: $vgpr34_vgpr35
.LBB1_150:
	s_andn2_saveexec_b64 s[4:5], s[0:1]
	s_cbranch_execz .LBB1_160
; %bb.151:
	s_mov_b32 s9, 0xbfe921fb
	s_mov_b32 s8, 0x54442d18
	;; [unrolled: 1-line block ×3, first 2 shown]
	v_add_f64 v[32:33], v[34:35], s[8:9]
	s_mov_b32 s1, 0x41d00000
	v_cmp_nlt_f64_e64 s[6:7], |v[32:33]|, s[0:1]
	v_trig_preop_f64 v[66:67], |v[32:33]|, 0
	v_trig_preop_f64 v[64:65], |v[32:33]|, 1
	;; [unrolled: 1-line block ×3, first 2 shown]
                                        ; implicit-def: $vgpr49
                                        ; implicit-def: $vgpr36_vgpr37
                                        ; implicit-def: $vgpr38_vgpr39
	s_and_saveexec_b64 s[0:1], s[6:7]
	s_xor_b64 s[10:11], exec, s[0:1]
	s_cbranch_execz .LBB1_153
; %bb.152:
	s_mov_b32 s0, 0
	s_mov_b32 s1, 0x7b000000
	s_movk_i32 s9, 0xff80
	v_and_b32_e32 v38, 0x7fffffff, v33
	v_ldexp_f64 v[36:37], |v[32:33]|, s9
	v_cmp_ge_f64_e64 vcc, |v[32:33]|, s[0:1]
	s_mov_b32 s0, 0
	s_mov_b32 s1, 0x7ff00000
	v_cndmask_b32_e32 v37, v38, v37, vcc
	v_cndmask_b32_e32 v36, v32, v36, vcc
	v_mul_f64 v[50:51], v[66:67], v[36:37]
	v_mul_f64 v[38:39], v[64:65], v[36:37]
	v_fma_f64 v[52:53], v[66:67], v[36:37], -v[50:51]
	v_add_f64 v[68:69], v[38:39], v[52:53]
	v_add_f64 v[70:71], v[50:51], v[68:69]
	v_ldexp_f64 v[80:81], v[70:71], -2
	v_fract_f64_e32 v[82:83], v[80:81]
	v_cmp_neq_f64_e64 vcc, |v[80:81]|, s[0:1]
	v_add_f64 v[50:51], v[70:71], -v[50:51]
	v_add_f64 v[50:51], v[68:69], -v[50:51]
	v_cndmask_b32_e32 v81, 0, v83, vcc
	v_cndmask_b32_e32 v80, 0, v82, vcc
	v_add_f64 v[82:83], v[68:69], -v[38:39]
	v_add_f64 v[52:53], v[52:53], -v[82:83]
	;; [unrolled: 1-line block ×4, first 2 shown]
	v_add_f64 v[52:53], v[52:53], v[82:83]
	v_fma_f64 v[38:39], v[64:65], v[36:37], -v[38:39]
	v_mul_f64 v[82:83], v[54:55], v[36:37]
	v_add_f64 v[86:87], v[82:83], v[38:39]
	v_add_f64 v[96:97], v[86:87], v[52:53]
	v_add_f64 v[70:71], v[96:97], -v[86:87]
	v_add_f64 v[52:53], v[52:53], -v[70:71]
	;; [unrolled: 1-line block ×4, first 2 shown]
	v_add_f64 v[52:53], v[52:53], v[70:71]
	v_add_f64 v[70:71], v[86:87], -v[82:83]
	v_add_f64 v[38:39], v[38:39], -v[70:71]
	;; [unrolled: 1-line block ×4, first 2 shown]
	v_add_f64 v[68:69], v[50:51], v[96:97]
	v_add_f64 v[38:39], v[38:39], v[70:71]
	v_add_f64 v[50:51], v[68:69], -v[50:51]
	v_add_f64 v[38:39], v[38:39], v[52:53]
	v_fma_f64 v[36:37], v[54:55], v[36:37], -v[82:83]
	v_add_f64 v[50:51], v[96:97], -v[50:51]
	v_add_f64 v[36:37], v[36:37], v[38:39]
	v_ldexp_f64 v[38:39], v[80:81], 2
	v_add_f64 v[36:37], v[50:51], v[36:37]
	v_add_f64 v[50:51], v[68:69], v[38:39]
	v_mov_b32_e32 v49, 0x40100000
	v_cmp_gt_f64_e32 vcc, 0, v[50:51]
	v_mov_b32_e32 v84, 0
	s_mov_b32 s9, 0x3ff921fb
	v_cndmask_b32_e32 v85, 0, v49, vcc
	v_add_f64 v[38:39], v[38:39], v[84:85]
	v_add_f64 v[50:51], v[68:69], v[38:39]
	v_cvt_i32_f64_e32 v49, v[50:51]
	v_cvt_f64_i32_e32 v[50:51], v49
	v_add_f64 v[38:39], v[38:39], -v[50:51]
	v_add_f64 v[50:51], v[68:69], v[38:39]
	v_add_f64 v[38:39], v[50:51], -v[38:39]
	v_add_f64 v[38:39], v[68:69], -v[38:39]
	v_add_f64 v[36:37], v[36:37], v[38:39]
	v_cmp_le_f64_e32 vcc, 0.5, v[50:51]
	v_mov_b32_e32 v38, 0x3ff00000
	s_nop 0
	v_cndmask_b32_e32 v85, 0, v38, vcc
	v_add_f64 v[38:39], v[50:51], -v[84:85]
	v_add_f64 v[50:51], v[38:39], v[36:37]
	v_addc_co_u32_e64 v49, s[0:1], 0, v49, vcc
	v_add_f64 v[38:39], v[50:51], -v[38:39]
	v_add_f64 v[36:37], v[36:37], -v[38:39]
	v_mul_f64 v[38:39], v[50:51], s[8:9]
	s_mov_b32 s0, 0x33145c07
	v_fma_f64 v[52:53], v[50:51], s[8:9], -v[38:39]
	s_mov_b32 s1, 0x3c91a626
	v_fmac_f64_e32 v[52:53], s[0:1], v[50:51]
	v_fmac_f64_e32 v[52:53], s[8:9], v[36:37]
	v_add_f64 v[36:37], v[38:39], v[52:53]
	v_add_f64 v[38:39], v[36:37], -v[38:39]
	v_add_f64 v[38:39], v[52:53], -v[38:39]
	s_andn2_saveexec_b64 s[0:1], s[10:11]
	s_cbranch_execz .LBB1_155
	s_branch .LBB1_154
.LBB1_153:
	s_andn2_saveexec_b64 s[0:1], s[10:11]
	s_cbranch_execz .LBB1_155
.LBB1_154:
	s_mov_b32 s8, 0x6dc9c883
	s_mov_b32 s9, 0x3fe45f30
	v_mul_f64 v[36:37], |v[32:33]|, s[8:9]
	s_mov_b32 s8, 0x54442d18
	v_rndne_f64_e32 v[50:51], v[36:37]
	s_mov_b32 s9, 0xbff921fb
	v_fma_f64 v[36:37], v[50:51], s[8:9], |v[32:33]|
	s_mov_b32 s9, 0xbc91a626
	s_mov_b32 s8, 0x33145c00
	v_mul_f64 v[52:53], v[50:51], s[8:9]
	v_add_f64 v[70:71], v[36:37], v[52:53]
	v_fma_f64 v[38:39], s[8:9], v[50:51], v[36:37]
	s_mov_b32 s9, 0x3c91a626
	v_add_f64 v[36:37], v[36:37], -v[70:71]
	v_fma_f64 v[68:69], s[8:9], v[50:51], v[52:53]
	v_add_f64 v[36:37], v[36:37], v[52:53]
	v_add_f64 v[52:53], v[70:71], -v[38:39]
	v_add_f64 v[36:37], v[52:53], v[36:37]
	s_mov_b32 s8, 0x252049c0
	v_add_f64 v[52:53], v[36:37], -v[68:69]
	s_mov_b32 s9, 0xb97b839a
	v_fmac_f64_e32 v[52:53], s[8:9], v[50:51]
	v_add_f64 v[36:37], v[38:39], v[52:53]
	v_add_f64 v[38:39], v[36:37], -v[38:39]
	v_add_f64 v[38:39], v[52:53], -v[38:39]
	v_cvt_i32_f64_e32 v49, v[50:51]
.LBB1_155:
	s_or_b64 exec, exec, s[0:1]
                                        ; implicit-def: $vgpr68
                                        ; implicit-def: $vgpr50_vgpr51
                                        ; implicit-def: $vgpr52_vgpr53
	s_and_saveexec_b64 s[0:1], s[6:7]
	s_xor_b64 s[6:7], exec, s[0:1]
	s_cbranch_execz .LBB1_157
; %bb.156:
	s_mov_b32 s0, 0
	s_mov_b32 s1, 0x7b000000
	s_movk_i32 s8, 0xff80
	v_and_b32_e32 v52, 0x7fffffff, v33
	v_ldexp_f64 v[50:51], |v[32:33]|, s8
	v_cmp_ge_f64_e64 vcc, |v[32:33]|, s[0:1]
	s_mov_b32 s0, 0
	s_mov_b32 s1, 0x7ff00000
	v_cndmask_b32_e32 v51, v52, v51, vcc
	v_cndmask_b32_e32 v50, v32, v50, vcc
	v_mul_f64 v[68:69], v[66:67], v[50:51]
	v_mul_f64 v[52:53], v[64:65], v[50:51]
	v_fma_f64 v[66:67], v[66:67], v[50:51], -v[68:69]
	v_add_f64 v[70:71], v[52:53], v[66:67]
	v_add_f64 v[80:81], v[68:69], v[70:71]
	v_ldexp_f64 v[82:83], v[80:81], -2
	v_fract_f64_e32 v[84:85], v[82:83]
	v_cmp_neq_f64_e64 vcc, |v[82:83]|, s[0:1]
	v_add_f64 v[68:69], v[80:81], -v[68:69]
	v_add_f64 v[68:69], v[70:71], -v[68:69]
	v_cndmask_b32_e32 v83, 0, v85, vcc
	v_cndmask_b32_e32 v82, 0, v84, vcc
	v_add_f64 v[84:85], v[70:71], -v[52:53]
	v_add_f64 v[66:67], v[66:67], -v[84:85]
	;; [unrolled: 1-line block ×4, first 2 shown]
	v_fma_f64 v[52:53], v[64:65], v[50:51], -v[52:53]
	v_mul_f64 v[64:65], v[54:55], v[50:51]
	v_add_f64 v[66:67], v[66:67], v[84:85]
	v_add_f64 v[84:85], v[64:65], v[52:53]
	;; [unrolled: 1-line block ×3, first 2 shown]
	v_add_f64 v[80:81], v[96:97], -v[84:85]
	v_add_f64 v[66:67], v[66:67], -v[80:81]
	;; [unrolled: 1-line block ×4, first 2 shown]
	v_add_f64 v[66:67], v[66:67], v[80:81]
	v_add_f64 v[80:81], v[84:85], -v[64:65]
	v_add_f64 v[52:53], v[52:53], -v[80:81]
	;; [unrolled: 1-line block ×4, first 2 shown]
	v_add_f64 v[52:53], v[52:53], v[80:81]
	v_add_f64 v[52:53], v[52:53], v[66:67]
	v_fma_f64 v[50:51], v[54:55], v[50:51], -v[64:65]
	v_add_f64 v[70:71], v[68:69], v[96:97]
	v_add_f64 v[50:51], v[50:51], v[52:53]
	v_ldexp_f64 v[52:53], v[82:83], 2
	v_add_f64 v[54:55], v[70:71], v[52:53]
	v_mov_b32_e32 v64, 0x40100000
	v_cmp_gt_f64_e32 vcc, 0, v[54:55]
	v_mov_b32_e32 v86, 0
	v_add_f64 v[68:69], v[70:71], -v[68:69]
	v_cndmask_b32_e32 v87, 0, v64, vcc
	v_add_f64 v[52:53], v[52:53], v[86:87]
	v_add_f64 v[54:55], v[70:71], v[52:53]
	v_cvt_i32_f64_e32 v64, v[54:55]
	v_cvt_f64_i32_e32 v[54:55], v64
	v_add_f64 v[52:53], v[52:53], -v[54:55]
	v_add_f64 v[54:55], v[70:71], v[52:53]
	v_add_f64 v[68:69], v[96:97], -v[68:69]
	v_add_f64 v[52:53], v[54:55], -v[52:53]
	v_add_f64 v[50:51], v[68:69], v[50:51]
	v_add_f64 v[52:53], v[70:71], -v[52:53]
	v_add_f64 v[50:51], v[50:51], v[52:53]
	v_cmp_le_f64_e32 vcc, 0.5, v[54:55]
	v_mov_b32_e32 v52, 0x3ff00000
	s_mov_b32 s8, 0x33145c07
	v_cndmask_b32_e32 v87, 0, v52, vcc
	v_addc_co_u32_e64 v68, s[0:1], 0, v64, vcc
	v_add_f64 v[52:53], v[54:55], -v[86:87]
	v_add_f64 v[54:55], v[52:53], v[50:51]
	s_mov_b32 s0, 0x54442d18
	v_add_f64 v[52:53], v[54:55], -v[52:53]
	s_mov_b32 s1, 0x3ff921fb
	v_add_f64 v[50:51], v[50:51], -v[52:53]
	v_mul_f64 v[52:53], v[54:55], s[0:1]
	v_fma_f64 v[64:65], v[54:55], s[0:1], -v[52:53]
	s_mov_b32 s9, 0x3c91a626
	v_fmac_f64_e32 v[64:65], s[8:9], v[54:55]
	v_fmac_f64_e32 v[64:65], s[0:1], v[50:51]
	v_add_f64 v[50:51], v[52:53], v[64:65]
	v_add_f64 v[52:53], v[50:51], -v[52:53]
	v_add_f64 v[52:53], v[64:65], -v[52:53]
	s_andn2_saveexec_b64 s[0:1], s[6:7]
	s_cbranch_execnz .LBB1_158
	s_branch .LBB1_159
.LBB1_157:
	s_andn2_saveexec_b64 s[0:1], s[6:7]
	s_cbranch_execz .LBB1_159
.LBB1_158:
	s_mov_b32 s6, 0x6dc9c883
	s_mov_b32 s7, 0x3fe45f30
	v_mul_f64 v[50:51], |v[32:33]|, s[6:7]
	s_mov_b32 s6, 0x54442d18
	v_rndne_f64_e32 v[54:55], v[50:51]
	s_mov_b32 s7, 0xbff921fb
	v_fma_f64 v[50:51], v[54:55], s[6:7], |v[32:33]|
	s_mov_b32 s7, 0xbc91a626
	s_mov_b32 s6, 0x33145c00
	v_mul_f64 v[64:65], v[54:55], s[6:7]
	v_add_f64 v[68:69], v[50:51], v[64:65]
	v_fma_f64 v[52:53], s[6:7], v[54:55], v[50:51]
	s_mov_b32 s7, 0x3c91a626
	v_add_f64 v[50:51], v[50:51], -v[68:69]
	v_fma_f64 v[66:67], s[6:7], v[54:55], v[64:65]
	v_add_f64 v[50:51], v[50:51], v[64:65]
	v_add_f64 v[64:65], v[68:69], -v[52:53]
	v_add_f64 v[50:51], v[64:65], v[50:51]
	s_mov_b32 s6, 0x252049c0
	v_add_f64 v[64:65], v[50:51], -v[66:67]
	s_mov_b32 s7, 0xb97b839a
	v_fmac_f64_e32 v[64:65], s[6:7], v[54:55]
	v_add_f64 v[50:51], v[52:53], v[64:65]
	v_add_f64 v[52:53], v[50:51], -v[52:53]
	v_add_f64 v[52:53], v[64:65], -v[52:53]
	v_cvt_i32_f64_e32 v68, v[54:55]
.LBB1_159:
	s_or_b64 exec, exec, s[0:1]
	s_mov_b32 s0, 0
	v_mul_f64 v[54:55], v[34:35], v[34:35]
	s_mov_b32 s1, 0x40390000
	v_div_scale_f64 v[64:65], s[6:7], v[54:55], v[54:55], s[0:1]
	v_rcp_f64_e32 v[66:67], v[64:65]
	v_mov_b32_e32 v82, 0xb1759c7f
	v_mov_b32_e32 v83, 0x408ac370
	;; [unrolled: 1-line block ×3, first 2 shown]
	v_fma_f64 v[70:71], -v[64:65], v[66:67], 1.0
	v_fmac_f64_e32 v[66:67], v[66:67], v[70:71]
	v_fma_f64 v[70:71], -v[64:65], v[66:67], 1.0
	v_fmac_f64_e32 v[66:67], v[66:67], v[70:71]
	v_div_scale_f64 v[70:71], vcc, s[0:1], v[54:55], s[0:1]
	v_mul_f64 v[80:81], v[70:71], v[66:67]
	v_fma_f64 v[64:65], -v[64:65], v[80:81], v[70:71]
	v_mov_b32_e32 v70, 0xab5454e3
	s_nop 0
	v_div_fmas_f64 v[64:65], v[64:65], v[66:67], v[80:81]
	v_div_fixup_f64 v[54:55], v[64:65], v[54:55], s[0:1]
	v_mov_b32_e32 v64, 0x983b6b27
	v_mov_b32_e32 v65, 0x3f4a1d30
	v_fmac_f64_e32 v[64:65], 0, v[54:55]
	v_mov_b32_e32 v66, 0xb35dd1cf
	v_mov_b32_e32 v67, 0x3fb534b0
	v_fmac_f64_e32 v[66:67], v[54:55], v[64:65]
	;; [unrolled: 3-line block ×7, first 2 shown]
	v_mov_b32_e32 v71, 0x3fb5ebc5
	v_fmac_f64_e32 v[70:71], v[54:55], v[64:65]
	v_mov_b32_e32 v64, 0xc9b3069f
	v_mov_b32_e32 v65, 0x3ff40e72
	v_fmac_f64_e32 v[64:65], v[54:55], v[70:71]
	v_mov_b32_e32 v70, 0xe68162bb
	;; [unrolled: 3-line block ×4, first 2 shown]
	v_mov_b32_e32 v71, 0x40153965
	v_fmac_f64_e32 v[70:71], v[54:55], v[64:65]
	v_fma_f64 v[64:65], v[54:55], v[70:71], 1.0
	v_mov_b32_e32 v70, 0x38a5384a
	v_mov_b32_e32 v71, 0xbf874742
	v_fmac_f64_e32 v[70:71], 0, v[54:55]
	v_mov_b32_e32 v80, 0x3a321174
	v_mov_b32_e32 v81, 0xbff4853b
	v_fmac_f64_e32 v[80:81], v[54:55], v[70:71]
	;; [unrolled: 3-line block ×9, first 2 shown]
	v_fmac_f64_e32 v[82:83], v[54:55], v[70:71]
	v_mov_b32_e32 v70, 0xbd748cb5
	v_mov_b32_e32 v71, 0x40ae54cd
	v_fmac_f64_e32 v[70:71], v[54:55], v[82:83]
	v_mov_b32_e32 v82, 0xbdefd63e
	v_mov_b32_e32 v83, 0x40bc4877
	;; [unrolled: 3-line block ×4, first 2 shown]
	v_fma_f64 v[66:67], v[54:55], v[66:67], 1.0
	v_fmac_f64_e32 v[82:83], v[54:55], v[70:71]
	v_div_scale_f64 v[70:71], s[0:1], v[64:65], v[64:65], v[66:67]
	v_rcp_f64_e32 v[84:85], v[70:71]
	v_mov_b32_e32 v87, 0x406e402f
	v_fmac_f64_e32 v[86:87], v[54:55], v[82:83]
	s_mov_b32 s0, 0x9037ab78
	v_fma_f64 v[54:55], -v[70:71], v[84:85], 1.0
	v_fmac_f64_e32 v[84:85], v[84:85], v[54:55]
	v_fma_f64 v[54:55], -v[70:71], v[84:85], 1.0
	v_fmac_f64_e32 v[84:85], v[84:85], v[54:55]
	v_div_scale_f64 v[54:55], vcc, v[66:67], v[64:65], v[66:67]
	v_mul_f64 v[82:83], v[54:55], v[84:85]
	v_fma_f64 v[54:55], -v[70:71], v[82:83], v[54:55]
	s_mov_b32 s1, 0x3e21eeb6
	s_nop 0
	v_div_fmas_f64 v[54:55], v[54:55], v[84:85], v[82:83]
	s_mov_b32 s6, 0x46cc5e42
	v_div_fixup_f64 v[54:55], v[54:55], v[64:65], v[66:67]
	v_mul_f64 v[64:65], v[36:37], v[36:37]
	s_mov_b32 s7, 0xbda907db
	v_mov_b64_e32 v[84:85], s[0:1]
	s_mov_b32 s8, 0xa17f65f6
	v_mul_f64 v[66:67], v[64:65], 0.5
	v_fma_f64 v[96:97], s[6:7], v[64:65], v[84:85]
	s_mov_b32 s9, 0xbe927e4f
	s_mov_b32 s10, 0x19f4ec90
	v_add_f64 v[70:71], -v[66:67], 1.0
	v_fma_f64 v[96:97], v[64:65], v[96:97], s[8:9]
	s_mov_b32 s11, 0x3efa01a0
	s_mov_b32 s12, 0x16c16967
	v_add_f64 v[82:83], -v[70:71], 1.0
	v_fma_f64 v[96:97], v[64:65], v[96:97], s[10:11]
	s_mov_b32 s13, 0xbf56c16c
	s_mov_b32 s14, 0x55555555
	v_add_f64 v[66:67], v[82:83], -v[66:67]
	v_fma_f64 v[96:97], v[64:65], v[96:97], s[12:13]
	s_mov_b32 s15, 0x3fa55555
	v_mul_f64 v[82:83], v[64:65], v[64:65]
	v_fma_f64 v[96:97], v[64:65], v[96:97], s[14:15]
	v_fma_f64 v[66:67], v[36:37], -v[38:39], v[66:67]
	s_mov_b32 s0, 0xb42fdfa7
	v_fmac_f64_e32 v[66:67], v[82:83], v[96:97]
	s_mov_b32 s1, 0xbe5ae600
	s_mov_b32 s16, 0xf9a43bb8
	v_add_f64 v[66:67], v[70:71], v[66:67]
	s_mov_b32 s17, 0x3de5e0b2
	v_mov_b64_e32 v[70:71], s[0:1]
	s_mov_b32 s18, 0x796cde01
	v_fma_f64 v[82:83], s[16:17], v[64:65], v[70:71]
	s_mov_b32 s19, 0x3ec71de3
	s_mov_b32 s20, 0x19e83e5c
	v_fma_f64 v[82:83], v[64:65], v[82:83], s[18:19]
	s_mov_b32 s21, 0xbf2a01a0
	;; [unrolled: 3-line block ×3, first 2 shown]
	v_fma_f64 v[82:83], v[64:65], v[82:83], s[22:23]
	v_mul_f64 v[96:97], v[36:37], -v[64:65]
	v_mul_f64 v[98:99], v[38:39], 0.5
	v_fmac_f64_e32 v[98:99], v[96:97], v[82:83]
	v_fma_f64 v[38:39], v[64:65], v[98:99], -v[38:39]
	s_mov_b32 s25, 0xbfc55555
	s_mov_b32 s24, s14
	v_fmac_f64_e32 v[38:39], s[24:25], v[96:97]
	v_add_f64 v[36:37], v[36:37], -v[38:39]
	v_and_b32_e32 v38, 1, v49
	v_cmp_eq_u32_e32 vcc, 0, v38
	s_mov_b32 s26, 0
	s_mov_b32 s27, 0x40140000
	v_cndmask_b32_e32 v64, v66, v36, vcc
	v_cndmask_b32_e32 v36, v67, v37, vcc
	v_lshlrev_b32_e32 v37, 30, v49
	v_xor_b32_e32 v37, v37, v33
	v_and_b32_e32 v37, 0x80000000, v37
	v_xor_b32_e32 v49, v36, v37
	v_div_scale_f64 v[36:37], s[0:1], v[34:35], v[34:35], s[26:27]
	v_rcp_f64_e32 v[38:39], v[36:37]
	s_movk_i32 s28, 0x1f8
	v_cmp_class_f64_e64 s[0:1], v[32:33], s28
	v_mov_b32_e32 v69, 0x7ff80000
	s_nop 0
	v_cndmask_b32_e64 v32, 0, v64, s[0:1]
	v_fma_f64 v[64:65], -v[36:37], v[38:39], 1.0
	v_fmac_f64_e32 v[38:39], v[38:39], v[64:65]
	v_fma_f64 v[64:65], -v[36:37], v[38:39], 1.0
	v_fmac_f64_e32 v[38:39], v[38:39], v[64:65]
	v_div_scale_f64 v[64:65], vcc, s[26:27], v[34:35], s[26:27]
	v_mul_f64 v[66:67], v[64:65], v[38:39]
	v_fma_f64 v[36:37], -v[36:37], v[66:67], v[64:65]
	v_div_scale_f64 v[64:65], s[28:29], v[86:87], v[86:87], v[80:81]
	v_rcp_f64_e32 v[82:83], v[64:65]
	v_div_fmas_f64 v[36:37], v[36:37], v[38:39], v[66:67]
	v_div_fixup_f64 v[36:37], v[36:37], v[34:35], s[26:27]
	v_cndmask_b32_e64 v33, v69, v49, s[0:1]
	v_fma_f64 v[38:39], -v[64:65], v[82:83], 1.0
	v_fmac_f64_e32 v[82:83], v[82:83], v[38:39]
	v_fma_f64 v[38:39], -v[64:65], v[82:83], 1.0
	v_fmac_f64_e32 v[82:83], v[82:83], v[38:39]
	v_div_scale_f64 v[38:39], vcc, v[80:81], v[86:87], v[80:81]
	v_mul_f64 v[66:67], v[38:39], v[82:83]
	v_fma_f64 v[38:39], -v[64:65], v[66:67], v[38:39]
	v_and_b32_e32 v49, 1, v68
	s_nop 0
	v_div_fmas_f64 v[38:39], v[38:39], v[82:83], v[66:67]
	v_div_fixup_f64 v[38:39], v[38:39], v[86:87], v[80:81]
	v_mul_f64 v[36:37], v[36:37], v[38:39]
	v_mul_f64 v[38:39], v[50:51], v[50:51]
	v_mul_f64 v[64:65], v[38:39], 0.5
	v_fmac_f64_e32 v[84:85], s[6:7], v[38:39]
	v_add_f64 v[66:67], -v[64:65], 1.0
	v_fma_f64 v[82:83], v[38:39], v[84:85], s[8:9]
	v_add_f64 v[80:81], -v[66:67], 1.0
	v_fma_f64 v[82:83], v[38:39], v[82:83], s[10:11]
	v_add_f64 v[64:65], v[80:81], -v[64:65]
	v_fma_f64 v[82:83], v[38:39], v[82:83], s[12:13]
	v_mul_f64 v[80:81], v[38:39], v[38:39]
	v_fma_f64 v[82:83], v[38:39], v[82:83], s[14:15]
	v_fma_f64 v[64:65], v[50:51], -v[52:53], v[64:65]
	v_fmac_f64_e32 v[64:65], v[80:81], v[82:83]
	v_fmac_f64_e32 v[70:71], s[16:17], v[38:39]
	v_add_f64 v[64:65], v[66:67], v[64:65]
	v_fma_f64 v[66:67], v[38:39], v[70:71], s[18:19]
	v_fma_f64 v[66:67], v[38:39], v[66:67], s[20:21]
	;; [unrolled: 1-line block ×3, first 2 shown]
	v_mul_f64 v[70:71], v[50:51], -v[38:39]
	v_mul_f64 v[80:81], v[52:53], 0.5
	v_fmac_f64_e32 v[80:81], v[70:71], v[66:67]
	v_fma_f64 v[38:39], v[38:39], v[80:81], -v[52:53]
	v_fmac_f64_e32 v[38:39], s[24:25], v[70:71]
	v_add_f64 v[38:39], v[50:51], -v[38:39]
	v_xor_b32_e32 v39, 0x80000000, v39
	v_cmp_eq_u32_e32 vcc, 0, v49
	v_lshlrev_b32_e32 v49, 30, v68
	v_and_b32_e32 v49, 0x80000000, v49
	v_cndmask_b32_e32 v39, v39, v65, vcc
	v_cndmask_b32_e32 v38, v38, v64, vcc
	v_xor_b32_e32 v39, v39, v49
	v_cndmask_b32_e64 v38, 0, v38, s[0:1]
	v_cndmask_b32_e64 v39, v69, v39, s[0:1]
	s_mov_b32 s0, 0
	s_brev_b32 s1, 8
	v_mul_f64 v[36:37], v[36:37], v[38:39]
	v_cmp_gt_f64_e32 vcc, s[0:1], v[34:35]
	v_fmac_f64_e32 v[36:37], v[54:55], v[32:33]
	s_mov_b32 s0, 0x33d43651
	v_cndmask_b32_e64 v32, 0, 1, vcc
	v_lshlrev_b32_e32 v32, 8, v32
	v_ldexp_f64 v[32:33], v[34:35], v32
	v_rsq_f64_e32 v[34:35], v[32:33]
	s_mov_b32 s1, 0x3fe98845
	v_mul_f64 v[36:37], v[36:37], s[0:1]
	v_mul_f64 v[38:39], v[32:33], v[34:35]
	v_mul_f64 v[34:35], v[34:35], 0.5
	v_fma_f64 v[50:51], -v[34:35], v[38:39], 0.5
	v_fmac_f64_e32 v[38:39], v[38:39], v[50:51]
	v_fma_f64 v[52:53], -v[38:39], v[38:39], v[32:33]
	v_fmac_f64_e32 v[34:35], v[34:35], v[50:51]
	v_fmac_f64_e32 v[38:39], v[52:53], v[34:35]
	v_fma_f64 v[50:51], -v[38:39], v[38:39], v[32:33]
	v_fmac_f64_e32 v[38:39], v[50:51], v[34:35]
	v_mov_b32_e32 v34, 0xffffff80
	v_cndmask_b32_e32 v34, 0, v34, vcc
	v_ldexp_f64 v[34:35], v[38:39], v34
	v_mov_b32_e32 v38, 0x260
	v_cmp_class_f64_e32 vcc, v[32:33], v38
	s_nop 1
	v_cndmask_b32_e32 v33, v35, v33, vcc
	v_cndmask_b32_e32 v32, v34, v32, vcc
	v_div_scale_f64 v[34:35], s[0:1], v[32:33], v[32:33], v[36:37]
	v_rcp_f64_e32 v[38:39], v[34:35]
	s_nop 0
	v_fma_f64 v[50:51], -v[34:35], v[38:39], 1.0
	v_fmac_f64_e32 v[38:39], v[38:39], v[50:51]
	v_fma_f64 v[50:51], -v[34:35], v[38:39], 1.0
	v_fmac_f64_e32 v[38:39], v[38:39], v[50:51]
	v_div_scale_f64 v[50:51], vcc, v[36:37], v[32:33], v[36:37]
	v_mul_f64 v[52:53], v[50:51], v[38:39]
	v_fma_f64 v[34:35], -v[34:35], v[52:53], v[50:51]
	s_nop 1
	v_div_fmas_f64 v[34:35], v[34:35], v[38:39], v[52:53]
	v_div_fixup_f64 v[32:33], v[34:35], v[32:33], v[36:37]
.LBB1_160:
	s_or_b64 exec, exec, s[4:5]
	s_mov_b32 s0, 0
	s_mov_b32 s1, 0x40140000
	v_cmp_ge_f64_e32 vcc, s[0:1], v[26:27]
                                        ; implicit-def: $vgpr34_vgpr35
	s_and_saveexec_b64 s[0:1], vcc
	s_xor_b64 s[0:1], exec, s[0:1]
	s_cbranch_execz .LBB1_170
; %bb.161:
	v_mov_b32_e32 v34, 0
	v_cmp_neq_f64_e32 vcc, 0, v[26:27]
	v_mov_b32_e32 v35, 0xfff00000
	s_and_saveexec_b64 s[4:5], vcc
	s_cbranch_execz .LBB1_169
; %bb.162:
	v_mov_b32_e32 v34, 0
	v_cmp_ngt_f64_e32 vcc, 0, v[26:27]
	v_mov_b32_e32 v35, 0x7ff80000
	s_and_saveexec_b64 s[6:7], vcc
	s_cbranch_execz .LBB1_168
; %bb.163:
	s_mov_b32 s8, 0x88e368f1
	v_mul_f64 v[34:35], v[26:27], v[26:27]
	s_mov_b32 s9, 0x3ee4f8b5
	v_mul_f64 v[38:39], v[34:35], 0
	v_cmp_ngt_f64_e32 vcc, s[8:9], v[26:27]
                                        ; implicit-def: $vgpr36_vgpr37
	s_and_saveexec_b64 s[8:9], vcc
	s_xor_b64 s[8:9], exec, s[8:9]
	s_cbranch_execz .LBB1_165
; %bb.164:
	s_mov_b32 s10, 0xad1c8325
	s_mov_b32 s11, 0xc1f1dc53
	v_add_f64 v[36:37], v[38:39], s[10:11]
	v_mov_b32_e32 v50, 0xc772990d
	v_mov_b32_e32 v51, 0x427c7751
	s_mov_b32 s10, 0xa696b78c
	v_fmac_f64_e32 v[50:51], v[34:35], v[36:37]
	v_mov_b32_e32 v36, 0xe0d900f7
	v_mov_b32_e32 v37, 0xc2ec5614
	s_mov_b32 s11, 0x407f3902
	v_fmac_f64_e32 v[36:37], v[34:35], v[50:51]
	v_add_f64 v[50:51], v[38:39], s[10:11]
	v_mov_b32_e32 v52, 0x36a21a67
	v_mov_b32_e32 v53, 0x410536cb
	v_fmac_f64_e32 v[52:53], v[34:35], v[50:51]
	v_mov_b32_e32 v50, 0x2eac0634
	v_mov_b32_e32 v51, 0x41871934
	v_fmac_f64_e32 v[50:51], v[34:35], v[52:53]
	;; [unrolled: 3-line block ×6, first 2 shown]
	v_mov_b32_e32 v52, 0xc7b662cc
	v_mov_b32_e32 v53, 0x43b7be34
	s_mov_b32 s10, 0x80462bbb
	v_fmac_f64_e32 v[52:53], v[34:35], v[50:51]
	v_mov_b32_e32 v50, 0x69ff5fb4
	v_mov_b32_e32 v51, 0x43413ef8
	s_mov_b32 s11, 0xc01721fb
	v_fmac_f64_e32 v[50:51], v[34:35], v[36:37]
	v_add_f64 v[36:37], v[34:35], s[10:11]
	s_mov_b32 s10, 0xa621dd6f
	s_mov_b32 s11, 0xc03e78a4
	v_add_f64 v[54:55], v[34:35], s[10:11]
	v_mul_f64 v[36:37], v[36:37], v[54:55]
	v_mul_f64 v[36:37], v[36:37], v[50:51]
	v_div_scale_f64 v[50:51], s[10:11], v[52:53], v[52:53], v[36:37]
	v_rcp_f64_e32 v[54:55], v[50:51]
	s_nop 0
	v_fma_f64 v[64:65], -v[50:51], v[54:55], 1.0
	v_fmac_f64_e32 v[54:55], v[54:55], v[64:65]
	v_fma_f64 v[64:65], -v[50:51], v[54:55], 1.0
	v_fmac_f64_e32 v[54:55], v[54:55], v[64:65]
	v_div_scale_f64 v[64:65], vcc, v[36:37], v[52:53], v[36:37]
	v_mul_f64 v[66:67], v[64:65], v[54:55]
	v_fma_f64 v[50:51], -v[50:51], v[66:67], v[64:65]
	s_nop 1
	v_div_fmas_f64 v[50:51], v[50:51], v[54:55], v[66:67]
	v_div_fixup_f64 v[36:37], v[50:51], v[52:53], v[36:37]
.LBB1_165:
	s_andn2_saveexec_b64 s[8:9], s[8:9]
; %bb.166:
	s_mov_b32 s10, 0
	s_mov_b32 s11, 0xbfd00000
	v_fma_f64 v[36:37], v[34:35], s[10:11], 1.0
; %bb.167:
	s_or_b64 exec, exec, s[8:9]
	s_mov_b32 s8, 0xe896898f
	s_mov_b32 s9, 0x40ce7437
	v_add_f64 v[50:51], v[38:39], s[8:9]
	v_mov_b32_e32 v52, 0x32e48896
	v_mov_b32_e32 v53, 0xc16bf81f
	v_fmac_f64_e32 v[52:53], v[34:35], v[50:51]
	v_mov_b32_e32 v50, 0xf0284cdd
	v_mov_b32_e32 v51, 0x41f43f78
	v_fmac_f64_e32 v[50:51], v[34:35], v[52:53]
	;; [unrolled: 3-line block ×4, first 2 shown]
	v_mov_b32_e32 v52, 0xd1d8cc02
	v_mov_b32_e32 v53, 0xc328a121
	s_mov_b32 s8, 0x576dfcb6
	v_fmac_f64_e32 v[52:53], v[34:35], v[50:51]
	v_mov_b32_e32 v50, 0x660b4003
	v_mov_b32_e32 v51, 0x4363a94b
	s_mov_b32 s9, 0x40904522
	v_fmac_f64_e32 v[50:51], v[34:35], v[52:53]
	v_add_f64 v[38:39], v[38:39], s[8:9]
	v_mov_b32_e32 v52, 0xa907bc0c
	v_mov_b32_e32 v53, 0x41231b76
	v_fmac_f64_e32 v[52:53], v[34:35], v[38:39]
	v_mov_b32_e32 v38, 0x5164d101
	v_mov_b32_e32 v39, 0x41b00763
	v_fmac_f64_e32 v[38:39], v[34:35], v[52:53]
	;; [unrolled: 3-line block ×7, first 2 shown]
	v_div_scale_f64 v[34:35], s[8:9], v[38:39], v[38:39], v[52:53]
	v_rcp_f64_e32 v[50:51], v[34:35]
	s_mov_b32 s8, 0x55555555
	s_mov_b32 s9, 0x3fe55555
	v_frexp_exp_i32_f64_e32 v49, v[26:27]
	v_fma_f64 v[54:55], -v[34:35], v[50:51], 1.0
	v_fmac_f64_e32 v[50:51], v[50:51], v[54:55]
	v_fma_f64 v[54:55], -v[34:35], v[50:51], 1.0
	v_fmac_f64_e32 v[50:51], v[50:51], v[54:55]
	v_div_scale_f64 v[54:55], vcc, v[52:53], v[38:39], v[52:53]
	v_mul_f64 v[64:65], v[54:55], v[50:51]
	v_fma_f64 v[34:35], -v[34:35], v[64:65], v[54:55]
	s_nop 1
	v_div_fmas_f64 v[34:35], v[34:35], v[50:51], v[64:65]
	v_div_fixup_f64 v[34:35], v[34:35], v[38:39], v[52:53]
	v_frexp_mant_f64_e32 v[38:39], v[26:27]
	v_mov_b32_e32 v50, 0x3ff00000
	v_cmp_gt_f64_e32 vcc, s[8:9], v[38:39]
	s_mov_b32 s8, 0xbf559e2b
	s_mov_b32 s9, 0x3fc3ab76
	v_cndmask_b32_e64 v51, v50, 2.0, vcc
	v_mov_b32_e32 v50, 0
	v_mul_f64 v[38:39], v[38:39], v[50:51]
	v_add_f64 v[50:51], v[38:39], 1.0
	v_rcp_f64_e32 v[52:53], v[50:51]
	v_add_f64 v[64:65], v[50:51], -1.0
	v_add_f64 v[54:55], v[38:39], -1.0
	v_add_f64 v[38:39], v[38:39], -v[64:65]
	v_fma_f64 v[64:65], -v[50:51], v[52:53], 1.0
	v_fmac_f64_e32 v[52:53], v[64:65], v[52:53]
	v_fma_f64 v[64:65], -v[50:51], v[52:53], 1.0
	v_fmac_f64_e32 v[52:53], v[64:65], v[52:53]
	v_mul_f64 v[64:65], v[54:55], v[52:53]
	v_mul_f64 v[66:67], v[50:51], v[64:65]
	v_fma_f64 v[50:51], v[64:65], v[50:51], -v[66:67]
	v_fmac_f64_e32 v[50:51], v[64:65], v[38:39]
	v_add_f64 v[38:39], v[66:67], v[50:51]
	v_add_f64 v[68:69], v[54:55], -v[38:39]
	v_add_f64 v[66:67], v[38:39], -v[66:67]
	;; [unrolled: 1-line block ×5, first 2 shown]
	v_add_f64 v[38:39], v[50:51], v[38:39]
	v_add_f64 v[38:39], v[68:69], v[38:39]
	v_mul_f64 v[38:39], v[52:53], v[38:39]
	v_add_f64 v[50:51], v[64:65], v[38:39]
	v_add_f64 v[52:53], v[50:51], -v[64:65]
	v_add_f64 v[38:39], v[38:39], -v[52:53]
	v_mul_f64 v[52:53], v[50:51], v[50:51]
	v_mov_b32_e32 v54, 0x6b47b09a
	v_mov_b32_e32 v55, 0x3fc38538
	v_fmac_f64_e32 v[54:55], s[8:9], v[52:53]
	v_mov_b32_e32 v64, 0xd7f4df2e
	v_mov_b32_e32 v65, 0x3fc7474d
	v_fmac_f64_e32 v[64:65], v[52:53], v[54:55]
	;; [unrolled: 3-line block ×6, first 2 shown]
	v_ldexp_f64 v[54:55], v[50:51], 1
	v_mul_f64 v[50:51], v[50:51], v[52:53]
	v_mul_f64 v[50:51], v[50:51], v[64:65]
	v_add_f64 v[52:53], v[54:55], v[50:51]
	v_add_f64 v[54:55], v[52:53], -v[54:55]
	v_ldexp_f64 v[38:39], v[38:39], 1
	v_add_f64 v[50:51], v[50:51], -v[54:55]
	v_add_f64 v[38:39], v[38:39], v[50:51]
	v_add_f64 v[50:51], v[52:53], v[38:39]
	v_subbrev_co_u32_e32 v49, vcc, 0, v49, vcc
	v_add_f64 v[52:53], v[50:51], -v[52:53]
	s_mov_b32 s8, 0xfefa39ef
	v_add_f64 v[38:39], v[38:39], -v[52:53]
	v_cvt_f64_i32_e32 v[52:53], v49
	s_mov_b32 s9, 0x3fe62e42
	v_mul_f64 v[54:55], v[52:53], s[8:9]
	v_fma_f64 v[64:65], v[52:53], s[8:9], -v[54:55]
	s_mov_b32 s8, 0x3b39803f
	s_mov_b32 s9, 0x3c7abc9e
	v_fmac_f64_e32 v[64:65], s[8:9], v[52:53]
	v_add_f64 v[52:53], v[54:55], v[64:65]
	v_add_f64 v[54:55], v[52:53], -v[54:55]
	v_add_f64 v[54:55], v[64:65], -v[54:55]
	v_add_f64 v[64:65], v[52:53], v[50:51]
	v_add_f64 v[66:67], v[64:65], -v[52:53]
	v_add_f64 v[68:69], v[64:65], -v[66:67]
	;; [unrolled: 1-line block ×4, first 2 shown]
	v_add_f64 v[50:51], v[50:51], v[52:53]
	v_add_f64 v[52:53], v[54:55], v[38:39]
	v_add_f64 v[66:67], v[52:53], -v[54:55]
	v_add_f64 v[68:69], v[52:53], -v[66:67]
	v_add_f64 v[50:51], v[52:53], v[50:51]
	v_add_f64 v[54:55], v[54:55], -v[68:69]
	v_add_f64 v[38:39], v[38:39], -v[66:67]
	v_add_f64 v[52:53], v[64:65], v[50:51]
	v_add_f64 v[38:39], v[38:39], v[54:55]
	v_add_f64 v[54:55], v[52:53], -v[64:65]
	v_add_f64 v[50:51], v[50:51], -v[54:55]
	v_add_f64 v[38:39], v[38:39], v[50:51]
	s_mov_b32 s8, 0x6dc9c883
	v_add_f64 v[38:39], v[52:53], v[38:39]
	s_mov_b32 s9, 0x3fe45f30
	v_mul_f64 v[38:39], v[38:39], s[8:9]
	v_fmac_f64_e32 v[34:35], v[38:39], v[36:37]
.LBB1_168:
	s_or_b64 exec, exec, s[6:7]
.LBB1_169:
	s_or_b64 exec, exec, s[4:5]
.LBB1_170:
	s_andn2_saveexec_b64 s[4:5], s[0:1]
	s_cbranch_execz .LBB1_180
; %bb.171:
	s_mov_b32 s9, 0xbfe921fb
	s_mov_b32 s8, 0x54442d18
	s_mov_b32 s0, 0
	v_add_f64 v[34:35], v[26:27], s[8:9]
	s_mov_b32 s1, 0x41d00000
	v_cmp_nlt_f64_e64 s[6:7], |v[34:35]|, s[0:1]
	v_trig_preop_f64 v[66:67], |v[34:35]|, 0
	v_trig_preop_f64 v[64:65], |v[34:35]|, 1
	;; [unrolled: 1-line block ×3, first 2 shown]
                                        ; implicit-def: $vgpr49
                                        ; implicit-def: $vgpr36_vgpr37
                                        ; implicit-def: $vgpr38_vgpr39
	s_and_saveexec_b64 s[0:1], s[6:7]
	s_xor_b64 s[10:11], exec, s[0:1]
	s_cbranch_execz .LBB1_173
; %bb.172:
	s_mov_b32 s0, 0
	s_mov_b32 s1, 0x7b000000
	s_movk_i32 s9, 0xff80
	v_and_b32_e32 v38, 0x7fffffff, v35
	v_ldexp_f64 v[36:37], |v[34:35]|, s9
	v_cmp_ge_f64_e64 vcc, |v[34:35]|, s[0:1]
	s_mov_b32 s0, 0
	s_mov_b32 s1, 0x7ff00000
	v_cndmask_b32_e32 v37, v38, v37, vcc
	v_cndmask_b32_e32 v36, v34, v36, vcc
	v_mul_f64 v[50:51], v[66:67], v[36:37]
	v_mul_f64 v[38:39], v[64:65], v[36:37]
	v_fma_f64 v[52:53], v[66:67], v[36:37], -v[50:51]
	v_add_f64 v[68:69], v[38:39], v[52:53]
	v_add_f64 v[70:71], v[50:51], v[68:69]
	v_ldexp_f64 v[80:81], v[70:71], -2
	v_fract_f64_e32 v[82:83], v[80:81]
	v_cmp_neq_f64_e64 vcc, |v[80:81]|, s[0:1]
	v_add_f64 v[50:51], v[70:71], -v[50:51]
	v_add_f64 v[50:51], v[68:69], -v[50:51]
	v_cndmask_b32_e32 v81, 0, v83, vcc
	v_cndmask_b32_e32 v80, 0, v82, vcc
	v_add_f64 v[82:83], v[68:69], -v[38:39]
	v_add_f64 v[52:53], v[52:53], -v[82:83]
	;; [unrolled: 1-line block ×4, first 2 shown]
	v_add_f64 v[52:53], v[52:53], v[82:83]
	v_fma_f64 v[38:39], v[64:65], v[36:37], -v[38:39]
	v_mul_f64 v[82:83], v[54:55], v[36:37]
	v_add_f64 v[86:87], v[82:83], v[38:39]
	v_add_f64 v[96:97], v[86:87], v[52:53]
	v_add_f64 v[70:71], v[96:97], -v[86:87]
	v_add_f64 v[52:53], v[52:53], -v[70:71]
	;; [unrolled: 1-line block ×4, first 2 shown]
	v_add_f64 v[52:53], v[52:53], v[70:71]
	v_add_f64 v[70:71], v[86:87], -v[82:83]
	v_add_f64 v[38:39], v[38:39], -v[70:71]
	;; [unrolled: 1-line block ×4, first 2 shown]
	v_add_f64 v[68:69], v[50:51], v[96:97]
	v_add_f64 v[38:39], v[38:39], v[70:71]
	v_add_f64 v[50:51], v[68:69], -v[50:51]
	v_add_f64 v[38:39], v[38:39], v[52:53]
	v_fma_f64 v[36:37], v[54:55], v[36:37], -v[82:83]
	v_add_f64 v[50:51], v[96:97], -v[50:51]
	v_add_f64 v[36:37], v[36:37], v[38:39]
	v_ldexp_f64 v[38:39], v[80:81], 2
	v_add_f64 v[36:37], v[50:51], v[36:37]
	v_add_f64 v[50:51], v[68:69], v[38:39]
	v_mov_b32_e32 v49, 0x40100000
	v_cmp_gt_f64_e32 vcc, 0, v[50:51]
	v_mov_b32_e32 v84, 0
	s_mov_b32 s9, 0x3ff921fb
	v_cndmask_b32_e32 v85, 0, v49, vcc
	v_add_f64 v[38:39], v[38:39], v[84:85]
	v_add_f64 v[50:51], v[68:69], v[38:39]
	v_cvt_i32_f64_e32 v49, v[50:51]
	v_cvt_f64_i32_e32 v[50:51], v49
	v_add_f64 v[38:39], v[38:39], -v[50:51]
	v_add_f64 v[50:51], v[68:69], v[38:39]
	v_add_f64 v[38:39], v[50:51], -v[38:39]
	v_add_f64 v[38:39], v[68:69], -v[38:39]
	v_add_f64 v[36:37], v[36:37], v[38:39]
	v_cmp_le_f64_e32 vcc, 0.5, v[50:51]
	v_mov_b32_e32 v38, 0x3ff00000
	s_nop 0
	v_cndmask_b32_e32 v85, 0, v38, vcc
	v_add_f64 v[38:39], v[50:51], -v[84:85]
	v_add_f64 v[50:51], v[38:39], v[36:37]
	v_addc_co_u32_e64 v49, s[0:1], 0, v49, vcc
	v_add_f64 v[38:39], v[50:51], -v[38:39]
	v_add_f64 v[36:37], v[36:37], -v[38:39]
	v_mul_f64 v[38:39], v[50:51], s[8:9]
	s_mov_b32 s0, 0x33145c07
	v_fma_f64 v[52:53], v[50:51], s[8:9], -v[38:39]
	s_mov_b32 s1, 0x3c91a626
	v_fmac_f64_e32 v[52:53], s[0:1], v[50:51]
	v_fmac_f64_e32 v[52:53], s[8:9], v[36:37]
	v_add_f64 v[36:37], v[38:39], v[52:53]
	v_add_f64 v[38:39], v[36:37], -v[38:39]
	v_add_f64 v[38:39], v[52:53], -v[38:39]
	s_andn2_saveexec_b64 s[0:1], s[10:11]
	s_cbranch_execz .LBB1_175
	s_branch .LBB1_174
.LBB1_173:
	s_andn2_saveexec_b64 s[0:1], s[10:11]
	s_cbranch_execz .LBB1_175
.LBB1_174:
	s_mov_b32 s8, 0x6dc9c883
	s_mov_b32 s9, 0x3fe45f30
	v_mul_f64 v[36:37], |v[34:35]|, s[8:9]
	s_mov_b32 s8, 0x54442d18
	v_rndne_f64_e32 v[50:51], v[36:37]
	s_mov_b32 s9, 0xbff921fb
	v_fma_f64 v[36:37], v[50:51], s[8:9], |v[34:35]|
	s_mov_b32 s9, 0xbc91a626
	s_mov_b32 s8, 0x33145c00
	v_mul_f64 v[52:53], v[50:51], s[8:9]
	v_add_f64 v[70:71], v[36:37], v[52:53]
	v_fma_f64 v[38:39], s[8:9], v[50:51], v[36:37]
	s_mov_b32 s9, 0x3c91a626
	v_add_f64 v[36:37], v[36:37], -v[70:71]
	v_fma_f64 v[68:69], s[8:9], v[50:51], v[52:53]
	v_add_f64 v[36:37], v[36:37], v[52:53]
	v_add_f64 v[52:53], v[70:71], -v[38:39]
	v_add_f64 v[36:37], v[52:53], v[36:37]
	s_mov_b32 s8, 0x252049c0
	v_add_f64 v[52:53], v[36:37], -v[68:69]
	s_mov_b32 s9, 0xb97b839a
	v_fmac_f64_e32 v[52:53], s[8:9], v[50:51]
	v_add_f64 v[36:37], v[38:39], v[52:53]
	v_add_f64 v[38:39], v[36:37], -v[38:39]
	v_add_f64 v[38:39], v[52:53], -v[38:39]
	v_cvt_i32_f64_e32 v49, v[50:51]
.LBB1_175:
	s_or_b64 exec, exec, s[0:1]
                                        ; implicit-def: $vgpr68
                                        ; implicit-def: $vgpr50_vgpr51
                                        ; implicit-def: $vgpr52_vgpr53
	s_and_saveexec_b64 s[0:1], s[6:7]
	s_xor_b64 s[6:7], exec, s[0:1]
	s_cbranch_execz .LBB1_177
; %bb.176:
	s_mov_b32 s0, 0
	s_mov_b32 s1, 0x7b000000
	s_movk_i32 s8, 0xff80
	v_and_b32_e32 v52, 0x7fffffff, v35
	v_ldexp_f64 v[50:51], |v[34:35]|, s8
	v_cmp_ge_f64_e64 vcc, |v[34:35]|, s[0:1]
	s_mov_b32 s0, 0
	s_mov_b32 s1, 0x7ff00000
	v_cndmask_b32_e32 v51, v52, v51, vcc
	v_cndmask_b32_e32 v50, v34, v50, vcc
	v_mul_f64 v[68:69], v[66:67], v[50:51]
	v_mul_f64 v[52:53], v[64:65], v[50:51]
	v_fma_f64 v[66:67], v[66:67], v[50:51], -v[68:69]
	v_add_f64 v[70:71], v[52:53], v[66:67]
	v_add_f64 v[80:81], v[68:69], v[70:71]
	v_ldexp_f64 v[82:83], v[80:81], -2
	v_fract_f64_e32 v[84:85], v[82:83]
	v_cmp_neq_f64_e64 vcc, |v[82:83]|, s[0:1]
	v_add_f64 v[68:69], v[80:81], -v[68:69]
	v_add_f64 v[68:69], v[70:71], -v[68:69]
	v_cndmask_b32_e32 v83, 0, v85, vcc
	v_cndmask_b32_e32 v82, 0, v84, vcc
	v_add_f64 v[84:85], v[70:71], -v[52:53]
	v_add_f64 v[66:67], v[66:67], -v[84:85]
	v_add_f64 v[84:85], v[70:71], -v[84:85]
	v_add_f64 v[84:85], v[52:53], -v[84:85]
	v_fma_f64 v[52:53], v[64:65], v[50:51], -v[52:53]
	v_mul_f64 v[64:65], v[54:55], v[50:51]
	v_add_f64 v[66:67], v[66:67], v[84:85]
	v_add_f64 v[84:85], v[64:65], v[52:53]
	;; [unrolled: 1-line block ×3, first 2 shown]
	v_add_f64 v[80:81], v[96:97], -v[84:85]
	v_add_f64 v[66:67], v[66:67], -v[80:81]
	;; [unrolled: 1-line block ×4, first 2 shown]
	v_add_f64 v[66:67], v[66:67], v[80:81]
	v_add_f64 v[80:81], v[84:85], -v[64:65]
	v_add_f64 v[52:53], v[52:53], -v[80:81]
	;; [unrolled: 1-line block ×4, first 2 shown]
	v_add_f64 v[52:53], v[52:53], v[80:81]
	v_add_f64 v[52:53], v[52:53], v[66:67]
	v_fma_f64 v[50:51], v[54:55], v[50:51], -v[64:65]
	v_add_f64 v[70:71], v[68:69], v[96:97]
	v_add_f64 v[50:51], v[50:51], v[52:53]
	v_ldexp_f64 v[52:53], v[82:83], 2
	v_add_f64 v[54:55], v[70:71], v[52:53]
	v_mov_b32_e32 v64, 0x40100000
	v_cmp_gt_f64_e32 vcc, 0, v[54:55]
	v_mov_b32_e32 v86, 0
	v_add_f64 v[68:69], v[70:71], -v[68:69]
	v_cndmask_b32_e32 v87, 0, v64, vcc
	v_add_f64 v[52:53], v[52:53], v[86:87]
	v_add_f64 v[54:55], v[70:71], v[52:53]
	v_cvt_i32_f64_e32 v64, v[54:55]
	v_cvt_f64_i32_e32 v[54:55], v64
	v_add_f64 v[52:53], v[52:53], -v[54:55]
	v_add_f64 v[54:55], v[70:71], v[52:53]
	v_add_f64 v[68:69], v[96:97], -v[68:69]
	v_add_f64 v[52:53], v[54:55], -v[52:53]
	v_add_f64 v[50:51], v[68:69], v[50:51]
	v_add_f64 v[52:53], v[70:71], -v[52:53]
	v_add_f64 v[50:51], v[50:51], v[52:53]
	v_cmp_le_f64_e32 vcc, 0.5, v[54:55]
	v_mov_b32_e32 v52, 0x3ff00000
	s_mov_b32 s8, 0x33145c07
	v_cndmask_b32_e32 v87, 0, v52, vcc
	v_addc_co_u32_e64 v68, s[0:1], 0, v64, vcc
	v_add_f64 v[52:53], v[54:55], -v[86:87]
	v_add_f64 v[54:55], v[52:53], v[50:51]
	s_mov_b32 s0, 0x54442d18
	v_add_f64 v[52:53], v[54:55], -v[52:53]
	s_mov_b32 s1, 0x3ff921fb
	v_add_f64 v[50:51], v[50:51], -v[52:53]
	v_mul_f64 v[52:53], v[54:55], s[0:1]
	v_fma_f64 v[64:65], v[54:55], s[0:1], -v[52:53]
	s_mov_b32 s9, 0x3c91a626
	v_fmac_f64_e32 v[64:65], s[8:9], v[54:55]
	v_fmac_f64_e32 v[64:65], s[0:1], v[50:51]
	v_add_f64 v[50:51], v[52:53], v[64:65]
	v_add_f64 v[52:53], v[50:51], -v[52:53]
	v_add_f64 v[52:53], v[64:65], -v[52:53]
	s_andn2_saveexec_b64 s[0:1], s[6:7]
	s_cbranch_execnz .LBB1_178
	s_branch .LBB1_179
.LBB1_177:
	s_andn2_saveexec_b64 s[0:1], s[6:7]
	s_cbranch_execz .LBB1_179
.LBB1_178:
	s_mov_b32 s6, 0x6dc9c883
	s_mov_b32 s7, 0x3fe45f30
	v_mul_f64 v[50:51], |v[34:35]|, s[6:7]
	s_mov_b32 s6, 0x54442d18
	v_rndne_f64_e32 v[54:55], v[50:51]
	s_mov_b32 s7, 0xbff921fb
	v_fma_f64 v[50:51], v[54:55], s[6:7], |v[34:35]|
	s_mov_b32 s7, 0xbc91a626
	s_mov_b32 s6, 0x33145c00
	v_mul_f64 v[64:65], v[54:55], s[6:7]
	v_add_f64 v[68:69], v[50:51], v[64:65]
	v_fma_f64 v[52:53], s[6:7], v[54:55], v[50:51]
	s_mov_b32 s7, 0x3c91a626
	v_add_f64 v[50:51], v[50:51], -v[68:69]
	v_fma_f64 v[66:67], s[6:7], v[54:55], v[64:65]
	v_add_f64 v[50:51], v[50:51], v[64:65]
	v_add_f64 v[64:65], v[68:69], -v[52:53]
	v_add_f64 v[50:51], v[64:65], v[50:51]
	s_mov_b32 s6, 0x252049c0
	v_add_f64 v[64:65], v[50:51], -v[66:67]
	s_mov_b32 s7, 0xb97b839a
	v_fmac_f64_e32 v[64:65], s[6:7], v[54:55]
	v_add_f64 v[50:51], v[52:53], v[64:65]
	v_add_f64 v[52:53], v[50:51], -v[52:53]
	v_add_f64 v[52:53], v[64:65], -v[52:53]
	v_cvt_i32_f64_e32 v68, v[54:55]
.LBB1_179:
	s_or_b64 exec, exec, s[0:1]
	s_mov_b32 s0, 0
	v_mul_f64 v[54:55], v[26:27], v[26:27]
	s_mov_b32 s1, 0x40390000
	v_div_scale_f64 v[64:65], s[6:7], v[54:55], v[54:55], s[0:1]
	v_rcp_f64_e32 v[66:67], v[64:65]
	v_mov_b32_e32 v82, 0xb1759c7f
	v_mov_b32_e32 v83, 0x408ac370
	;; [unrolled: 1-line block ×3, first 2 shown]
	v_fma_f64 v[70:71], -v[64:65], v[66:67], 1.0
	v_fmac_f64_e32 v[66:67], v[66:67], v[70:71]
	v_fma_f64 v[70:71], -v[64:65], v[66:67], 1.0
	v_fmac_f64_e32 v[66:67], v[66:67], v[70:71]
	v_div_scale_f64 v[70:71], vcc, s[0:1], v[54:55], s[0:1]
	v_mul_f64 v[80:81], v[70:71], v[66:67]
	v_fma_f64 v[64:65], -v[64:65], v[80:81], v[70:71]
	v_mov_b32_e32 v70, 0xab5454e3
	s_nop 0
	v_div_fmas_f64 v[64:65], v[64:65], v[66:67], v[80:81]
	v_div_fixup_f64 v[54:55], v[64:65], v[54:55], s[0:1]
	v_mov_b32_e32 v64, 0x983b6b27
	v_mov_b32_e32 v65, 0x3f4a1d30
	v_fmac_f64_e32 v[64:65], 0, v[54:55]
	v_mov_b32_e32 v66, 0xb35dd1cf
	v_mov_b32_e32 v67, 0x3fb534b0
	v_fmac_f64_e32 v[66:67], v[54:55], v[64:65]
	;; [unrolled: 3-line block ×7, first 2 shown]
	v_mov_b32_e32 v71, 0x3fb5ebc5
	v_fmac_f64_e32 v[70:71], v[54:55], v[64:65]
	v_mov_b32_e32 v64, 0xc9b3069f
	v_mov_b32_e32 v65, 0x3ff40e72
	v_fmac_f64_e32 v[64:65], v[54:55], v[70:71]
	v_mov_b32_e32 v70, 0xe68162bb
	;; [unrolled: 3-line block ×4, first 2 shown]
	v_mov_b32_e32 v71, 0x40153965
	v_fmac_f64_e32 v[70:71], v[54:55], v[64:65]
	v_fma_f64 v[64:65], v[54:55], v[70:71], 1.0
	v_mov_b32_e32 v70, 0x38a5384a
	v_mov_b32_e32 v71, 0xbf874742
	v_fmac_f64_e32 v[70:71], 0, v[54:55]
	v_mov_b32_e32 v80, 0x3a321174
	v_mov_b32_e32 v81, 0xbff4853b
	v_fmac_f64_e32 v[80:81], v[54:55], v[70:71]
	;; [unrolled: 3-line block ×9, first 2 shown]
	v_fmac_f64_e32 v[82:83], v[54:55], v[70:71]
	v_mov_b32_e32 v70, 0xbd748cb5
	v_mov_b32_e32 v71, 0x40ae54cd
	v_fmac_f64_e32 v[70:71], v[54:55], v[82:83]
	v_mov_b32_e32 v82, 0xbdefd63e
	v_mov_b32_e32 v83, 0x40bc4877
	;; [unrolled: 3-line block ×4, first 2 shown]
	v_fma_f64 v[66:67], v[54:55], v[66:67], 1.0
	v_fmac_f64_e32 v[82:83], v[54:55], v[70:71]
	v_div_scale_f64 v[70:71], s[0:1], v[64:65], v[64:65], v[66:67]
	v_rcp_f64_e32 v[84:85], v[70:71]
	v_mov_b32_e32 v87, 0x406e402f
	v_fmac_f64_e32 v[86:87], v[54:55], v[82:83]
	s_mov_b32 s0, 0x9037ab78
	v_fma_f64 v[54:55], -v[70:71], v[84:85], 1.0
	v_fmac_f64_e32 v[84:85], v[84:85], v[54:55]
	v_fma_f64 v[54:55], -v[70:71], v[84:85], 1.0
	v_fmac_f64_e32 v[84:85], v[84:85], v[54:55]
	v_div_scale_f64 v[54:55], vcc, v[66:67], v[64:65], v[66:67]
	v_mul_f64 v[82:83], v[54:55], v[84:85]
	v_fma_f64 v[54:55], -v[70:71], v[82:83], v[54:55]
	s_mov_b32 s1, 0x3e21eeb6
	s_nop 0
	v_div_fmas_f64 v[54:55], v[54:55], v[84:85], v[82:83]
	s_mov_b32 s6, 0x46cc5e42
	v_div_fixup_f64 v[54:55], v[54:55], v[64:65], v[66:67]
	v_mul_f64 v[64:65], v[36:37], v[36:37]
	s_mov_b32 s7, 0xbda907db
	v_mov_b64_e32 v[84:85], s[0:1]
	s_mov_b32 s8, 0xa17f65f6
	v_mul_f64 v[66:67], v[64:65], 0.5
	v_fma_f64 v[96:97], s[6:7], v[64:65], v[84:85]
	s_mov_b32 s9, 0xbe927e4f
	s_mov_b32 s10, 0x19f4ec90
	v_add_f64 v[70:71], -v[66:67], 1.0
	v_fma_f64 v[96:97], v[64:65], v[96:97], s[8:9]
	s_mov_b32 s11, 0x3efa01a0
	s_mov_b32 s12, 0x16c16967
	v_add_f64 v[82:83], -v[70:71], 1.0
	v_fma_f64 v[96:97], v[64:65], v[96:97], s[10:11]
	s_mov_b32 s13, 0xbf56c16c
	s_mov_b32 s14, 0x55555555
	v_add_f64 v[66:67], v[82:83], -v[66:67]
	v_fma_f64 v[96:97], v[64:65], v[96:97], s[12:13]
	s_mov_b32 s15, 0x3fa55555
	v_mul_f64 v[82:83], v[64:65], v[64:65]
	v_fma_f64 v[96:97], v[64:65], v[96:97], s[14:15]
	v_fma_f64 v[66:67], v[36:37], -v[38:39], v[66:67]
	s_mov_b32 s0, 0xb42fdfa7
	v_fmac_f64_e32 v[66:67], v[82:83], v[96:97]
	s_mov_b32 s1, 0xbe5ae600
	s_mov_b32 s16, 0xf9a43bb8
	v_add_f64 v[66:67], v[70:71], v[66:67]
	s_mov_b32 s17, 0x3de5e0b2
	v_mov_b64_e32 v[70:71], s[0:1]
	s_mov_b32 s18, 0x796cde01
	v_fma_f64 v[82:83], s[16:17], v[64:65], v[70:71]
	s_mov_b32 s19, 0x3ec71de3
	s_mov_b32 s20, 0x19e83e5c
	v_fma_f64 v[82:83], v[64:65], v[82:83], s[18:19]
	s_mov_b32 s21, 0xbf2a01a0
	;; [unrolled: 3-line block ×3, first 2 shown]
	v_fma_f64 v[82:83], v[64:65], v[82:83], s[22:23]
	v_mul_f64 v[96:97], v[36:37], -v[64:65]
	v_mul_f64 v[98:99], v[38:39], 0.5
	v_fmac_f64_e32 v[98:99], v[96:97], v[82:83]
	v_fma_f64 v[38:39], v[64:65], v[98:99], -v[38:39]
	s_mov_b32 s25, 0xbfc55555
	s_mov_b32 s24, s14
	v_fmac_f64_e32 v[38:39], s[24:25], v[96:97]
	v_add_f64 v[36:37], v[36:37], -v[38:39]
	v_and_b32_e32 v38, 1, v49
	v_cmp_eq_u32_e32 vcc, 0, v38
	s_mov_b32 s26, 0
	s_mov_b32 s27, 0x40140000
	v_cndmask_b32_e32 v64, v66, v36, vcc
	v_cndmask_b32_e32 v36, v67, v37, vcc
	v_lshlrev_b32_e32 v37, 30, v49
	v_xor_b32_e32 v37, v37, v35
	v_and_b32_e32 v37, 0x80000000, v37
	v_xor_b32_e32 v49, v36, v37
	v_div_scale_f64 v[36:37], s[0:1], v[26:27], v[26:27], s[26:27]
	v_rcp_f64_e32 v[38:39], v[36:37]
	s_movk_i32 s28, 0x1f8
	v_cmp_class_f64_e64 s[0:1], v[34:35], s28
	v_mov_b32_e32 v69, 0x7ff80000
	s_nop 0
	v_cndmask_b32_e64 v34, 0, v64, s[0:1]
	v_fma_f64 v[64:65], -v[36:37], v[38:39], 1.0
	v_fmac_f64_e32 v[38:39], v[38:39], v[64:65]
	v_fma_f64 v[64:65], -v[36:37], v[38:39], 1.0
	v_fmac_f64_e32 v[38:39], v[38:39], v[64:65]
	v_div_scale_f64 v[64:65], vcc, s[26:27], v[26:27], s[26:27]
	v_mul_f64 v[66:67], v[64:65], v[38:39]
	v_fma_f64 v[36:37], -v[36:37], v[66:67], v[64:65]
	v_div_scale_f64 v[64:65], s[28:29], v[86:87], v[86:87], v[80:81]
	v_rcp_f64_e32 v[82:83], v[64:65]
	v_div_fmas_f64 v[36:37], v[36:37], v[38:39], v[66:67]
	v_div_fixup_f64 v[36:37], v[36:37], v[26:27], s[26:27]
	v_cndmask_b32_e64 v35, v69, v49, s[0:1]
	v_fma_f64 v[38:39], -v[64:65], v[82:83], 1.0
	v_fmac_f64_e32 v[82:83], v[82:83], v[38:39]
	v_fma_f64 v[38:39], -v[64:65], v[82:83], 1.0
	v_fmac_f64_e32 v[82:83], v[82:83], v[38:39]
	v_div_scale_f64 v[38:39], vcc, v[80:81], v[86:87], v[80:81]
	v_mul_f64 v[66:67], v[38:39], v[82:83]
	v_fma_f64 v[38:39], -v[64:65], v[66:67], v[38:39]
	v_and_b32_e32 v49, 1, v68
	s_nop 0
	v_div_fmas_f64 v[38:39], v[38:39], v[82:83], v[66:67]
	v_div_fixup_f64 v[38:39], v[38:39], v[86:87], v[80:81]
	v_mul_f64 v[36:37], v[36:37], v[38:39]
	v_mul_f64 v[38:39], v[50:51], v[50:51]
	v_mul_f64 v[64:65], v[38:39], 0.5
	v_fmac_f64_e32 v[84:85], s[6:7], v[38:39]
	v_add_f64 v[66:67], -v[64:65], 1.0
	v_fma_f64 v[82:83], v[38:39], v[84:85], s[8:9]
	v_add_f64 v[80:81], -v[66:67], 1.0
	v_fma_f64 v[82:83], v[38:39], v[82:83], s[10:11]
	v_add_f64 v[64:65], v[80:81], -v[64:65]
	v_fma_f64 v[82:83], v[38:39], v[82:83], s[12:13]
	v_mul_f64 v[80:81], v[38:39], v[38:39]
	v_fma_f64 v[82:83], v[38:39], v[82:83], s[14:15]
	v_fma_f64 v[64:65], v[50:51], -v[52:53], v[64:65]
	v_fmac_f64_e32 v[64:65], v[80:81], v[82:83]
	v_fmac_f64_e32 v[70:71], s[16:17], v[38:39]
	v_add_f64 v[64:65], v[66:67], v[64:65]
	v_fma_f64 v[66:67], v[38:39], v[70:71], s[18:19]
	v_fma_f64 v[66:67], v[38:39], v[66:67], s[20:21]
	;; [unrolled: 1-line block ×3, first 2 shown]
	v_mul_f64 v[70:71], v[50:51], -v[38:39]
	v_mul_f64 v[80:81], v[52:53], 0.5
	v_fmac_f64_e32 v[80:81], v[70:71], v[66:67]
	v_fma_f64 v[38:39], v[38:39], v[80:81], -v[52:53]
	v_fmac_f64_e32 v[38:39], s[24:25], v[70:71]
	v_add_f64 v[38:39], v[50:51], -v[38:39]
	v_xor_b32_e32 v39, 0x80000000, v39
	v_cmp_eq_u32_e32 vcc, 0, v49
	v_lshlrev_b32_e32 v49, 30, v68
	v_and_b32_e32 v49, 0x80000000, v49
	v_cndmask_b32_e32 v39, v39, v65, vcc
	v_cndmask_b32_e32 v38, v38, v64, vcc
	v_xor_b32_e32 v39, v39, v49
	v_cndmask_b32_e64 v38, 0, v38, s[0:1]
	v_cndmask_b32_e64 v39, v69, v39, s[0:1]
	s_mov_b32 s0, 0
	s_brev_b32 s1, 8
	v_mul_f64 v[36:37], v[36:37], v[38:39]
	v_cmp_gt_f64_e32 vcc, s[0:1], v[26:27]
	v_fmac_f64_e32 v[36:37], v[54:55], v[34:35]
	s_mov_b32 s0, 0x33d43651
	v_cndmask_b32_e64 v34, 0, 1, vcc
	v_lshlrev_b32_e32 v34, 8, v34
	v_ldexp_f64 v[26:27], v[26:27], v34
	v_rsq_f64_e32 v[34:35], v[26:27]
	s_mov_b32 s1, 0x3fe98845
	v_mul_f64 v[36:37], v[36:37], s[0:1]
	v_mul_f64 v[38:39], v[26:27], v[34:35]
	v_mul_f64 v[34:35], v[34:35], 0.5
	v_fma_f64 v[50:51], -v[34:35], v[38:39], 0.5
	v_fmac_f64_e32 v[38:39], v[38:39], v[50:51]
	v_fma_f64 v[52:53], -v[38:39], v[38:39], v[26:27]
	v_fmac_f64_e32 v[34:35], v[34:35], v[50:51]
	v_fmac_f64_e32 v[38:39], v[52:53], v[34:35]
	v_fma_f64 v[50:51], -v[38:39], v[38:39], v[26:27]
	v_fmac_f64_e32 v[38:39], v[50:51], v[34:35]
	v_mov_b32_e32 v34, 0xffffff80
	v_cndmask_b32_e32 v34, 0, v34, vcc
	v_ldexp_f64 v[34:35], v[38:39], v34
	v_mov_b32_e32 v38, 0x260
	v_cmp_class_f64_e32 vcc, v[26:27], v38
	s_nop 1
	v_cndmask_b32_e32 v27, v35, v27, vcc
	v_cndmask_b32_e32 v26, v34, v26, vcc
	v_div_scale_f64 v[34:35], s[0:1], v[26:27], v[26:27], v[36:37]
	v_rcp_f64_e32 v[38:39], v[34:35]
	s_nop 0
	v_fma_f64 v[50:51], -v[34:35], v[38:39], 1.0
	v_fmac_f64_e32 v[38:39], v[38:39], v[50:51]
	v_fma_f64 v[50:51], -v[34:35], v[38:39], 1.0
	v_fmac_f64_e32 v[38:39], v[38:39], v[50:51]
	v_div_scale_f64 v[50:51], vcc, v[36:37], v[26:27], v[36:37]
	v_mul_f64 v[52:53], v[50:51], v[38:39]
	v_fma_f64 v[34:35], -v[34:35], v[52:53], v[50:51]
	s_nop 1
	v_div_fmas_f64 v[34:35], v[34:35], v[38:39], v[52:53]
	v_div_fixup_f64 v[34:35], v[34:35], v[26:27], v[36:37]
.LBB1_180:
	s_or_b64 exec, exec, s[4:5]
	s_mov_b32 s0, 0
	s_mov_b32 s1, 0x40140000
	v_cmp_ge_f64_e32 vcc, s[0:1], v[28:29]
	s_and_saveexec_b64 s[0:1], vcc
	s_xor_b64 s[0:1], exec, s[0:1]
	s_cbranch_execz .LBB1_190
; %bb.181:
	v_mov_b32_e32 v36, 0
	v_cmp_neq_f64_e32 vcc, 0, v[28:29]
	v_mov_b32_e32 v37, 0xfff00000
	s_and_saveexec_b64 s[4:5], vcc
	s_cbranch_execz .LBB1_189
; %bb.182:
	v_mov_b32_e32 v36, 0
	v_cmp_ngt_f64_e32 vcc, 0, v[28:29]
	v_mov_b32_e32 v37, 0x7ff80000
	s_and_saveexec_b64 s[6:7], vcc
	s_cbranch_execz .LBB1_188
; %bb.183:
	s_mov_b32 s8, 0x88e368f1
	v_mul_f64 v[36:37], v[28:29], v[28:29]
	s_mov_b32 s9, 0x3ee4f8b5
	v_mul_f64 v[38:39], v[36:37], 0
	v_cmp_ngt_f64_e32 vcc, s[8:9], v[28:29]
                                        ; implicit-def: $vgpr26_vgpr27
	s_and_saveexec_b64 s[8:9], vcc
	s_xor_b64 s[8:9], exec, s[8:9]
	s_cbranch_execz .LBB1_185
; %bb.184:
	s_mov_b32 s10, 0xad1c8325
	s_mov_b32 s11, 0xc1f1dc53
	v_add_f64 v[26:27], v[38:39], s[10:11]
	v_mov_b32_e32 v50, 0xc772990d
	v_mov_b32_e32 v51, 0x427c7751
	s_mov_b32 s10, 0xa696b78c
	v_fmac_f64_e32 v[50:51], v[36:37], v[26:27]
	v_mov_b32_e32 v26, 0xe0d900f7
	v_mov_b32_e32 v27, 0xc2ec5614
	s_mov_b32 s11, 0x407f3902
	v_fmac_f64_e32 v[26:27], v[36:37], v[50:51]
	v_add_f64 v[50:51], v[38:39], s[10:11]
	v_mov_b32_e32 v52, 0x36a21a67
	v_mov_b32_e32 v53, 0x410536cb
	v_fmac_f64_e32 v[52:53], v[36:37], v[50:51]
	v_mov_b32_e32 v50, 0x2eac0634
	v_mov_b32_e32 v51, 0x41871934
	v_fmac_f64_e32 v[50:51], v[36:37], v[52:53]
	;; [unrolled: 3-line block ×6, first 2 shown]
	v_mov_b32_e32 v52, 0xc7b662cc
	v_mov_b32_e32 v53, 0x43b7be34
	s_mov_b32 s10, 0x80462bbb
	v_fmac_f64_e32 v[52:53], v[36:37], v[50:51]
	v_mov_b32_e32 v50, 0x69ff5fb4
	v_mov_b32_e32 v51, 0x43413ef8
	s_mov_b32 s11, 0xc01721fb
	v_fmac_f64_e32 v[50:51], v[36:37], v[26:27]
	v_add_f64 v[26:27], v[36:37], s[10:11]
	s_mov_b32 s10, 0xa621dd6f
	s_mov_b32 s11, 0xc03e78a4
	v_add_f64 v[54:55], v[36:37], s[10:11]
	v_mul_f64 v[26:27], v[26:27], v[54:55]
	v_mul_f64 v[26:27], v[26:27], v[50:51]
	v_div_scale_f64 v[50:51], s[10:11], v[52:53], v[52:53], v[26:27]
	v_rcp_f64_e32 v[54:55], v[50:51]
	s_nop 0
	v_fma_f64 v[64:65], -v[50:51], v[54:55], 1.0
	v_fmac_f64_e32 v[54:55], v[54:55], v[64:65]
	v_fma_f64 v[64:65], -v[50:51], v[54:55], 1.0
	v_fmac_f64_e32 v[54:55], v[54:55], v[64:65]
	v_div_scale_f64 v[64:65], vcc, v[26:27], v[52:53], v[26:27]
	v_mul_f64 v[66:67], v[64:65], v[54:55]
	v_fma_f64 v[50:51], -v[50:51], v[66:67], v[64:65]
	s_nop 1
	v_div_fmas_f64 v[50:51], v[50:51], v[54:55], v[66:67]
	v_div_fixup_f64 v[26:27], v[50:51], v[52:53], v[26:27]
.LBB1_185:
	s_andn2_saveexec_b64 s[8:9], s[8:9]
; %bb.186:
	s_mov_b32 s10, 0
	s_mov_b32 s11, 0xbfd00000
	v_fma_f64 v[26:27], v[36:37], s[10:11], 1.0
; %bb.187:
	s_or_b64 exec, exec, s[8:9]
	s_mov_b32 s8, 0xe896898f
	s_mov_b32 s9, 0x40ce7437
	v_add_f64 v[50:51], v[38:39], s[8:9]
	v_mov_b32_e32 v52, 0x32e48896
	v_mov_b32_e32 v53, 0xc16bf81f
	v_fmac_f64_e32 v[52:53], v[36:37], v[50:51]
	v_mov_b32_e32 v50, 0xf0284cdd
	v_mov_b32_e32 v51, 0x41f43f78
	v_fmac_f64_e32 v[50:51], v[36:37], v[52:53]
	;; [unrolled: 3-line block ×4, first 2 shown]
	v_mov_b32_e32 v52, 0xd1d8cc02
	v_mov_b32_e32 v53, 0xc328a121
	s_mov_b32 s8, 0x576dfcb6
	v_fmac_f64_e32 v[52:53], v[36:37], v[50:51]
	v_mov_b32_e32 v50, 0x660b4003
	v_mov_b32_e32 v51, 0x4363a94b
	s_mov_b32 s9, 0x40904522
	v_fmac_f64_e32 v[50:51], v[36:37], v[52:53]
	v_add_f64 v[38:39], v[38:39], s[8:9]
	v_mov_b32_e32 v52, 0xa907bc0c
	v_mov_b32_e32 v53, 0x41231b76
	v_fmac_f64_e32 v[52:53], v[36:37], v[38:39]
	v_mov_b32_e32 v38, 0x5164d101
	v_mov_b32_e32 v39, 0x41b00763
	v_fmac_f64_e32 v[38:39], v[36:37], v[52:53]
	;; [unrolled: 3-line block ×7, first 2 shown]
	v_div_scale_f64 v[36:37], s[8:9], v[38:39], v[38:39], v[52:53]
	v_rcp_f64_e32 v[50:51], v[36:37]
	s_mov_b32 s8, 0x55555555
	v_frexp_exp_i32_f64_e32 v49, v[28:29]
	v_frexp_mant_f64_e32 v[28:29], v[28:29]
	v_fma_f64 v[54:55], -v[36:37], v[50:51], 1.0
	v_fmac_f64_e32 v[50:51], v[50:51], v[54:55]
	v_fma_f64 v[54:55], -v[36:37], v[50:51], 1.0
	v_fmac_f64_e32 v[50:51], v[50:51], v[54:55]
	v_div_scale_f64 v[54:55], vcc, v[52:53], v[38:39], v[52:53]
	v_mul_f64 v[64:65], v[54:55], v[50:51]
	v_fma_f64 v[36:37], -v[36:37], v[64:65], v[54:55]
	s_mov_b32 s9, 0x3fe55555
	s_nop 0
	v_div_fmas_f64 v[36:37], v[36:37], v[50:51], v[64:65]
	v_div_fixup_f64 v[36:37], v[36:37], v[38:39], v[52:53]
	v_mov_b32_e32 v38, 0x3ff00000
	v_cmp_gt_f64_e32 vcc, s[8:9], v[28:29]
	s_mov_b32 s8, 0xbf559e2b
	s_mov_b32 s9, 0x3fc3ab76
	v_cndmask_b32_e64 v39, v38, 2.0, vcc
	v_mov_b32_e32 v38, 0
	v_mul_f64 v[28:29], v[28:29], v[38:39]
	v_add_f64 v[38:39], v[28:29], 1.0
	v_rcp_f64_e32 v[50:51], v[38:39]
	v_add_f64 v[54:55], v[38:39], -1.0
	v_add_f64 v[52:53], v[28:29], -1.0
	v_add_f64 v[28:29], v[28:29], -v[54:55]
	v_fma_f64 v[54:55], -v[38:39], v[50:51], 1.0
	v_fmac_f64_e32 v[50:51], v[54:55], v[50:51]
	v_fma_f64 v[54:55], -v[38:39], v[50:51], 1.0
	v_fmac_f64_e32 v[50:51], v[54:55], v[50:51]
	v_mul_f64 v[54:55], v[52:53], v[50:51]
	v_mul_f64 v[64:65], v[38:39], v[54:55]
	v_fma_f64 v[38:39], v[54:55], v[38:39], -v[64:65]
	v_fmac_f64_e32 v[38:39], v[54:55], v[28:29]
	v_add_f64 v[28:29], v[64:65], v[38:39]
	v_add_f64 v[66:67], v[52:53], -v[28:29]
	v_add_f64 v[64:65], v[28:29], -v[64:65]
	v_add_f64 v[52:53], v[52:53], -v[66:67]
	v_add_f64 v[28:29], v[52:53], -v[28:29]
	v_add_f64 v[38:39], v[64:65], -v[38:39]
	v_add_f64 v[28:29], v[38:39], v[28:29]
	v_add_f64 v[28:29], v[66:67], v[28:29]
	v_mul_f64 v[28:29], v[50:51], v[28:29]
	v_add_f64 v[38:39], v[54:55], v[28:29]
	v_add_f64 v[50:51], v[38:39], -v[54:55]
	v_add_f64 v[28:29], v[28:29], -v[50:51]
	v_mul_f64 v[50:51], v[38:39], v[38:39]
	v_mov_b32_e32 v52, 0x6b47b09a
	v_mov_b32_e32 v53, 0x3fc38538
	v_fmac_f64_e32 v[52:53], s[8:9], v[50:51]
	v_mov_b32_e32 v54, 0xd7f4df2e
	v_mov_b32_e32 v55, 0x3fc7474d
	v_fmac_f64_e32 v[54:55], v[50:51], v[52:53]
	;; [unrolled: 3-line block ×6, first 2 shown]
	v_ldexp_f64 v[52:53], v[38:39], 1
	v_mul_f64 v[38:39], v[38:39], v[50:51]
	v_mul_f64 v[38:39], v[38:39], v[54:55]
	v_add_f64 v[50:51], v[52:53], v[38:39]
	v_add_f64 v[52:53], v[50:51], -v[52:53]
	v_ldexp_f64 v[28:29], v[28:29], 1
	v_add_f64 v[38:39], v[38:39], -v[52:53]
	v_add_f64 v[28:29], v[28:29], v[38:39]
	v_add_f64 v[38:39], v[50:51], v[28:29]
	v_subbrev_co_u32_e32 v49, vcc, 0, v49, vcc
	v_add_f64 v[50:51], v[38:39], -v[50:51]
	s_mov_b32 s8, 0xfefa39ef
	v_add_f64 v[28:29], v[28:29], -v[50:51]
	v_cvt_f64_i32_e32 v[50:51], v49
	s_mov_b32 s9, 0x3fe62e42
	v_mul_f64 v[52:53], v[50:51], s[8:9]
	v_fma_f64 v[54:55], v[50:51], s[8:9], -v[52:53]
	s_mov_b32 s8, 0x3b39803f
	s_mov_b32 s9, 0x3c7abc9e
	v_fmac_f64_e32 v[54:55], s[8:9], v[50:51]
	v_add_f64 v[50:51], v[52:53], v[54:55]
	v_add_f64 v[52:53], v[50:51], -v[52:53]
	v_add_f64 v[52:53], v[54:55], -v[52:53]
	v_add_f64 v[54:55], v[50:51], v[38:39]
	v_add_f64 v[64:65], v[54:55], -v[50:51]
	v_add_f64 v[66:67], v[54:55], -v[64:65]
	;; [unrolled: 1-line block ×4, first 2 shown]
	v_add_f64 v[38:39], v[38:39], v[50:51]
	v_add_f64 v[50:51], v[52:53], v[28:29]
	v_add_f64 v[64:65], v[50:51], -v[52:53]
	v_add_f64 v[66:67], v[50:51], -v[64:65]
	v_add_f64 v[38:39], v[50:51], v[38:39]
	v_add_f64 v[52:53], v[52:53], -v[66:67]
	v_add_f64 v[28:29], v[28:29], -v[64:65]
	v_add_f64 v[50:51], v[54:55], v[38:39]
	v_add_f64 v[28:29], v[28:29], v[52:53]
	v_add_f64 v[52:53], v[50:51], -v[54:55]
	v_add_f64 v[38:39], v[38:39], -v[52:53]
	v_add_f64 v[28:29], v[28:29], v[38:39]
	s_mov_b32 s8, 0x6dc9c883
	v_add_f64 v[28:29], v[50:51], v[28:29]
	s_mov_b32 s9, 0x3fe45f30
	v_mul_f64 v[28:29], v[28:29], s[8:9]
	v_fmac_f64_e32 v[36:37], v[28:29], v[26:27]
.LBB1_188:
	s_or_b64 exec, exec, s[6:7]
.LBB1_189:
	s_or_b64 exec, exec, s[4:5]
                                        ; implicit-def: $vgpr28_vgpr29
.LBB1_190:
	s_andn2_saveexec_b64 s[4:5], s[0:1]
	s_cbranch_execz .LBB1_200
; %bb.191:
	s_mov_b32 s9, 0xbfe921fb
	s_mov_b32 s8, 0x54442d18
	;; [unrolled: 1-line block ×3, first 2 shown]
	v_add_f64 v[26:27], v[28:29], s[8:9]
	s_mov_b32 s1, 0x41d00000
	v_cmp_nlt_f64_e64 s[6:7], |v[26:27]|, s[0:1]
	v_trig_preop_f64 v[66:67], |v[26:27]|, 0
	v_trig_preop_f64 v[64:65], |v[26:27]|, 1
	v_trig_preop_f64 v[54:55], |v[26:27]|, 2
                                        ; implicit-def: $vgpr49
                                        ; implicit-def: $vgpr36_vgpr37
                                        ; implicit-def: $vgpr38_vgpr39
	s_and_saveexec_b64 s[0:1], s[6:7]
	s_xor_b64 s[10:11], exec, s[0:1]
	s_cbranch_execz .LBB1_193
; %bb.192:
	s_mov_b32 s0, 0
	s_mov_b32 s1, 0x7b000000
	s_movk_i32 s9, 0xff80
	v_and_b32_e32 v38, 0x7fffffff, v27
	v_ldexp_f64 v[36:37], |v[26:27]|, s9
	v_cmp_ge_f64_e64 vcc, |v[26:27]|, s[0:1]
	s_mov_b32 s0, 0
	s_mov_b32 s1, 0x7ff00000
	v_cndmask_b32_e32 v37, v38, v37, vcc
	v_cndmask_b32_e32 v36, v26, v36, vcc
	v_mul_f64 v[50:51], v[66:67], v[36:37]
	v_mul_f64 v[38:39], v[64:65], v[36:37]
	v_fma_f64 v[52:53], v[66:67], v[36:37], -v[50:51]
	v_add_f64 v[68:69], v[38:39], v[52:53]
	v_add_f64 v[70:71], v[50:51], v[68:69]
	v_ldexp_f64 v[80:81], v[70:71], -2
	v_fract_f64_e32 v[82:83], v[80:81]
	v_cmp_neq_f64_e64 vcc, |v[80:81]|, s[0:1]
	v_add_f64 v[50:51], v[70:71], -v[50:51]
	v_add_f64 v[50:51], v[68:69], -v[50:51]
	v_cndmask_b32_e32 v81, 0, v83, vcc
	v_cndmask_b32_e32 v80, 0, v82, vcc
	v_add_f64 v[82:83], v[68:69], -v[38:39]
	v_add_f64 v[52:53], v[52:53], -v[82:83]
	;; [unrolled: 1-line block ×4, first 2 shown]
	v_add_f64 v[52:53], v[52:53], v[82:83]
	v_fma_f64 v[38:39], v[64:65], v[36:37], -v[38:39]
	v_mul_f64 v[82:83], v[54:55], v[36:37]
	v_add_f64 v[86:87], v[82:83], v[38:39]
	v_add_f64 v[96:97], v[86:87], v[52:53]
	v_add_f64 v[70:71], v[96:97], -v[86:87]
	v_add_f64 v[52:53], v[52:53], -v[70:71]
	;; [unrolled: 1-line block ×4, first 2 shown]
	v_add_f64 v[52:53], v[52:53], v[70:71]
	v_add_f64 v[70:71], v[86:87], -v[82:83]
	v_add_f64 v[38:39], v[38:39], -v[70:71]
	;; [unrolled: 1-line block ×4, first 2 shown]
	v_add_f64 v[68:69], v[50:51], v[96:97]
	v_add_f64 v[38:39], v[38:39], v[70:71]
	v_add_f64 v[50:51], v[68:69], -v[50:51]
	v_add_f64 v[38:39], v[38:39], v[52:53]
	v_fma_f64 v[36:37], v[54:55], v[36:37], -v[82:83]
	v_add_f64 v[50:51], v[96:97], -v[50:51]
	v_add_f64 v[36:37], v[36:37], v[38:39]
	v_ldexp_f64 v[38:39], v[80:81], 2
	v_add_f64 v[36:37], v[50:51], v[36:37]
	v_add_f64 v[50:51], v[68:69], v[38:39]
	v_mov_b32_e32 v49, 0x40100000
	v_cmp_gt_f64_e32 vcc, 0, v[50:51]
	v_mov_b32_e32 v84, 0
	s_mov_b32 s9, 0x3ff921fb
	v_cndmask_b32_e32 v85, 0, v49, vcc
	v_add_f64 v[38:39], v[38:39], v[84:85]
	v_add_f64 v[50:51], v[68:69], v[38:39]
	v_cvt_i32_f64_e32 v49, v[50:51]
	v_cvt_f64_i32_e32 v[50:51], v49
	v_add_f64 v[38:39], v[38:39], -v[50:51]
	v_add_f64 v[50:51], v[68:69], v[38:39]
	v_add_f64 v[38:39], v[50:51], -v[38:39]
	v_add_f64 v[38:39], v[68:69], -v[38:39]
	v_add_f64 v[36:37], v[36:37], v[38:39]
	v_cmp_le_f64_e32 vcc, 0.5, v[50:51]
	v_mov_b32_e32 v38, 0x3ff00000
	s_nop 0
	v_cndmask_b32_e32 v85, 0, v38, vcc
	v_add_f64 v[38:39], v[50:51], -v[84:85]
	v_add_f64 v[50:51], v[38:39], v[36:37]
	v_addc_co_u32_e64 v49, s[0:1], 0, v49, vcc
	v_add_f64 v[38:39], v[50:51], -v[38:39]
	v_add_f64 v[36:37], v[36:37], -v[38:39]
	v_mul_f64 v[38:39], v[50:51], s[8:9]
	s_mov_b32 s0, 0x33145c07
	v_fma_f64 v[52:53], v[50:51], s[8:9], -v[38:39]
	s_mov_b32 s1, 0x3c91a626
	v_fmac_f64_e32 v[52:53], s[0:1], v[50:51]
	v_fmac_f64_e32 v[52:53], s[8:9], v[36:37]
	v_add_f64 v[36:37], v[38:39], v[52:53]
	v_add_f64 v[38:39], v[36:37], -v[38:39]
	v_add_f64 v[38:39], v[52:53], -v[38:39]
	s_andn2_saveexec_b64 s[0:1], s[10:11]
	s_cbranch_execz .LBB1_195
	s_branch .LBB1_194
.LBB1_193:
	s_andn2_saveexec_b64 s[0:1], s[10:11]
	s_cbranch_execz .LBB1_195
.LBB1_194:
	s_mov_b32 s8, 0x6dc9c883
	s_mov_b32 s9, 0x3fe45f30
	v_mul_f64 v[36:37], |v[26:27]|, s[8:9]
	s_mov_b32 s8, 0x54442d18
	v_rndne_f64_e32 v[50:51], v[36:37]
	s_mov_b32 s9, 0xbff921fb
	v_fma_f64 v[36:37], v[50:51], s[8:9], |v[26:27]|
	s_mov_b32 s9, 0xbc91a626
	s_mov_b32 s8, 0x33145c00
	v_mul_f64 v[52:53], v[50:51], s[8:9]
	v_add_f64 v[70:71], v[36:37], v[52:53]
	v_fma_f64 v[38:39], s[8:9], v[50:51], v[36:37]
	s_mov_b32 s9, 0x3c91a626
	v_add_f64 v[36:37], v[36:37], -v[70:71]
	v_fma_f64 v[68:69], s[8:9], v[50:51], v[52:53]
	v_add_f64 v[36:37], v[36:37], v[52:53]
	v_add_f64 v[52:53], v[70:71], -v[38:39]
	v_add_f64 v[36:37], v[52:53], v[36:37]
	s_mov_b32 s8, 0x252049c0
	v_add_f64 v[52:53], v[36:37], -v[68:69]
	s_mov_b32 s9, 0xb97b839a
	v_fmac_f64_e32 v[52:53], s[8:9], v[50:51]
	v_add_f64 v[36:37], v[38:39], v[52:53]
	v_add_f64 v[38:39], v[36:37], -v[38:39]
	v_add_f64 v[38:39], v[52:53], -v[38:39]
	v_cvt_i32_f64_e32 v49, v[50:51]
.LBB1_195:
	s_or_b64 exec, exec, s[0:1]
                                        ; implicit-def: $vgpr68
                                        ; implicit-def: $vgpr50_vgpr51
                                        ; implicit-def: $vgpr52_vgpr53
	s_and_saveexec_b64 s[0:1], s[6:7]
	s_xor_b64 s[6:7], exec, s[0:1]
	s_cbranch_execz .LBB1_197
; %bb.196:
	s_mov_b32 s0, 0
	s_mov_b32 s1, 0x7b000000
	s_movk_i32 s8, 0xff80
	v_and_b32_e32 v52, 0x7fffffff, v27
	v_ldexp_f64 v[50:51], |v[26:27]|, s8
	v_cmp_ge_f64_e64 vcc, |v[26:27]|, s[0:1]
	s_mov_b32 s0, 0
	s_mov_b32 s1, 0x7ff00000
	v_cndmask_b32_e32 v51, v52, v51, vcc
	v_cndmask_b32_e32 v50, v26, v50, vcc
	v_mul_f64 v[68:69], v[66:67], v[50:51]
	v_mul_f64 v[52:53], v[64:65], v[50:51]
	v_fma_f64 v[66:67], v[66:67], v[50:51], -v[68:69]
	v_add_f64 v[70:71], v[52:53], v[66:67]
	v_add_f64 v[80:81], v[68:69], v[70:71]
	v_ldexp_f64 v[82:83], v[80:81], -2
	v_fract_f64_e32 v[84:85], v[82:83]
	v_cmp_neq_f64_e64 vcc, |v[82:83]|, s[0:1]
	v_add_f64 v[68:69], v[80:81], -v[68:69]
	v_add_f64 v[68:69], v[70:71], -v[68:69]
	v_cndmask_b32_e32 v83, 0, v85, vcc
	v_cndmask_b32_e32 v82, 0, v84, vcc
	v_add_f64 v[84:85], v[70:71], -v[52:53]
	v_add_f64 v[66:67], v[66:67], -v[84:85]
	;; [unrolled: 1-line block ×4, first 2 shown]
	v_fma_f64 v[52:53], v[64:65], v[50:51], -v[52:53]
	v_mul_f64 v[64:65], v[54:55], v[50:51]
	v_add_f64 v[66:67], v[66:67], v[84:85]
	v_add_f64 v[84:85], v[64:65], v[52:53]
	;; [unrolled: 1-line block ×3, first 2 shown]
	v_add_f64 v[80:81], v[96:97], -v[84:85]
	v_add_f64 v[66:67], v[66:67], -v[80:81]
	;; [unrolled: 1-line block ×4, first 2 shown]
	v_add_f64 v[66:67], v[66:67], v[80:81]
	v_add_f64 v[80:81], v[84:85], -v[64:65]
	v_add_f64 v[52:53], v[52:53], -v[80:81]
	;; [unrolled: 1-line block ×4, first 2 shown]
	v_add_f64 v[52:53], v[52:53], v[80:81]
	v_add_f64 v[52:53], v[52:53], v[66:67]
	v_fma_f64 v[50:51], v[54:55], v[50:51], -v[64:65]
	v_add_f64 v[70:71], v[68:69], v[96:97]
	v_add_f64 v[50:51], v[50:51], v[52:53]
	v_ldexp_f64 v[52:53], v[82:83], 2
	v_add_f64 v[54:55], v[70:71], v[52:53]
	v_mov_b32_e32 v64, 0x40100000
	v_cmp_gt_f64_e32 vcc, 0, v[54:55]
	v_mov_b32_e32 v86, 0
	v_add_f64 v[68:69], v[70:71], -v[68:69]
	v_cndmask_b32_e32 v87, 0, v64, vcc
	v_add_f64 v[52:53], v[52:53], v[86:87]
	v_add_f64 v[54:55], v[70:71], v[52:53]
	v_cvt_i32_f64_e32 v64, v[54:55]
	v_cvt_f64_i32_e32 v[54:55], v64
	v_add_f64 v[52:53], v[52:53], -v[54:55]
	v_add_f64 v[54:55], v[70:71], v[52:53]
	v_add_f64 v[68:69], v[96:97], -v[68:69]
	v_add_f64 v[52:53], v[54:55], -v[52:53]
	v_add_f64 v[50:51], v[68:69], v[50:51]
	v_add_f64 v[52:53], v[70:71], -v[52:53]
	v_add_f64 v[50:51], v[50:51], v[52:53]
	v_cmp_le_f64_e32 vcc, 0.5, v[54:55]
	v_mov_b32_e32 v52, 0x3ff00000
	s_mov_b32 s8, 0x33145c07
	v_cndmask_b32_e32 v87, 0, v52, vcc
	v_addc_co_u32_e64 v68, s[0:1], 0, v64, vcc
	v_add_f64 v[52:53], v[54:55], -v[86:87]
	v_add_f64 v[54:55], v[52:53], v[50:51]
	s_mov_b32 s0, 0x54442d18
	v_add_f64 v[52:53], v[54:55], -v[52:53]
	s_mov_b32 s1, 0x3ff921fb
	v_add_f64 v[50:51], v[50:51], -v[52:53]
	v_mul_f64 v[52:53], v[54:55], s[0:1]
	v_fma_f64 v[64:65], v[54:55], s[0:1], -v[52:53]
	s_mov_b32 s9, 0x3c91a626
	v_fmac_f64_e32 v[64:65], s[8:9], v[54:55]
	v_fmac_f64_e32 v[64:65], s[0:1], v[50:51]
	v_add_f64 v[50:51], v[52:53], v[64:65]
	v_add_f64 v[52:53], v[50:51], -v[52:53]
	v_add_f64 v[52:53], v[64:65], -v[52:53]
	s_andn2_saveexec_b64 s[0:1], s[6:7]
	s_cbranch_execnz .LBB1_198
	s_branch .LBB1_199
.LBB1_197:
	s_andn2_saveexec_b64 s[0:1], s[6:7]
	s_cbranch_execz .LBB1_199
.LBB1_198:
	s_mov_b32 s6, 0x6dc9c883
	s_mov_b32 s7, 0x3fe45f30
	v_mul_f64 v[50:51], |v[26:27]|, s[6:7]
	s_mov_b32 s6, 0x54442d18
	v_rndne_f64_e32 v[54:55], v[50:51]
	s_mov_b32 s7, 0xbff921fb
	v_fma_f64 v[50:51], v[54:55], s[6:7], |v[26:27]|
	s_mov_b32 s7, 0xbc91a626
	s_mov_b32 s6, 0x33145c00
	v_mul_f64 v[64:65], v[54:55], s[6:7]
	v_add_f64 v[68:69], v[50:51], v[64:65]
	v_fma_f64 v[52:53], s[6:7], v[54:55], v[50:51]
	s_mov_b32 s7, 0x3c91a626
	v_add_f64 v[50:51], v[50:51], -v[68:69]
	v_fma_f64 v[66:67], s[6:7], v[54:55], v[64:65]
	v_add_f64 v[50:51], v[50:51], v[64:65]
	v_add_f64 v[64:65], v[68:69], -v[52:53]
	v_add_f64 v[50:51], v[64:65], v[50:51]
	s_mov_b32 s6, 0x252049c0
	v_add_f64 v[64:65], v[50:51], -v[66:67]
	s_mov_b32 s7, 0xb97b839a
	v_fmac_f64_e32 v[64:65], s[6:7], v[54:55]
	v_add_f64 v[50:51], v[52:53], v[64:65]
	v_add_f64 v[52:53], v[50:51], -v[52:53]
	v_add_f64 v[52:53], v[64:65], -v[52:53]
	v_cvt_i32_f64_e32 v68, v[54:55]
.LBB1_199:
	s_or_b64 exec, exec, s[0:1]
	s_mov_b32 s0, 0
	v_mul_f64 v[54:55], v[28:29], v[28:29]
	s_mov_b32 s1, 0x40390000
	v_div_scale_f64 v[64:65], s[6:7], v[54:55], v[54:55], s[0:1]
	v_rcp_f64_e32 v[66:67], v[64:65]
	v_mov_b32_e32 v82, 0xb1759c7f
	v_mov_b32_e32 v83, 0x408ac370
	;; [unrolled: 1-line block ×3, first 2 shown]
	v_fma_f64 v[70:71], -v[64:65], v[66:67], 1.0
	v_fmac_f64_e32 v[66:67], v[66:67], v[70:71]
	v_fma_f64 v[70:71], -v[64:65], v[66:67], 1.0
	v_fmac_f64_e32 v[66:67], v[66:67], v[70:71]
	v_div_scale_f64 v[70:71], vcc, s[0:1], v[54:55], s[0:1]
	v_mul_f64 v[80:81], v[70:71], v[66:67]
	v_fma_f64 v[64:65], -v[64:65], v[80:81], v[70:71]
	v_mov_b32_e32 v70, 0xab5454e3
	s_nop 0
	v_div_fmas_f64 v[64:65], v[64:65], v[66:67], v[80:81]
	v_div_fixup_f64 v[54:55], v[64:65], v[54:55], s[0:1]
	v_mov_b32_e32 v64, 0x983b6b27
	v_mov_b32_e32 v65, 0x3f4a1d30
	v_fmac_f64_e32 v[64:65], 0, v[54:55]
	v_mov_b32_e32 v66, 0xb35dd1cf
	v_mov_b32_e32 v67, 0x3fb534b0
	v_fmac_f64_e32 v[66:67], v[54:55], v[64:65]
	;; [unrolled: 3-line block ×7, first 2 shown]
	v_mov_b32_e32 v71, 0x3fb5ebc5
	v_fmac_f64_e32 v[70:71], v[54:55], v[64:65]
	v_mov_b32_e32 v64, 0xc9b3069f
	v_mov_b32_e32 v65, 0x3ff40e72
	v_fmac_f64_e32 v[64:65], v[54:55], v[70:71]
	v_mov_b32_e32 v70, 0xe68162bb
	v_mov_b32_e32 v71, 0x4015e247
	v_fmac_f64_e32 v[70:71], v[54:55], v[64:65]
	v_mov_b32_e32 v64, 0xea1b21a1
	v_mov_b32_e32 v65, 0x40218618
	v_fmac_f64_e32 v[64:65], v[54:55], v[70:71]
	v_mov_b32_e32 v70, 0xed423a19
	v_mov_b32_e32 v71, 0x40153965
	v_fmac_f64_e32 v[70:71], v[54:55], v[64:65]
	v_fma_f64 v[64:65], v[54:55], v[70:71], 1.0
	v_mov_b32_e32 v70, 0x38a5384a
	v_mov_b32_e32 v71, 0xbf874742
	v_fmac_f64_e32 v[70:71], 0, v[54:55]
	v_mov_b32_e32 v80, 0x3a321174
	v_mov_b32_e32 v81, 0xbff4853b
	v_fmac_f64_e32 v[80:81], v[54:55], v[70:71]
	;; [unrolled: 3-line block ×9, first 2 shown]
	v_fmac_f64_e32 v[82:83], v[54:55], v[70:71]
	v_mov_b32_e32 v70, 0xbd748cb5
	v_mov_b32_e32 v71, 0x40ae54cd
	v_fmac_f64_e32 v[70:71], v[54:55], v[82:83]
	v_mov_b32_e32 v82, 0xbdefd63e
	v_mov_b32_e32 v83, 0x40bc4877
	;; [unrolled: 3-line block ×4, first 2 shown]
	v_fma_f64 v[66:67], v[54:55], v[66:67], 1.0
	v_fmac_f64_e32 v[82:83], v[54:55], v[70:71]
	v_div_scale_f64 v[70:71], s[0:1], v[64:65], v[64:65], v[66:67]
	v_rcp_f64_e32 v[84:85], v[70:71]
	v_mov_b32_e32 v87, 0x406e402f
	v_fmac_f64_e32 v[86:87], v[54:55], v[82:83]
	s_mov_b32 s0, 0x9037ab78
	v_fma_f64 v[54:55], -v[70:71], v[84:85], 1.0
	v_fmac_f64_e32 v[84:85], v[84:85], v[54:55]
	v_fma_f64 v[54:55], -v[70:71], v[84:85], 1.0
	v_fmac_f64_e32 v[84:85], v[84:85], v[54:55]
	v_div_scale_f64 v[54:55], vcc, v[66:67], v[64:65], v[66:67]
	v_mul_f64 v[82:83], v[54:55], v[84:85]
	v_fma_f64 v[54:55], -v[70:71], v[82:83], v[54:55]
	s_mov_b32 s1, 0x3e21eeb6
	s_nop 0
	v_div_fmas_f64 v[54:55], v[54:55], v[84:85], v[82:83]
	s_mov_b32 s6, 0x46cc5e42
	v_div_fixup_f64 v[54:55], v[54:55], v[64:65], v[66:67]
	v_mul_f64 v[64:65], v[36:37], v[36:37]
	s_mov_b32 s7, 0xbda907db
	v_mov_b64_e32 v[84:85], s[0:1]
	s_mov_b32 s8, 0xa17f65f6
	v_mul_f64 v[66:67], v[64:65], 0.5
	v_fma_f64 v[96:97], s[6:7], v[64:65], v[84:85]
	s_mov_b32 s9, 0xbe927e4f
	s_mov_b32 s10, 0x19f4ec90
	v_add_f64 v[70:71], -v[66:67], 1.0
	v_fma_f64 v[96:97], v[64:65], v[96:97], s[8:9]
	s_mov_b32 s11, 0x3efa01a0
	s_mov_b32 s12, 0x16c16967
	v_add_f64 v[82:83], -v[70:71], 1.0
	v_fma_f64 v[96:97], v[64:65], v[96:97], s[10:11]
	s_mov_b32 s13, 0xbf56c16c
	s_mov_b32 s14, 0x55555555
	v_add_f64 v[66:67], v[82:83], -v[66:67]
	v_fma_f64 v[96:97], v[64:65], v[96:97], s[12:13]
	s_mov_b32 s15, 0x3fa55555
	v_mul_f64 v[82:83], v[64:65], v[64:65]
	v_fma_f64 v[96:97], v[64:65], v[96:97], s[14:15]
	v_fma_f64 v[66:67], v[36:37], -v[38:39], v[66:67]
	s_mov_b32 s0, 0xb42fdfa7
	v_fmac_f64_e32 v[66:67], v[82:83], v[96:97]
	s_mov_b32 s1, 0xbe5ae600
	s_mov_b32 s16, 0xf9a43bb8
	v_add_f64 v[66:67], v[70:71], v[66:67]
	s_mov_b32 s17, 0x3de5e0b2
	v_mov_b64_e32 v[70:71], s[0:1]
	s_mov_b32 s18, 0x796cde01
	v_fma_f64 v[82:83], s[16:17], v[64:65], v[70:71]
	s_mov_b32 s19, 0x3ec71de3
	s_mov_b32 s20, 0x19e83e5c
	v_fma_f64 v[82:83], v[64:65], v[82:83], s[18:19]
	s_mov_b32 s21, 0xbf2a01a0
	;; [unrolled: 3-line block ×3, first 2 shown]
	v_fma_f64 v[82:83], v[64:65], v[82:83], s[22:23]
	v_mul_f64 v[96:97], v[36:37], -v[64:65]
	v_mul_f64 v[98:99], v[38:39], 0.5
	v_fmac_f64_e32 v[98:99], v[96:97], v[82:83]
	v_fma_f64 v[38:39], v[64:65], v[98:99], -v[38:39]
	s_mov_b32 s25, 0xbfc55555
	s_mov_b32 s24, s14
	v_fmac_f64_e32 v[38:39], s[24:25], v[96:97]
	v_add_f64 v[36:37], v[36:37], -v[38:39]
	v_and_b32_e32 v38, 1, v49
	v_cmp_eq_u32_e32 vcc, 0, v38
	s_mov_b32 s26, 0
	s_mov_b32 s27, 0x40140000
	v_cndmask_b32_e32 v64, v66, v36, vcc
	v_cndmask_b32_e32 v36, v67, v37, vcc
	v_lshlrev_b32_e32 v37, 30, v49
	v_xor_b32_e32 v37, v37, v27
	v_and_b32_e32 v37, 0x80000000, v37
	v_xor_b32_e32 v49, v36, v37
	v_div_scale_f64 v[36:37], s[0:1], v[28:29], v[28:29], s[26:27]
	v_rcp_f64_e32 v[38:39], v[36:37]
	s_movk_i32 s28, 0x1f8
	v_cmp_class_f64_e64 s[0:1], v[26:27], s28
	v_mov_b32_e32 v69, 0x7ff80000
	s_nop 0
	v_cndmask_b32_e64 v26, 0, v64, s[0:1]
	v_fma_f64 v[64:65], -v[36:37], v[38:39], 1.0
	v_fmac_f64_e32 v[38:39], v[38:39], v[64:65]
	v_fma_f64 v[64:65], -v[36:37], v[38:39], 1.0
	v_fmac_f64_e32 v[38:39], v[38:39], v[64:65]
	v_div_scale_f64 v[64:65], vcc, s[26:27], v[28:29], s[26:27]
	v_mul_f64 v[66:67], v[64:65], v[38:39]
	v_fma_f64 v[36:37], -v[36:37], v[66:67], v[64:65]
	v_div_scale_f64 v[64:65], s[28:29], v[86:87], v[86:87], v[80:81]
	v_rcp_f64_e32 v[82:83], v[64:65]
	v_div_fmas_f64 v[36:37], v[36:37], v[38:39], v[66:67]
	v_div_fixup_f64 v[36:37], v[36:37], v[28:29], s[26:27]
	v_cndmask_b32_e64 v27, v69, v49, s[0:1]
	v_fma_f64 v[38:39], -v[64:65], v[82:83], 1.0
	v_fmac_f64_e32 v[82:83], v[82:83], v[38:39]
	v_fma_f64 v[38:39], -v[64:65], v[82:83], 1.0
	v_fmac_f64_e32 v[82:83], v[82:83], v[38:39]
	v_div_scale_f64 v[38:39], vcc, v[80:81], v[86:87], v[80:81]
	v_mul_f64 v[66:67], v[38:39], v[82:83]
	v_fma_f64 v[38:39], -v[64:65], v[66:67], v[38:39]
	v_and_b32_e32 v49, 1, v68
	s_nop 0
	v_div_fmas_f64 v[38:39], v[38:39], v[82:83], v[66:67]
	v_div_fixup_f64 v[38:39], v[38:39], v[86:87], v[80:81]
	v_mul_f64 v[36:37], v[36:37], v[38:39]
	v_mul_f64 v[38:39], v[50:51], v[50:51]
	v_mul_f64 v[64:65], v[38:39], 0.5
	v_fmac_f64_e32 v[84:85], s[6:7], v[38:39]
	v_add_f64 v[66:67], -v[64:65], 1.0
	v_fma_f64 v[82:83], v[38:39], v[84:85], s[8:9]
	v_add_f64 v[80:81], -v[66:67], 1.0
	v_fma_f64 v[82:83], v[38:39], v[82:83], s[10:11]
	v_add_f64 v[64:65], v[80:81], -v[64:65]
	v_fma_f64 v[82:83], v[38:39], v[82:83], s[12:13]
	v_mul_f64 v[80:81], v[38:39], v[38:39]
	v_fma_f64 v[82:83], v[38:39], v[82:83], s[14:15]
	v_fma_f64 v[64:65], v[50:51], -v[52:53], v[64:65]
	v_fmac_f64_e32 v[64:65], v[80:81], v[82:83]
	v_fmac_f64_e32 v[70:71], s[16:17], v[38:39]
	v_add_f64 v[64:65], v[66:67], v[64:65]
	v_fma_f64 v[66:67], v[38:39], v[70:71], s[18:19]
	v_fma_f64 v[66:67], v[38:39], v[66:67], s[20:21]
	;; [unrolled: 1-line block ×3, first 2 shown]
	v_mul_f64 v[70:71], v[50:51], -v[38:39]
	v_mul_f64 v[80:81], v[52:53], 0.5
	v_fmac_f64_e32 v[80:81], v[70:71], v[66:67]
	v_fma_f64 v[38:39], v[38:39], v[80:81], -v[52:53]
	v_fmac_f64_e32 v[38:39], s[24:25], v[70:71]
	v_add_f64 v[38:39], v[50:51], -v[38:39]
	v_xor_b32_e32 v39, 0x80000000, v39
	v_cmp_eq_u32_e32 vcc, 0, v49
	v_lshlrev_b32_e32 v49, 30, v68
	v_and_b32_e32 v49, 0x80000000, v49
	v_cndmask_b32_e32 v39, v39, v65, vcc
	v_cndmask_b32_e32 v38, v38, v64, vcc
	v_xor_b32_e32 v39, v39, v49
	v_cndmask_b32_e64 v38, 0, v38, s[0:1]
	v_cndmask_b32_e64 v39, v69, v39, s[0:1]
	s_mov_b32 s0, 0
	s_brev_b32 s1, 8
	v_mul_f64 v[36:37], v[36:37], v[38:39]
	v_cmp_gt_f64_e32 vcc, s[0:1], v[28:29]
	v_fmac_f64_e32 v[36:37], v[54:55], v[26:27]
	s_mov_b32 s0, 0x33d43651
	v_cndmask_b32_e64 v26, 0, 1, vcc
	v_lshlrev_b32_e32 v26, 8, v26
	v_ldexp_f64 v[26:27], v[28:29], v26
	v_rsq_f64_e32 v[28:29], v[26:27]
	s_mov_b32 s1, 0x3fe98845
	v_mul_f64 v[36:37], v[36:37], s[0:1]
	v_mul_f64 v[38:39], v[26:27], v[28:29]
	v_mul_f64 v[28:29], v[28:29], 0.5
	v_fma_f64 v[50:51], -v[28:29], v[38:39], 0.5
	v_fmac_f64_e32 v[38:39], v[38:39], v[50:51]
	v_fma_f64 v[52:53], -v[38:39], v[38:39], v[26:27]
	v_fmac_f64_e32 v[28:29], v[28:29], v[50:51]
	v_fmac_f64_e32 v[38:39], v[52:53], v[28:29]
	v_fma_f64 v[50:51], -v[38:39], v[38:39], v[26:27]
	v_fmac_f64_e32 v[38:39], v[50:51], v[28:29]
	v_mov_b32_e32 v28, 0xffffff80
	v_cndmask_b32_e32 v28, 0, v28, vcc
	v_ldexp_f64 v[28:29], v[38:39], v28
	v_mov_b32_e32 v38, 0x260
	v_cmp_class_f64_e32 vcc, v[26:27], v38
	s_nop 1
	v_cndmask_b32_e32 v27, v29, v27, vcc
	v_cndmask_b32_e32 v26, v28, v26, vcc
	v_div_scale_f64 v[28:29], s[0:1], v[26:27], v[26:27], v[36:37]
	v_rcp_f64_e32 v[38:39], v[28:29]
	s_nop 0
	v_fma_f64 v[50:51], -v[28:29], v[38:39], 1.0
	v_fmac_f64_e32 v[38:39], v[38:39], v[50:51]
	v_fma_f64 v[50:51], -v[28:29], v[38:39], 1.0
	v_fmac_f64_e32 v[38:39], v[38:39], v[50:51]
	v_div_scale_f64 v[50:51], vcc, v[36:37], v[26:27], v[36:37]
	v_mul_f64 v[52:53], v[50:51], v[38:39]
	v_fma_f64 v[28:29], -v[28:29], v[52:53], v[50:51]
	s_nop 1
	v_div_fmas_f64 v[28:29], v[28:29], v[38:39], v[52:53]
	v_div_fixup_f64 v[36:37], v[28:29], v[26:27], v[36:37]
.LBB1_200:
	s_or_b64 exec, exec, s[4:5]
	s_mov_b32 s0, 0
	s_mov_b32 s1, 0x40140000
	v_cmp_ge_f64_e32 vcc, s[0:1], v[18:19]
                                        ; implicit-def: $vgpr26_vgpr27
	s_and_saveexec_b64 s[0:1], vcc
	s_xor_b64 s[0:1], exec, s[0:1]
	s_cbranch_execz .LBB1_210
; %bb.201:
	v_mov_b32_e32 v26, 0
	v_cmp_neq_f64_e32 vcc, 0, v[18:19]
	v_mov_b32_e32 v27, 0xfff00000
	s_and_saveexec_b64 s[4:5], vcc
	s_cbranch_execz .LBB1_209
; %bb.202:
	v_mov_b32_e32 v26, 0
	v_cmp_ngt_f64_e32 vcc, 0, v[18:19]
	v_mov_b32_e32 v27, 0x7ff80000
	s_and_saveexec_b64 s[6:7], vcc
	s_cbranch_execz .LBB1_208
; %bb.203:
	s_mov_b32 s8, 0x88e368f1
	v_mul_f64 v[26:27], v[18:19], v[18:19]
	s_mov_b32 s9, 0x3ee4f8b5
	v_mul_f64 v[38:39], v[26:27], 0
	v_cmp_ngt_f64_e32 vcc, s[8:9], v[18:19]
                                        ; implicit-def: $vgpr28_vgpr29
	s_and_saveexec_b64 s[8:9], vcc
	s_xor_b64 s[8:9], exec, s[8:9]
	s_cbranch_execz .LBB1_205
; %bb.204:
	s_mov_b32 s10, 0xad1c8325
	s_mov_b32 s11, 0xc1f1dc53
	v_add_f64 v[28:29], v[38:39], s[10:11]
	v_mov_b32_e32 v50, 0xc772990d
	v_mov_b32_e32 v51, 0x427c7751
	s_mov_b32 s10, 0xa696b78c
	v_fmac_f64_e32 v[50:51], v[26:27], v[28:29]
	v_mov_b32_e32 v28, 0xe0d900f7
	v_mov_b32_e32 v29, 0xc2ec5614
	s_mov_b32 s11, 0x407f3902
	v_fmac_f64_e32 v[28:29], v[26:27], v[50:51]
	v_add_f64 v[50:51], v[38:39], s[10:11]
	v_mov_b32_e32 v52, 0x36a21a67
	v_mov_b32_e32 v53, 0x410536cb
	v_fmac_f64_e32 v[52:53], v[26:27], v[50:51]
	v_mov_b32_e32 v50, 0x2eac0634
	v_mov_b32_e32 v51, 0x41871934
	v_fmac_f64_e32 v[50:51], v[26:27], v[52:53]
	;; [unrolled: 3-line block ×6, first 2 shown]
	v_mov_b32_e32 v52, 0xc7b662cc
	v_mov_b32_e32 v53, 0x43b7be34
	s_mov_b32 s10, 0x80462bbb
	v_fmac_f64_e32 v[52:53], v[26:27], v[50:51]
	v_mov_b32_e32 v50, 0x69ff5fb4
	v_mov_b32_e32 v51, 0x43413ef8
	s_mov_b32 s11, 0xc01721fb
	v_fmac_f64_e32 v[50:51], v[26:27], v[28:29]
	v_add_f64 v[28:29], v[26:27], s[10:11]
	s_mov_b32 s10, 0xa621dd6f
	s_mov_b32 s11, 0xc03e78a4
	v_add_f64 v[54:55], v[26:27], s[10:11]
	v_mul_f64 v[28:29], v[28:29], v[54:55]
	v_mul_f64 v[28:29], v[28:29], v[50:51]
	v_div_scale_f64 v[50:51], s[10:11], v[52:53], v[52:53], v[28:29]
	v_rcp_f64_e32 v[54:55], v[50:51]
	s_nop 0
	v_fma_f64 v[64:65], -v[50:51], v[54:55], 1.0
	v_fmac_f64_e32 v[54:55], v[54:55], v[64:65]
	v_fma_f64 v[64:65], -v[50:51], v[54:55], 1.0
	v_fmac_f64_e32 v[54:55], v[54:55], v[64:65]
	v_div_scale_f64 v[64:65], vcc, v[28:29], v[52:53], v[28:29]
	v_mul_f64 v[66:67], v[64:65], v[54:55]
	v_fma_f64 v[50:51], -v[50:51], v[66:67], v[64:65]
	s_nop 1
	v_div_fmas_f64 v[50:51], v[50:51], v[54:55], v[66:67]
	v_div_fixup_f64 v[28:29], v[50:51], v[52:53], v[28:29]
.LBB1_205:
	s_andn2_saveexec_b64 s[8:9], s[8:9]
; %bb.206:
	s_mov_b32 s10, 0
	s_mov_b32 s11, 0xbfd00000
	v_fma_f64 v[28:29], v[26:27], s[10:11], 1.0
; %bb.207:
	s_or_b64 exec, exec, s[8:9]
	s_mov_b32 s8, 0xe896898f
	s_mov_b32 s9, 0x40ce7437
	v_add_f64 v[50:51], v[38:39], s[8:9]
	v_mov_b32_e32 v52, 0x32e48896
	v_mov_b32_e32 v53, 0xc16bf81f
	v_fmac_f64_e32 v[52:53], v[26:27], v[50:51]
	v_mov_b32_e32 v50, 0xf0284cdd
	v_mov_b32_e32 v51, 0x41f43f78
	v_fmac_f64_e32 v[50:51], v[26:27], v[52:53]
	;; [unrolled: 3-line block ×4, first 2 shown]
	v_mov_b32_e32 v52, 0xd1d8cc02
	v_mov_b32_e32 v53, 0xc328a121
	s_mov_b32 s8, 0x576dfcb6
	v_fmac_f64_e32 v[52:53], v[26:27], v[50:51]
	v_mov_b32_e32 v50, 0x660b4003
	v_mov_b32_e32 v51, 0x4363a94b
	s_mov_b32 s9, 0x40904522
	v_fmac_f64_e32 v[50:51], v[26:27], v[52:53]
	v_add_f64 v[38:39], v[38:39], s[8:9]
	v_mov_b32_e32 v52, 0xa907bc0c
	v_mov_b32_e32 v53, 0x41231b76
	v_fmac_f64_e32 v[52:53], v[26:27], v[38:39]
	v_mov_b32_e32 v38, 0x5164d101
	v_mov_b32_e32 v39, 0x41b00763
	v_fmac_f64_e32 v[38:39], v[26:27], v[52:53]
	;; [unrolled: 3-line block ×7, first 2 shown]
	v_div_scale_f64 v[26:27], s[8:9], v[38:39], v[38:39], v[52:53]
	v_rcp_f64_e32 v[50:51], v[26:27]
	s_mov_b32 s8, 0x55555555
	s_mov_b32 s9, 0x3fe55555
	v_frexp_exp_i32_f64_e32 v49, v[18:19]
	v_fma_f64 v[54:55], -v[26:27], v[50:51], 1.0
	v_fmac_f64_e32 v[50:51], v[50:51], v[54:55]
	v_fma_f64 v[54:55], -v[26:27], v[50:51], 1.0
	v_fmac_f64_e32 v[50:51], v[50:51], v[54:55]
	v_div_scale_f64 v[54:55], vcc, v[52:53], v[38:39], v[52:53]
	v_mul_f64 v[64:65], v[54:55], v[50:51]
	v_fma_f64 v[26:27], -v[26:27], v[64:65], v[54:55]
	s_nop 1
	v_div_fmas_f64 v[26:27], v[26:27], v[50:51], v[64:65]
	v_div_fixup_f64 v[26:27], v[26:27], v[38:39], v[52:53]
	v_frexp_mant_f64_e32 v[38:39], v[18:19]
	v_mov_b32_e32 v50, 0x3ff00000
	v_cmp_gt_f64_e32 vcc, s[8:9], v[38:39]
	s_mov_b32 s8, 0xbf559e2b
	s_mov_b32 s9, 0x3fc3ab76
	v_cndmask_b32_e64 v51, v50, 2.0, vcc
	v_mov_b32_e32 v50, 0
	v_mul_f64 v[38:39], v[38:39], v[50:51]
	v_add_f64 v[50:51], v[38:39], 1.0
	v_rcp_f64_e32 v[52:53], v[50:51]
	v_add_f64 v[64:65], v[50:51], -1.0
	v_add_f64 v[54:55], v[38:39], -1.0
	v_add_f64 v[38:39], v[38:39], -v[64:65]
	v_fma_f64 v[64:65], -v[50:51], v[52:53], 1.0
	v_fmac_f64_e32 v[52:53], v[64:65], v[52:53]
	v_fma_f64 v[64:65], -v[50:51], v[52:53], 1.0
	v_fmac_f64_e32 v[52:53], v[64:65], v[52:53]
	v_mul_f64 v[64:65], v[54:55], v[52:53]
	v_mul_f64 v[66:67], v[50:51], v[64:65]
	v_fma_f64 v[50:51], v[64:65], v[50:51], -v[66:67]
	v_fmac_f64_e32 v[50:51], v[64:65], v[38:39]
	v_add_f64 v[38:39], v[66:67], v[50:51]
	v_add_f64 v[68:69], v[54:55], -v[38:39]
	v_add_f64 v[66:67], v[38:39], -v[66:67]
	;; [unrolled: 1-line block ×5, first 2 shown]
	v_add_f64 v[38:39], v[50:51], v[38:39]
	v_add_f64 v[38:39], v[68:69], v[38:39]
	v_mul_f64 v[38:39], v[52:53], v[38:39]
	v_add_f64 v[50:51], v[64:65], v[38:39]
	v_add_f64 v[52:53], v[50:51], -v[64:65]
	v_add_f64 v[38:39], v[38:39], -v[52:53]
	v_mul_f64 v[52:53], v[50:51], v[50:51]
	v_mov_b32_e32 v54, 0x6b47b09a
	v_mov_b32_e32 v55, 0x3fc38538
	v_fmac_f64_e32 v[54:55], s[8:9], v[52:53]
	v_mov_b32_e32 v64, 0xd7f4df2e
	v_mov_b32_e32 v65, 0x3fc7474d
	v_fmac_f64_e32 v[64:65], v[52:53], v[54:55]
	;; [unrolled: 3-line block ×6, first 2 shown]
	v_ldexp_f64 v[54:55], v[50:51], 1
	v_mul_f64 v[50:51], v[50:51], v[52:53]
	v_mul_f64 v[50:51], v[50:51], v[64:65]
	v_add_f64 v[52:53], v[54:55], v[50:51]
	v_add_f64 v[54:55], v[52:53], -v[54:55]
	v_ldexp_f64 v[38:39], v[38:39], 1
	v_add_f64 v[50:51], v[50:51], -v[54:55]
	v_add_f64 v[38:39], v[38:39], v[50:51]
	v_add_f64 v[50:51], v[52:53], v[38:39]
	v_subbrev_co_u32_e32 v49, vcc, 0, v49, vcc
	v_add_f64 v[52:53], v[50:51], -v[52:53]
	s_mov_b32 s8, 0xfefa39ef
	v_add_f64 v[38:39], v[38:39], -v[52:53]
	v_cvt_f64_i32_e32 v[52:53], v49
	s_mov_b32 s9, 0x3fe62e42
	v_mul_f64 v[54:55], v[52:53], s[8:9]
	v_fma_f64 v[64:65], v[52:53], s[8:9], -v[54:55]
	s_mov_b32 s8, 0x3b39803f
	s_mov_b32 s9, 0x3c7abc9e
	v_fmac_f64_e32 v[64:65], s[8:9], v[52:53]
	v_add_f64 v[52:53], v[54:55], v[64:65]
	v_add_f64 v[54:55], v[52:53], -v[54:55]
	v_add_f64 v[54:55], v[64:65], -v[54:55]
	v_add_f64 v[64:65], v[52:53], v[50:51]
	v_add_f64 v[66:67], v[64:65], -v[52:53]
	v_add_f64 v[68:69], v[64:65], -v[66:67]
	v_add_f64 v[52:53], v[52:53], -v[68:69]
	v_add_f64 v[50:51], v[50:51], -v[66:67]
	v_add_f64 v[50:51], v[50:51], v[52:53]
	v_add_f64 v[52:53], v[54:55], v[38:39]
	v_add_f64 v[66:67], v[52:53], -v[54:55]
	v_add_f64 v[68:69], v[52:53], -v[66:67]
	v_add_f64 v[50:51], v[52:53], v[50:51]
	v_add_f64 v[54:55], v[54:55], -v[68:69]
	v_add_f64 v[38:39], v[38:39], -v[66:67]
	v_add_f64 v[52:53], v[64:65], v[50:51]
	v_add_f64 v[38:39], v[38:39], v[54:55]
	v_add_f64 v[54:55], v[52:53], -v[64:65]
	v_add_f64 v[50:51], v[50:51], -v[54:55]
	v_add_f64 v[38:39], v[38:39], v[50:51]
	s_mov_b32 s8, 0x6dc9c883
	v_add_f64 v[38:39], v[52:53], v[38:39]
	s_mov_b32 s9, 0x3fe45f30
	v_mul_f64 v[38:39], v[38:39], s[8:9]
	v_fmac_f64_e32 v[26:27], v[38:39], v[28:29]
.LBB1_208:
	s_or_b64 exec, exec, s[6:7]
.LBB1_209:
	s_or_b64 exec, exec, s[4:5]
.LBB1_210:
	s_andn2_saveexec_b64 s[4:5], s[0:1]
	s_cbranch_execz .LBB1_220
; %bb.211:
	s_mov_b32 s9, 0xbfe921fb
	s_mov_b32 s8, 0x54442d18
	;; [unrolled: 1-line block ×3, first 2 shown]
	v_add_f64 v[26:27], v[18:19], s[8:9]
	s_mov_b32 s1, 0x41d00000
	v_cmp_nlt_f64_e64 s[6:7], |v[26:27]|, s[0:1]
	v_trig_preop_f64 v[66:67], |v[26:27]|, 0
	v_trig_preop_f64 v[64:65], |v[26:27]|, 1
	;; [unrolled: 1-line block ×3, first 2 shown]
                                        ; implicit-def: $vgpr49
                                        ; implicit-def: $vgpr28_vgpr29
                                        ; implicit-def: $vgpr38_vgpr39
	s_and_saveexec_b64 s[0:1], s[6:7]
	s_xor_b64 s[10:11], exec, s[0:1]
	s_cbranch_execz .LBB1_213
; %bb.212:
	s_mov_b32 s0, 0
	s_mov_b32 s1, 0x7b000000
	s_movk_i32 s9, 0xff80
	v_and_b32_e32 v38, 0x7fffffff, v27
	v_ldexp_f64 v[28:29], |v[26:27]|, s9
	v_cmp_ge_f64_e64 vcc, |v[26:27]|, s[0:1]
	s_mov_b32 s0, 0
	s_mov_b32 s1, 0x7ff00000
	v_cndmask_b32_e32 v29, v38, v29, vcc
	v_cndmask_b32_e32 v28, v26, v28, vcc
	v_mul_f64 v[50:51], v[66:67], v[28:29]
	v_mul_f64 v[38:39], v[64:65], v[28:29]
	v_fma_f64 v[52:53], v[66:67], v[28:29], -v[50:51]
	v_add_f64 v[68:69], v[38:39], v[52:53]
	v_add_f64 v[70:71], v[50:51], v[68:69]
	v_ldexp_f64 v[80:81], v[70:71], -2
	v_fract_f64_e32 v[82:83], v[80:81]
	v_cmp_neq_f64_e64 vcc, |v[80:81]|, s[0:1]
	v_add_f64 v[50:51], v[70:71], -v[50:51]
	v_add_f64 v[50:51], v[68:69], -v[50:51]
	v_cndmask_b32_e32 v81, 0, v83, vcc
	v_cndmask_b32_e32 v80, 0, v82, vcc
	v_add_f64 v[82:83], v[68:69], -v[38:39]
	v_add_f64 v[52:53], v[52:53], -v[82:83]
	;; [unrolled: 1-line block ×4, first 2 shown]
	v_add_f64 v[52:53], v[52:53], v[82:83]
	v_fma_f64 v[38:39], v[64:65], v[28:29], -v[38:39]
	v_mul_f64 v[82:83], v[54:55], v[28:29]
	v_add_f64 v[86:87], v[82:83], v[38:39]
	v_add_f64 v[96:97], v[86:87], v[52:53]
	v_add_f64 v[70:71], v[96:97], -v[86:87]
	v_add_f64 v[52:53], v[52:53], -v[70:71]
	;; [unrolled: 1-line block ×4, first 2 shown]
	v_add_f64 v[52:53], v[52:53], v[70:71]
	v_add_f64 v[70:71], v[86:87], -v[82:83]
	v_add_f64 v[38:39], v[38:39], -v[70:71]
	;; [unrolled: 1-line block ×4, first 2 shown]
	v_add_f64 v[68:69], v[50:51], v[96:97]
	v_add_f64 v[38:39], v[38:39], v[70:71]
	v_add_f64 v[50:51], v[68:69], -v[50:51]
	v_add_f64 v[38:39], v[38:39], v[52:53]
	v_fma_f64 v[28:29], v[54:55], v[28:29], -v[82:83]
	v_add_f64 v[50:51], v[96:97], -v[50:51]
	v_add_f64 v[28:29], v[28:29], v[38:39]
	v_ldexp_f64 v[38:39], v[80:81], 2
	v_add_f64 v[28:29], v[50:51], v[28:29]
	v_add_f64 v[50:51], v[68:69], v[38:39]
	v_mov_b32_e32 v49, 0x40100000
	v_cmp_gt_f64_e32 vcc, 0, v[50:51]
	v_mov_b32_e32 v84, 0
	s_mov_b32 s9, 0x3ff921fb
	v_cndmask_b32_e32 v85, 0, v49, vcc
	v_add_f64 v[38:39], v[38:39], v[84:85]
	v_add_f64 v[50:51], v[68:69], v[38:39]
	v_cvt_i32_f64_e32 v49, v[50:51]
	v_cvt_f64_i32_e32 v[50:51], v49
	v_add_f64 v[38:39], v[38:39], -v[50:51]
	v_add_f64 v[50:51], v[68:69], v[38:39]
	v_add_f64 v[38:39], v[50:51], -v[38:39]
	v_add_f64 v[38:39], v[68:69], -v[38:39]
	v_add_f64 v[28:29], v[28:29], v[38:39]
	v_cmp_le_f64_e32 vcc, 0.5, v[50:51]
	v_mov_b32_e32 v38, 0x3ff00000
	s_nop 0
	v_cndmask_b32_e32 v85, 0, v38, vcc
	v_add_f64 v[38:39], v[50:51], -v[84:85]
	v_add_f64 v[50:51], v[38:39], v[28:29]
	v_addc_co_u32_e64 v49, s[0:1], 0, v49, vcc
	v_add_f64 v[38:39], v[50:51], -v[38:39]
	v_add_f64 v[28:29], v[28:29], -v[38:39]
	v_mul_f64 v[38:39], v[50:51], s[8:9]
	s_mov_b32 s0, 0x33145c07
	v_fma_f64 v[52:53], v[50:51], s[8:9], -v[38:39]
	s_mov_b32 s1, 0x3c91a626
	v_fmac_f64_e32 v[52:53], s[0:1], v[50:51]
	v_fmac_f64_e32 v[52:53], s[8:9], v[28:29]
	v_add_f64 v[28:29], v[38:39], v[52:53]
	v_add_f64 v[38:39], v[28:29], -v[38:39]
	v_add_f64 v[38:39], v[52:53], -v[38:39]
	s_andn2_saveexec_b64 s[0:1], s[10:11]
	s_cbranch_execz .LBB1_215
	s_branch .LBB1_214
.LBB1_213:
	s_andn2_saveexec_b64 s[0:1], s[10:11]
	s_cbranch_execz .LBB1_215
.LBB1_214:
	s_mov_b32 s8, 0x6dc9c883
	s_mov_b32 s9, 0x3fe45f30
	v_mul_f64 v[28:29], |v[26:27]|, s[8:9]
	s_mov_b32 s8, 0x54442d18
	v_rndne_f64_e32 v[50:51], v[28:29]
	s_mov_b32 s9, 0xbff921fb
	v_fma_f64 v[28:29], v[50:51], s[8:9], |v[26:27]|
	s_mov_b32 s9, 0xbc91a626
	s_mov_b32 s8, 0x33145c00
	v_mul_f64 v[52:53], v[50:51], s[8:9]
	v_add_f64 v[70:71], v[28:29], v[52:53]
	v_fma_f64 v[38:39], s[8:9], v[50:51], v[28:29]
	s_mov_b32 s9, 0x3c91a626
	v_add_f64 v[28:29], v[28:29], -v[70:71]
	v_fma_f64 v[68:69], s[8:9], v[50:51], v[52:53]
	v_add_f64 v[28:29], v[28:29], v[52:53]
	v_add_f64 v[52:53], v[70:71], -v[38:39]
	v_add_f64 v[28:29], v[52:53], v[28:29]
	s_mov_b32 s8, 0x252049c0
	v_add_f64 v[52:53], v[28:29], -v[68:69]
	s_mov_b32 s9, 0xb97b839a
	v_fmac_f64_e32 v[52:53], s[8:9], v[50:51]
	v_add_f64 v[28:29], v[38:39], v[52:53]
	v_add_f64 v[38:39], v[28:29], -v[38:39]
	v_add_f64 v[38:39], v[52:53], -v[38:39]
	v_cvt_i32_f64_e32 v49, v[50:51]
.LBB1_215:
	s_or_b64 exec, exec, s[0:1]
                                        ; implicit-def: $vgpr68
                                        ; implicit-def: $vgpr50_vgpr51
                                        ; implicit-def: $vgpr52_vgpr53
	s_and_saveexec_b64 s[0:1], s[6:7]
	s_xor_b64 s[6:7], exec, s[0:1]
	s_cbranch_execz .LBB1_217
; %bb.216:
	s_mov_b32 s0, 0
	s_mov_b32 s1, 0x7b000000
	s_movk_i32 s8, 0xff80
	v_and_b32_e32 v52, 0x7fffffff, v27
	v_ldexp_f64 v[50:51], |v[26:27]|, s8
	v_cmp_ge_f64_e64 vcc, |v[26:27]|, s[0:1]
	s_mov_b32 s0, 0
	s_mov_b32 s1, 0x7ff00000
	v_cndmask_b32_e32 v51, v52, v51, vcc
	v_cndmask_b32_e32 v50, v26, v50, vcc
	v_mul_f64 v[68:69], v[66:67], v[50:51]
	v_mul_f64 v[52:53], v[64:65], v[50:51]
	v_fma_f64 v[66:67], v[66:67], v[50:51], -v[68:69]
	v_add_f64 v[70:71], v[52:53], v[66:67]
	v_add_f64 v[80:81], v[68:69], v[70:71]
	v_ldexp_f64 v[82:83], v[80:81], -2
	v_fract_f64_e32 v[84:85], v[82:83]
	v_cmp_neq_f64_e64 vcc, |v[82:83]|, s[0:1]
	v_add_f64 v[68:69], v[80:81], -v[68:69]
	v_add_f64 v[68:69], v[70:71], -v[68:69]
	v_cndmask_b32_e32 v83, 0, v85, vcc
	v_cndmask_b32_e32 v82, 0, v84, vcc
	v_add_f64 v[84:85], v[70:71], -v[52:53]
	v_add_f64 v[66:67], v[66:67], -v[84:85]
	;; [unrolled: 1-line block ×4, first 2 shown]
	v_fma_f64 v[52:53], v[64:65], v[50:51], -v[52:53]
	v_mul_f64 v[64:65], v[54:55], v[50:51]
	v_add_f64 v[66:67], v[66:67], v[84:85]
	v_add_f64 v[84:85], v[64:65], v[52:53]
	;; [unrolled: 1-line block ×3, first 2 shown]
	v_add_f64 v[80:81], v[96:97], -v[84:85]
	v_add_f64 v[66:67], v[66:67], -v[80:81]
	;; [unrolled: 1-line block ×4, first 2 shown]
	v_add_f64 v[66:67], v[66:67], v[80:81]
	v_add_f64 v[80:81], v[84:85], -v[64:65]
	v_add_f64 v[52:53], v[52:53], -v[80:81]
	;; [unrolled: 1-line block ×4, first 2 shown]
	v_add_f64 v[52:53], v[52:53], v[80:81]
	v_add_f64 v[52:53], v[52:53], v[66:67]
	v_fma_f64 v[50:51], v[54:55], v[50:51], -v[64:65]
	v_add_f64 v[70:71], v[68:69], v[96:97]
	v_add_f64 v[50:51], v[50:51], v[52:53]
	v_ldexp_f64 v[52:53], v[82:83], 2
	v_add_f64 v[54:55], v[70:71], v[52:53]
	v_mov_b32_e32 v64, 0x40100000
	v_cmp_gt_f64_e32 vcc, 0, v[54:55]
	v_mov_b32_e32 v86, 0
	v_add_f64 v[68:69], v[70:71], -v[68:69]
	v_cndmask_b32_e32 v87, 0, v64, vcc
	v_add_f64 v[52:53], v[52:53], v[86:87]
	v_add_f64 v[54:55], v[70:71], v[52:53]
	v_cvt_i32_f64_e32 v64, v[54:55]
	v_cvt_f64_i32_e32 v[54:55], v64
	v_add_f64 v[52:53], v[52:53], -v[54:55]
	v_add_f64 v[54:55], v[70:71], v[52:53]
	v_add_f64 v[68:69], v[96:97], -v[68:69]
	v_add_f64 v[52:53], v[54:55], -v[52:53]
	v_add_f64 v[50:51], v[68:69], v[50:51]
	v_add_f64 v[52:53], v[70:71], -v[52:53]
	v_add_f64 v[50:51], v[50:51], v[52:53]
	v_cmp_le_f64_e32 vcc, 0.5, v[54:55]
	v_mov_b32_e32 v52, 0x3ff00000
	s_mov_b32 s8, 0x33145c07
	v_cndmask_b32_e32 v87, 0, v52, vcc
	v_addc_co_u32_e64 v68, s[0:1], 0, v64, vcc
	v_add_f64 v[52:53], v[54:55], -v[86:87]
	v_add_f64 v[54:55], v[52:53], v[50:51]
	s_mov_b32 s0, 0x54442d18
	v_add_f64 v[52:53], v[54:55], -v[52:53]
	s_mov_b32 s1, 0x3ff921fb
	v_add_f64 v[50:51], v[50:51], -v[52:53]
	v_mul_f64 v[52:53], v[54:55], s[0:1]
	v_fma_f64 v[64:65], v[54:55], s[0:1], -v[52:53]
	s_mov_b32 s9, 0x3c91a626
	v_fmac_f64_e32 v[64:65], s[8:9], v[54:55]
	v_fmac_f64_e32 v[64:65], s[0:1], v[50:51]
	v_add_f64 v[50:51], v[52:53], v[64:65]
	v_add_f64 v[52:53], v[50:51], -v[52:53]
	v_add_f64 v[52:53], v[64:65], -v[52:53]
	s_andn2_saveexec_b64 s[0:1], s[6:7]
	s_cbranch_execnz .LBB1_218
	s_branch .LBB1_219
.LBB1_217:
	s_andn2_saveexec_b64 s[0:1], s[6:7]
	s_cbranch_execz .LBB1_219
.LBB1_218:
	s_mov_b32 s6, 0x6dc9c883
	s_mov_b32 s7, 0x3fe45f30
	v_mul_f64 v[50:51], |v[26:27]|, s[6:7]
	s_mov_b32 s6, 0x54442d18
	v_rndne_f64_e32 v[54:55], v[50:51]
	s_mov_b32 s7, 0xbff921fb
	v_fma_f64 v[50:51], v[54:55], s[6:7], |v[26:27]|
	s_mov_b32 s7, 0xbc91a626
	s_mov_b32 s6, 0x33145c00
	v_mul_f64 v[64:65], v[54:55], s[6:7]
	v_add_f64 v[68:69], v[50:51], v[64:65]
	v_fma_f64 v[52:53], s[6:7], v[54:55], v[50:51]
	s_mov_b32 s7, 0x3c91a626
	v_add_f64 v[50:51], v[50:51], -v[68:69]
	v_fma_f64 v[66:67], s[6:7], v[54:55], v[64:65]
	v_add_f64 v[50:51], v[50:51], v[64:65]
	v_add_f64 v[64:65], v[68:69], -v[52:53]
	v_add_f64 v[50:51], v[64:65], v[50:51]
	s_mov_b32 s6, 0x252049c0
	v_add_f64 v[64:65], v[50:51], -v[66:67]
	s_mov_b32 s7, 0xb97b839a
	v_fmac_f64_e32 v[64:65], s[6:7], v[54:55]
	v_add_f64 v[50:51], v[52:53], v[64:65]
	v_add_f64 v[52:53], v[50:51], -v[52:53]
	v_add_f64 v[52:53], v[64:65], -v[52:53]
	v_cvt_i32_f64_e32 v68, v[54:55]
.LBB1_219:
	s_or_b64 exec, exec, s[0:1]
	s_mov_b32 s0, 0
	v_mul_f64 v[54:55], v[18:19], v[18:19]
	s_mov_b32 s1, 0x40390000
	v_div_scale_f64 v[64:65], s[6:7], v[54:55], v[54:55], s[0:1]
	v_rcp_f64_e32 v[66:67], v[64:65]
	v_mov_b32_e32 v82, 0xb1759c7f
	v_mov_b32_e32 v83, 0x408ac370
	;; [unrolled: 1-line block ×3, first 2 shown]
	v_fma_f64 v[70:71], -v[64:65], v[66:67], 1.0
	v_fmac_f64_e32 v[66:67], v[66:67], v[70:71]
	v_fma_f64 v[70:71], -v[64:65], v[66:67], 1.0
	v_fmac_f64_e32 v[66:67], v[66:67], v[70:71]
	v_div_scale_f64 v[70:71], vcc, s[0:1], v[54:55], s[0:1]
	v_mul_f64 v[80:81], v[70:71], v[66:67]
	v_fma_f64 v[64:65], -v[64:65], v[80:81], v[70:71]
	v_mov_b32_e32 v70, 0xab5454e3
	s_nop 0
	v_div_fmas_f64 v[64:65], v[64:65], v[66:67], v[80:81]
	v_div_fixup_f64 v[54:55], v[64:65], v[54:55], s[0:1]
	v_mov_b32_e32 v64, 0x983b6b27
	v_mov_b32_e32 v65, 0x3f4a1d30
	v_fmac_f64_e32 v[64:65], 0, v[54:55]
	v_mov_b32_e32 v66, 0xb35dd1cf
	v_mov_b32_e32 v67, 0x3fb534b0
	v_fmac_f64_e32 v[66:67], v[54:55], v[64:65]
	;; [unrolled: 3-line block ×7, first 2 shown]
	v_mov_b32_e32 v71, 0x3fb5ebc5
	v_fmac_f64_e32 v[70:71], v[54:55], v[64:65]
	v_mov_b32_e32 v64, 0xc9b3069f
	v_mov_b32_e32 v65, 0x3ff40e72
	v_fmac_f64_e32 v[64:65], v[54:55], v[70:71]
	v_mov_b32_e32 v70, 0xe68162bb
	;; [unrolled: 3-line block ×4, first 2 shown]
	v_mov_b32_e32 v71, 0x40153965
	v_fmac_f64_e32 v[70:71], v[54:55], v[64:65]
	v_fma_f64 v[64:65], v[54:55], v[70:71], 1.0
	v_mov_b32_e32 v70, 0x38a5384a
	v_mov_b32_e32 v71, 0xbf874742
	v_fmac_f64_e32 v[70:71], 0, v[54:55]
	v_mov_b32_e32 v80, 0x3a321174
	v_mov_b32_e32 v81, 0xbff4853b
	v_fmac_f64_e32 v[80:81], v[54:55], v[70:71]
	;; [unrolled: 3-line block ×9, first 2 shown]
	v_fmac_f64_e32 v[82:83], v[54:55], v[70:71]
	v_mov_b32_e32 v70, 0xbd748cb5
	v_mov_b32_e32 v71, 0x40ae54cd
	v_fmac_f64_e32 v[70:71], v[54:55], v[82:83]
	v_mov_b32_e32 v82, 0xbdefd63e
	v_mov_b32_e32 v83, 0x40bc4877
	;; [unrolled: 3-line block ×4, first 2 shown]
	v_fma_f64 v[66:67], v[54:55], v[66:67], 1.0
	v_fmac_f64_e32 v[82:83], v[54:55], v[70:71]
	v_div_scale_f64 v[70:71], s[0:1], v[64:65], v[64:65], v[66:67]
	v_rcp_f64_e32 v[84:85], v[70:71]
	v_mov_b32_e32 v87, 0x406e402f
	v_fmac_f64_e32 v[86:87], v[54:55], v[82:83]
	s_mov_b32 s0, 0x9037ab78
	v_fma_f64 v[54:55], -v[70:71], v[84:85], 1.0
	v_fmac_f64_e32 v[84:85], v[84:85], v[54:55]
	v_fma_f64 v[54:55], -v[70:71], v[84:85], 1.0
	v_fmac_f64_e32 v[84:85], v[84:85], v[54:55]
	v_div_scale_f64 v[54:55], vcc, v[66:67], v[64:65], v[66:67]
	v_mul_f64 v[82:83], v[54:55], v[84:85]
	v_fma_f64 v[54:55], -v[70:71], v[82:83], v[54:55]
	s_mov_b32 s1, 0x3e21eeb6
	s_nop 0
	v_div_fmas_f64 v[54:55], v[54:55], v[84:85], v[82:83]
	s_mov_b32 s6, 0x46cc5e42
	v_div_fixup_f64 v[54:55], v[54:55], v[64:65], v[66:67]
	v_mul_f64 v[64:65], v[28:29], v[28:29]
	s_mov_b32 s7, 0xbda907db
	v_mov_b64_e32 v[84:85], s[0:1]
	s_mov_b32 s8, 0xa17f65f6
	v_mul_f64 v[66:67], v[64:65], 0.5
	v_fma_f64 v[96:97], s[6:7], v[64:65], v[84:85]
	s_mov_b32 s9, 0xbe927e4f
	s_mov_b32 s10, 0x19f4ec90
	v_add_f64 v[70:71], -v[66:67], 1.0
	v_fma_f64 v[96:97], v[64:65], v[96:97], s[8:9]
	s_mov_b32 s11, 0x3efa01a0
	s_mov_b32 s12, 0x16c16967
	v_add_f64 v[82:83], -v[70:71], 1.0
	v_fma_f64 v[96:97], v[64:65], v[96:97], s[10:11]
	s_mov_b32 s13, 0xbf56c16c
	s_mov_b32 s14, 0x55555555
	v_add_f64 v[66:67], v[82:83], -v[66:67]
	v_fma_f64 v[96:97], v[64:65], v[96:97], s[12:13]
	s_mov_b32 s15, 0x3fa55555
	v_mul_f64 v[82:83], v[64:65], v[64:65]
	v_fma_f64 v[96:97], v[64:65], v[96:97], s[14:15]
	v_fma_f64 v[66:67], v[28:29], -v[38:39], v[66:67]
	s_mov_b32 s0, 0xb42fdfa7
	v_fmac_f64_e32 v[66:67], v[82:83], v[96:97]
	s_mov_b32 s1, 0xbe5ae600
	s_mov_b32 s16, 0xf9a43bb8
	v_add_f64 v[66:67], v[70:71], v[66:67]
	s_mov_b32 s17, 0x3de5e0b2
	v_mov_b64_e32 v[70:71], s[0:1]
	s_mov_b32 s18, 0x796cde01
	v_fma_f64 v[82:83], s[16:17], v[64:65], v[70:71]
	s_mov_b32 s19, 0x3ec71de3
	s_mov_b32 s20, 0x19e83e5c
	v_fma_f64 v[82:83], v[64:65], v[82:83], s[18:19]
	s_mov_b32 s21, 0xbf2a01a0
	;; [unrolled: 3-line block ×3, first 2 shown]
	v_fma_f64 v[82:83], v[64:65], v[82:83], s[22:23]
	v_mul_f64 v[96:97], v[28:29], -v[64:65]
	v_mul_f64 v[98:99], v[38:39], 0.5
	v_fmac_f64_e32 v[98:99], v[96:97], v[82:83]
	v_fma_f64 v[38:39], v[64:65], v[98:99], -v[38:39]
	s_mov_b32 s25, 0xbfc55555
	s_mov_b32 s24, s14
	v_fmac_f64_e32 v[38:39], s[24:25], v[96:97]
	v_add_f64 v[28:29], v[28:29], -v[38:39]
	v_and_b32_e32 v38, 1, v49
	v_cmp_eq_u32_e32 vcc, 0, v38
	s_mov_b32 s26, 0
	s_mov_b32 s27, 0x40140000
	v_cndmask_b32_e32 v64, v66, v28, vcc
	v_cndmask_b32_e32 v28, v67, v29, vcc
	v_lshlrev_b32_e32 v29, 30, v49
	v_xor_b32_e32 v29, v29, v27
	v_and_b32_e32 v29, 0x80000000, v29
	v_xor_b32_e32 v49, v28, v29
	v_div_scale_f64 v[28:29], s[0:1], v[18:19], v[18:19], s[26:27]
	v_rcp_f64_e32 v[38:39], v[28:29]
	s_movk_i32 s28, 0x1f8
	v_cmp_class_f64_e64 s[0:1], v[26:27], s28
	v_mov_b32_e32 v69, 0x7ff80000
	s_nop 0
	v_cndmask_b32_e64 v26, 0, v64, s[0:1]
	v_fma_f64 v[64:65], -v[28:29], v[38:39], 1.0
	v_fmac_f64_e32 v[38:39], v[38:39], v[64:65]
	v_fma_f64 v[64:65], -v[28:29], v[38:39], 1.0
	v_fmac_f64_e32 v[38:39], v[38:39], v[64:65]
	v_div_scale_f64 v[64:65], vcc, s[26:27], v[18:19], s[26:27]
	v_mul_f64 v[66:67], v[64:65], v[38:39]
	v_fma_f64 v[28:29], -v[28:29], v[66:67], v[64:65]
	v_div_scale_f64 v[64:65], s[28:29], v[86:87], v[86:87], v[80:81]
	v_rcp_f64_e32 v[82:83], v[64:65]
	v_div_fmas_f64 v[28:29], v[28:29], v[38:39], v[66:67]
	v_div_fixup_f64 v[28:29], v[28:29], v[18:19], s[26:27]
	v_cndmask_b32_e64 v27, v69, v49, s[0:1]
	v_fma_f64 v[38:39], -v[64:65], v[82:83], 1.0
	v_fmac_f64_e32 v[82:83], v[82:83], v[38:39]
	v_fma_f64 v[38:39], -v[64:65], v[82:83], 1.0
	v_fmac_f64_e32 v[82:83], v[82:83], v[38:39]
	v_div_scale_f64 v[38:39], vcc, v[80:81], v[86:87], v[80:81]
	v_mul_f64 v[66:67], v[38:39], v[82:83]
	v_fma_f64 v[38:39], -v[64:65], v[66:67], v[38:39]
	v_and_b32_e32 v49, 1, v68
	s_nop 0
	v_div_fmas_f64 v[38:39], v[38:39], v[82:83], v[66:67]
	v_div_fixup_f64 v[38:39], v[38:39], v[86:87], v[80:81]
	v_mul_f64 v[28:29], v[28:29], v[38:39]
	v_mul_f64 v[38:39], v[50:51], v[50:51]
	v_mul_f64 v[64:65], v[38:39], 0.5
	v_fmac_f64_e32 v[84:85], s[6:7], v[38:39]
	v_add_f64 v[66:67], -v[64:65], 1.0
	v_fma_f64 v[82:83], v[38:39], v[84:85], s[8:9]
	v_add_f64 v[80:81], -v[66:67], 1.0
	v_fma_f64 v[82:83], v[38:39], v[82:83], s[10:11]
	v_add_f64 v[64:65], v[80:81], -v[64:65]
	v_fma_f64 v[82:83], v[38:39], v[82:83], s[12:13]
	v_mul_f64 v[80:81], v[38:39], v[38:39]
	v_fma_f64 v[82:83], v[38:39], v[82:83], s[14:15]
	v_fma_f64 v[64:65], v[50:51], -v[52:53], v[64:65]
	v_fmac_f64_e32 v[64:65], v[80:81], v[82:83]
	v_fmac_f64_e32 v[70:71], s[16:17], v[38:39]
	v_add_f64 v[64:65], v[66:67], v[64:65]
	v_fma_f64 v[66:67], v[38:39], v[70:71], s[18:19]
	v_fma_f64 v[66:67], v[38:39], v[66:67], s[20:21]
	;; [unrolled: 1-line block ×3, first 2 shown]
	v_mul_f64 v[70:71], v[50:51], -v[38:39]
	v_mul_f64 v[80:81], v[52:53], 0.5
	v_fmac_f64_e32 v[80:81], v[70:71], v[66:67]
	v_fma_f64 v[38:39], v[38:39], v[80:81], -v[52:53]
	v_fmac_f64_e32 v[38:39], s[24:25], v[70:71]
	v_add_f64 v[38:39], v[50:51], -v[38:39]
	v_xor_b32_e32 v39, 0x80000000, v39
	v_cmp_eq_u32_e32 vcc, 0, v49
	v_lshlrev_b32_e32 v49, 30, v68
	v_and_b32_e32 v49, 0x80000000, v49
	v_cndmask_b32_e32 v39, v39, v65, vcc
	v_cndmask_b32_e32 v38, v38, v64, vcc
	v_xor_b32_e32 v39, v39, v49
	v_cndmask_b32_e64 v38, 0, v38, s[0:1]
	v_cndmask_b32_e64 v39, v69, v39, s[0:1]
	s_mov_b32 s0, 0
	s_brev_b32 s1, 8
	v_mul_f64 v[28:29], v[28:29], v[38:39]
	v_cmp_gt_f64_e32 vcc, s[0:1], v[18:19]
	v_fmac_f64_e32 v[28:29], v[54:55], v[26:27]
	s_mov_b32 s0, 0x33d43651
	v_cndmask_b32_e64 v26, 0, 1, vcc
	v_lshlrev_b32_e32 v26, 8, v26
	v_ldexp_f64 v[18:19], v[18:19], v26
	v_rsq_f64_e32 v[26:27], v[18:19]
	s_mov_b32 s1, 0x3fe98845
	v_mul_f64 v[28:29], v[28:29], s[0:1]
	v_mul_f64 v[38:39], v[18:19], v[26:27]
	v_mul_f64 v[26:27], v[26:27], 0.5
	v_fma_f64 v[50:51], -v[26:27], v[38:39], 0.5
	v_fmac_f64_e32 v[38:39], v[38:39], v[50:51]
	v_fma_f64 v[52:53], -v[38:39], v[38:39], v[18:19]
	v_fmac_f64_e32 v[26:27], v[26:27], v[50:51]
	v_fmac_f64_e32 v[38:39], v[52:53], v[26:27]
	v_fma_f64 v[50:51], -v[38:39], v[38:39], v[18:19]
	v_fmac_f64_e32 v[38:39], v[50:51], v[26:27]
	v_mov_b32_e32 v26, 0xffffff80
	v_cndmask_b32_e32 v26, 0, v26, vcc
	v_ldexp_f64 v[26:27], v[38:39], v26
	v_mov_b32_e32 v38, 0x260
	v_cmp_class_f64_e32 vcc, v[18:19], v38
	s_nop 1
	v_cndmask_b32_e32 v19, v27, v19, vcc
	v_cndmask_b32_e32 v18, v26, v18, vcc
	v_div_scale_f64 v[26:27], s[0:1], v[18:19], v[18:19], v[28:29]
	v_rcp_f64_e32 v[38:39], v[26:27]
	s_nop 0
	v_fma_f64 v[50:51], -v[26:27], v[38:39], 1.0
	v_fmac_f64_e32 v[38:39], v[38:39], v[50:51]
	v_fma_f64 v[50:51], -v[26:27], v[38:39], 1.0
	v_fmac_f64_e32 v[38:39], v[38:39], v[50:51]
	v_div_scale_f64 v[50:51], vcc, v[28:29], v[18:19], v[28:29]
	v_mul_f64 v[52:53], v[50:51], v[38:39]
	v_fma_f64 v[26:27], -v[26:27], v[52:53], v[50:51]
	s_nop 1
	v_div_fmas_f64 v[26:27], v[26:27], v[38:39], v[52:53]
	v_div_fixup_f64 v[26:27], v[26:27], v[18:19], v[28:29]
.LBB1_220:
	s_or_b64 exec, exec, s[4:5]
	s_mov_b32 s0, 0
	s_mov_b32 s1, 0x40140000
	v_cmp_ge_f64_e32 vcc, s[0:1], v[20:21]
	s_and_saveexec_b64 s[0:1], vcc
	s_xor_b64 s[0:1], exec, s[0:1]
	s_cbranch_execz .LBB1_230
; %bb.221:
	v_mov_b32_e32 v28, 0
	v_cmp_neq_f64_e32 vcc, 0, v[20:21]
	v_mov_b32_e32 v29, 0xfff00000
	s_and_saveexec_b64 s[4:5], vcc
	s_cbranch_execz .LBB1_229
; %bb.222:
	v_mov_b32_e32 v28, 0
	v_cmp_ngt_f64_e32 vcc, 0, v[20:21]
	v_mov_b32_e32 v29, 0x7ff80000
	s_and_saveexec_b64 s[6:7], vcc
	s_cbranch_execz .LBB1_228
; %bb.223:
	s_mov_b32 s8, 0x88e368f1
	v_mul_f64 v[28:29], v[20:21], v[20:21]
	s_mov_b32 s9, 0x3ee4f8b5
	v_mul_f64 v[38:39], v[28:29], 0
	v_cmp_ngt_f64_e32 vcc, s[8:9], v[20:21]
                                        ; implicit-def: $vgpr18_vgpr19
	s_and_saveexec_b64 s[8:9], vcc
	s_xor_b64 s[8:9], exec, s[8:9]
	s_cbranch_execz .LBB1_225
; %bb.224:
	s_mov_b32 s10, 0xad1c8325
	s_mov_b32 s11, 0xc1f1dc53
	v_add_f64 v[18:19], v[38:39], s[10:11]
	v_mov_b32_e32 v50, 0xc772990d
	v_mov_b32_e32 v51, 0x427c7751
	s_mov_b32 s10, 0xa696b78c
	v_fmac_f64_e32 v[50:51], v[28:29], v[18:19]
	v_mov_b32_e32 v18, 0xe0d900f7
	v_mov_b32_e32 v19, 0xc2ec5614
	s_mov_b32 s11, 0x407f3902
	v_fmac_f64_e32 v[18:19], v[28:29], v[50:51]
	v_add_f64 v[50:51], v[38:39], s[10:11]
	v_mov_b32_e32 v52, 0x36a21a67
	v_mov_b32_e32 v53, 0x410536cb
	v_fmac_f64_e32 v[52:53], v[28:29], v[50:51]
	v_mov_b32_e32 v50, 0x2eac0634
	v_mov_b32_e32 v51, 0x41871934
	v_fmac_f64_e32 v[50:51], v[28:29], v[52:53]
	;; [unrolled: 3-line block ×6, first 2 shown]
	v_mov_b32_e32 v52, 0xc7b662cc
	v_mov_b32_e32 v53, 0x43b7be34
	s_mov_b32 s10, 0x80462bbb
	v_fmac_f64_e32 v[52:53], v[28:29], v[50:51]
	v_mov_b32_e32 v50, 0x69ff5fb4
	v_mov_b32_e32 v51, 0x43413ef8
	s_mov_b32 s11, 0xc01721fb
	v_fmac_f64_e32 v[50:51], v[28:29], v[18:19]
	v_add_f64 v[18:19], v[28:29], s[10:11]
	s_mov_b32 s10, 0xa621dd6f
	s_mov_b32 s11, 0xc03e78a4
	v_add_f64 v[54:55], v[28:29], s[10:11]
	v_mul_f64 v[18:19], v[18:19], v[54:55]
	v_mul_f64 v[18:19], v[18:19], v[50:51]
	v_div_scale_f64 v[50:51], s[10:11], v[52:53], v[52:53], v[18:19]
	v_rcp_f64_e32 v[54:55], v[50:51]
	s_nop 0
	v_fma_f64 v[64:65], -v[50:51], v[54:55], 1.0
	v_fmac_f64_e32 v[54:55], v[54:55], v[64:65]
	v_fma_f64 v[64:65], -v[50:51], v[54:55], 1.0
	v_fmac_f64_e32 v[54:55], v[54:55], v[64:65]
	v_div_scale_f64 v[64:65], vcc, v[18:19], v[52:53], v[18:19]
	v_mul_f64 v[66:67], v[64:65], v[54:55]
	v_fma_f64 v[50:51], -v[50:51], v[66:67], v[64:65]
	s_nop 1
	v_div_fmas_f64 v[50:51], v[50:51], v[54:55], v[66:67]
	v_div_fixup_f64 v[18:19], v[50:51], v[52:53], v[18:19]
.LBB1_225:
	s_andn2_saveexec_b64 s[8:9], s[8:9]
; %bb.226:
	s_mov_b32 s10, 0
	s_mov_b32 s11, 0xbfd00000
	v_fma_f64 v[18:19], v[28:29], s[10:11], 1.0
; %bb.227:
	s_or_b64 exec, exec, s[8:9]
	s_mov_b32 s8, 0xe896898f
	s_mov_b32 s9, 0x40ce7437
	v_add_f64 v[50:51], v[38:39], s[8:9]
	v_mov_b32_e32 v52, 0x32e48896
	v_mov_b32_e32 v53, 0xc16bf81f
	v_fmac_f64_e32 v[52:53], v[28:29], v[50:51]
	v_mov_b32_e32 v50, 0xf0284cdd
	v_mov_b32_e32 v51, 0x41f43f78
	v_fmac_f64_e32 v[50:51], v[28:29], v[52:53]
	v_mov_b32_e32 v52, 0xe1d6bd2b
	v_mov_b32_e32 v53, 0xc26c957b
	v_fmac_f64_e32 v[52:53], v[28:29], v[50:51]
	v_mov_b32_e32 v50, 0x3cc3ac2d
	v_mov_b32_e32 v51, 0x42d3ea72
	v_fmac_f64_e32 v[50:51], v[28:29], v[52:53]
	v_mov_b32_e32 v52, 0xd1d8cc02
	v_mov_b32_e32 v53, 0xc328a121
	s_mov_b32 s8, 0x576dfcb6
	v_fmac_f64_e32 v[52:53], v[28:29], v[50:51]
	v_mov_b32_e32 v50, 0x660b4003
	v_mov_b32_e32 v51, 0x4363a94b
	s_mov_b32 s9, 0x40904522
	v_fmac_f64_e32 v[50:51], v[28:29], v[52:53]
	v_add_f64 v[38:39], v[38:39], s[8:9]
	v_mov_b32_e32 v52, 0xa907bc0c
	v_mov_b32_e32 v53, 0x41231b76
	v_fmac_f64_e32 v[52:53], v[28:29], v[38:39]
	v_mov_b32_e32 v38, 0x5164d101
	v_mov_b32_e32 v39, 0x41b00763
	v_fmac_f64_e32 v[38:39], v[28:29], v[52:53]
	;; [unrolled: 3-line block ×7, first 2 shown]
	v_div_scale_f64 v[28:29], s[8:9], v[38:39], v[38:39], v[52:53]
	v_rcp_f64_e32 v[50:51], v[28:29]
	s_mov_b32 s8, 0x55555555
	v_frexp_exp_i32_f64_e32 v49, v[20:21]
	v_frexp_mant_f64_e32 v[20:21], v[20:21]
	v_fma_f64 v[54:55], -v[28:29], v[50:51], 1.0
	v_fmac_f64_e32 v[50:51], v[50:51], v[54:55]
	v_fma_f64 v[54:55], -v[28:29], v[50:51], 1.0
	v_fmac_f64_e32 v[50:51], v[50:51], v[54:55]
	v_div_scale_f64 v[54:55], vcc, v[52:53], v[38:39], v[52:53]
	v_mul_f64 v[64:65], v[54:55], v[50:51]
	v_fma_f64 v[28:29], -v[28:29], v[64:65], v[54:55]
	s_mov_b32 s9, 0x3fe55555
	s_nop 0
	v_div_fmas_f64 v[28:29], v[28:29], v[50:51], v[64:65]
	v_div_fixup_f64 v[28:29], v[28:29], v[38:39], v[52:53]
	v_mov_b32_e32 v38, 0x3ff00000
	v_cmp_gt_f64_e32 vcc, s[8:9], v[20:21]
	s_mov_b32 s8, 0xbf559e2b
	s_mov_b32 s9, 0x3fc3ab76
	v_cndmask_b32_e64 v39, v38, 2.0, vcc
	v_mov_b32_e32 v38, 0
	v_mul_f64 v[20:21], v[20:21], v[38:39]
	v_add_f64 v[38:39], v[20:21], 1.0
	v_rcp_f64_e32 v[50:51], v[38:39]
	v_add_f64 v[54:55], v[38:39], -1.0
	v_add_f64 v[52:53], v[20:21], -1.0
	v_add_f64 v[20:21], v[20:21], -v[54:55]
	v_fma_f64 v[54:55], -v[38:39], v[50:51], 1.0
	v_fmac_f64_e32 v[50:51], v[54:55], v[50:51]
	v_fma_f64 v[54:55], -v[38:39], v[50:51], 1.0
	v_fmac_f64_e32 v[50:51], v[54:55], v[50:51]
	v_mul_f64 v[54:55], v[52:53], v[50:51]
	v_mul_f64 v[64:65], v[38:39], v[54:55]
	v_fma_f64 v[38:39], v[54:55], v[38:39], -v[64:65]
	v_fmac_f64_e32 v[38:39], v[54:55], v[20:21]
	v_add_f64 v[20:21], v[64:65], v[38:39]
	v_add_f64 v[66:67], v[52:53], -v[20:21]
	v_add_f64 v[64:65], v[20:21], -v[64:65]
	;; [unrolled: 1-line block ×5, first 2 shown]
	v_add_f64 v[20:21], v[38:39], v[20:21]
	v_add_f64 v[20:21], v[66:67], v[20:21]
	v_mul_f64 v[20:21], v[50:51], v[20:21]
	v_add_f64 v[38:39], v[54:55], v[20:21]
	v_add_f64 v[50:51], v[38:39], -v[54:55]
	v_add_f64 v[20:21], v[20:21], -v[50:51]
	v_mul_f64 v[50:51], v[38:39], v[38:39]
	v_mov_b32_e32 v52, 0x6b47b09a
	v_mov_b32_e32 v53, 0x3fc38538
	v_fmac_f64_e32 v[52:53], s[8:9], v[50:51]
	v_mov_b32_e32 v54, 0xd7f4df2e
	v_mov_b32_e32 v55, 0x3fc7474d
	v_fmac_f64_e32 v[54:55], v[50:51], v[52:53]
	;; [unrolled: 3-line block ×6, first 2 shown]
	v_ldexp_f64 v[52:53], v[38:39], 1
	v_mul_f64 v[38:39], v[38:39], v[50:51]
	v_mul_f64 v[38:39], v[38:39], v[54:55]
	v_add_f64 v[50:51], v[52:53], v[38:39]
	v_add_f64 v[52:53], v[50:51], -v[52:53]
	v_ldexp_f64 v[20:21], v[20:21], 1
	v_add_f64 v[38:39], v[38:39], -v[52:53]
	v_add_f64 v[20:21], v[20:21], v[38:39]
	v_add_f64 v[38:39], v[50:51], v[20:21]
	v_subbrev_co_u32_e32 v49, vcc, 0, v49, vcc
	v_add_f64 v[50:51], v[38:39], -v[50:51]
	s_mov_b32 s8, 0xfefa39ef
	v_add_f64 v[20:21], v[20:21], -v[50:51]
	v_cvt_f64_i32_e32 v[50:51], v49
	s_mov_b32 s9, 0x3fe62e42
	v_mul_f64 v[52:53], v[50:51], s[8:9]
	v_fma_f64 v[54:55], v[50:51], s[8:9], -v[52:53]
	s_mov_b32 s8, 0x3b39803f
	s_mov_b32 s9, 0x3c7abc9e
	v_fmac_f64_e32 v[54:55], s[8:9], v[50:51]
	v_add_f64 v[50:51], v[52:53], v[54:55]
	v_add_f64 v[52:53], v[50:51], -v[52:53]
	v_add_f64 v[52:53], v[54:55], -v[52:53]
	v_add_f64 v[54:55], v[50:51], v[38:39]
	v_add_f64 v[64:65], v[54:55], -v[50:51]
	v_add_f64 v[66:67], v[54:55], -v[64:65]
	;; [unrolled: 1-line block ×4, first 2 shown]
	v_add_f64 v[38:39], v[38:39], v[50:51]
	v_add_f64 v[50:51], v[52:53], v[20:21]
	v_add_f64 v[64:65], v[50:51], -v[52:53]
	v_add_f64 v[66:67], v[50:51], -v[64:65]
	v_add_f64 v[38:39], v[50:51], v[38:39]
	v_add_f64 v[52:53], v[52:53], -v[66:67]
	v_add_f64 v[20:21], v[20:21], -v[64:65]
	v_add_f64 v[50:51], v[54:55], v[38:39]
	v_add_f64 v[20:21], v[20:21], v[52:53]
	v_add_f64 v[52:53], v[50:51], -v[54:55]
	v_add_f64 v[38:39], v[38:39], -v[52:53]
	v_add_f64 v[20:21], v[20:21], v[38:39]
	s_mov_b32 s8, 0x6dc9c883
	v_add_f64 v[20:21], v[50:51], v[20:21]
	s_mov_b32 s9, 0x3fe45f30
	v_mul_f64 v[20:21], v[20:21], s[8:9]
	v_fmac_f64_e32 v[28:29], v[20:21], v[18:19]
.LBB1_228:
	s_or_b64 exec, exec, s[6:7]
.LBB1_229:
	s_or_b64 exec, exec, s[4:5]
                                        ; implicit-def: $vgpr20_vgpr21
.LBB1_230:
	s_andn2_saveexec_b64 s[4:5], s[0:1]
	s_cbranch_execz .LBB1_240
; %bb.231:
	s_mov_b32 s9, 0xbfe921fb
	s_mov_b32 s8, 0x54442d18
	;; [unrolled: 1-line block ×3, first 2 shown]
	v_add_f64 v[18:19], v[20:21], s[8:9]
	s_mov_b32 s1, 0x41d00000
	v_cmp_nlt_f64_e64 s[6:7], |v[18:19]|, s[0:1]
	v_trig_preop_f64 v[66:67], |v[18:19]|, 0
	v_trig_preop_f64 v[64:65], |v[18:19]|, 1
	;; [unrolled: 1-line block ×3, first 2 shown]
                                        ; implicit-def: $vgpr49
                                        ; implicit-def: $vgpr28_vgpr29
                                        ; implicit-def: $vgpr38_vgpr39
	s_and_saveexec_b64 s[0:1], s[6:7]
	s_xor_b64 s[10:11], exec, s[0:1]
	s_cbranch_execz .LBB1_233
; %bb.232:
	s_mov_b32 s0, 0
	s_mov_b32 s1, 0x7b000000
	s_movk_i32 s9, 0xff80
	v_and_b32_e32 v38, 0x7fffffff, v19
	v_ldexp_f64 v[28:29], |v[18:19]|, s9
	v_cmp_ge_f64_e64 vcc, |v[18:19]|, s[0:1]
	s_mov_b32 s0, 0
	s_mov_b32 s1, 0x7ff00000
	v_cndmask_b32_e32 v29, v38, v29, vcc
	v_cndmask_b32_e32 v28, v18, v28, vcc
	v_mul_f64 v[50:51], v[66:67], v[28:29]
	v_mul_f64 v[38:39], v[64:65], v[28:29]
	v_fma_f64 v[52:53], v[66:67], v[28:29], -v[50:51]
	v_add_f64 v[68:69], v[38:39], v[52:53]
	v_add_f64 v[70:71], v[50:51], v[68:69]
	v_ldexp_f64 v[80:81], v[70:71], -2
	v_fract_f64_e32 v[82:83], v[80:81]
	v_cmp_neq_f64_e64 vcc, |v[80:81]|, s[0:1]
	v_add_f64 v[50:51], v[70:71], -v[50:51]
	v_add_f64 v[50:51], v[68:69], -v[50:51]
	v_cndmask_b32_e32 v81, 0, v83, vcc
	v_cndmask_b32_e32 v80, 0, v82, vcc
	v_add_f64 v[82:83], v[68:69], -v[38:39]
	v_add_f64 v[52:53], v[52:53], -v[82:83]
	;; [unrolled: 1-line block ×4, first 2 shown]
	v_add_f64 v[52:53], v[52:53], v[82:83]
	v_fma_f64 v[38:39], v[64:65], v[28:29], -v[38:39]
	v_mul_f64 v[82:83], v[54:55], v[28:29]
	v_add_f64 v[86:87], v[82:83], v[38:39]
	v_add_f64 v[96:97], v[86:87], v[52:53]
	v_add_f64 v[70:71], v[96:97], -v[86:87]
	v_add_f64 v[52:53], v[52:53], -v[70:71]
	;; [unrolled: 1-line block ×4, first 2 shown]
	v_add_f64 v[52:53], v[52:53], v[70:71]
	v_add_f64 v[70:71], v[86:87], -v[82:83]
	v_add_f64 v[38:39], v[38:39], -v[70:71]
	;; [unrolled: 1-line block ×4, first 2 shown]
	v_add_f64 v[68:69], v[50:51], v[96:97]
	v_add_f64 v[38:39], v[38:39], v[70:71]
	v_add_f64 v[50:51], v[68:69], -v[50:51]
	v_add_f64 v[38:39], v[38:39], v[52:53]
	v_fma_f64 v[28:29], v[54:55], v[28:29], -v[82:83]
	v_add_f64 v[50:51], v[96:97], -v[50:51]
	v_add_f64 v[28:29], v[28:29], v[38:39]
	v_ldexp_f64 v[38:39], v[80:81], 2
	v_add_f64 v[28:29], v[50:51], v[28:29]
	v_add_f64 v[50:51], v[68:69], v[38:39]
	v_mov_b32_e32 v49, 0x40100000
	v_cmp_gt_f64_e32 vcc, 0, v[50:51]
	v_mov_b32_e32 v84, 0
	s_mov_b32 s9, 0x3ff921fb
	v_cndmask_b32_e32 v85, 0, v49, vcc
	v_add_f64 v[38:39], v[38:39], v[84:85]
	v_add_f64 v[50:51], v[68:69], v[38:39]
	v_cvt_i32_f64_e32 v49, v[50:51]
	v_cvt_f64_i32_e32 v[50:51], v49
	v_add_f64 v[38:39], v[38:39], -v[50:51]
	v_add_f64 v[50:51], v[68:69], v[38:39]
	v_add_f64 v[38:39], v[50:51], -v[38:39]
	v_add_f64 v[38:39], v[68:69], -v[38:39]
	v_add_f64 v[28:29], v[28:29], v[38:39]
	v_cmp_le_f64_e32 vcc, 0.5, v[50:51]
	v_mov_b32_e32 v38, 0x3ff00000
	s_nop 0
	v_cndmask_b32_e32 v85, 0, v38, vcc
	v_add_f64 v[38:39], v[50:51], -v[84:85]
	v_add_f64 v[50:51], v[38:39], v[28:29]
	v_addc_co_u32_e64 v49, s[0:1], 0, v49, vcc
	v_add_f64 v[38:39], v[50:51], -v[38:39]
	v_add_f64 v[28:29], v[28:29], -v[38:39]
	v_mul_f64 v[38:39], v[50:51], s[8:9]
	s_mov_b32 s0, 0x33145c07
	v_fma_f64 v[52:53], v[50:51], s[8:9], -v[38:39]
	s_mov_b32 s1, 0x3c91a626
	v_fmac_f64_e32 v[52:53], s[0:1], v[50:51]
	v_fmac_f64_e32 v[52:53], s[8:9], v[28:29]
	v_add_f64 v[28:29], v[38:39], v[52:53]
	v_add_f64 v[38:39], v[28:29], -v[38:39]
	v_add_f64 v[38:39], v[52:53], -v[38:39]
	s_andn2_saveexec_b64 s[0:1], s[10:11]
	s_cbranch_execz .LBB1_235
	s_branch .LBB1_234
.LBB1_233:
	s_andn2_saveexec_b64 s[0:1], s[10:11]
	s_cbranch_execz .LBB1_235
.LBB1_234:
	s_mov_b32 s8, 0x6dc9c883
	s_mov_b32 s9, 0x3fe45f30
	v_mul_f64 v[28:29], |v[18:19]|, s[8:9]
	s_mov_b32 s8, 0x54442d18
	v_rndne_f64_e32 v[50:51], v[28:29]
	s_mov_b32 s9, 0xbff921fb
	v_fma_f64 v[28:29], v[50:51], s[8:9], |v[18:19]|
	s_mov_b32 s9, 0xbc91a626
	s_mov_b32 s8, 0x33145c00
	v_mul_f64 v[52:53], v[50:51], s[8:9]
	v_add_f64 v[70:71], v[28:29], v[52:53]
	v_fma_f64 v[38:39], s[8:9], v[50:51], v[28:29]
	s_mov_b32 s9, 0x3c91a626
	v_add_f64 v[28:29], v[28:29], -v[70:71]
	v_fma_f64 v[68:69], s[8:9], v[50:51], v[52:53]
	v_add_f64 v[28:29], v[28:29], v[52:53]
	v_add_f64 v[52:53], v[70:71], -v[38:39]
	v_add_f64 v[28:29], v[52:53], v[28:29]
	s_mov_b32 s8, 0x252049c0
	v_add_f64 v[52:53], v[28:29], -v[68:69]
	s_mov_b32 s9, 0xb97b839a
	v_fmac_f64_e32 v[52:53], s[8:9], v[50:51]
	v_add_f64 v[28:29], v[38:39], v[52:53]
	v_add_f64 v[38:39], v[28:29], -v[38:39]
	v_add_f64 v[38:39], v[52:53], -v[38:39]
	v_cvt_i32_f64_e32 v49, v[50:51]
.LBB1_235:
	s_or_b64 exec, exec, s[0:1]
                                        ; implicit-def: $vgpr68
                                        ; implicit-def: $vgpr50_vgpr51
                                        ; implicit-def: $vgpr52_vgpr53
	s_and_saveexec_b64 s[0:1], s[6:7]
	s_xor_b64 s[6:7], exec, s[0:1]
	s_cbranch_execz .LBB1_237
; %bb.236:
	s_mov_b32 s0, 0
	s_mov_b32 s1, 0x7b000000
	s_movk_i32 s8, 0xff80
	v_and_b32_e32 v52, 0x7fffffff, v19
	v_ldexp_f64 v[50:51], |v[18:19]|, s8
	v_cmp_ge_f64_e64 vcc, |v[18:19]|, s[0:1]
	s_mov_b32 s0, 0
	s_mov_b32 s1, 0x7ff00000
	v_cndmask_b32_e32 v51, v52, v51, vcc
	v_cndmask_b32_e32 v50, v18, v50, vcc
	v_mul_f64 v[68:69], v[66:67], v[50:51]
	v_mul_f64 v[52:53], v[64:65], v[50:51]
	v_fma_f64 v[66:67], v[66:67], v[50:51], -v[68:69]
	v_add_f64 v[70:71], v[52:53], v[66:67]
	v_add_f64 v[80:81], v[68:69], v[70:71]
	v_ldexp_f64 v[82:83], v[80:81], -2
	v_fract_f64_e32 v[84:85], v[82:83]
	v_cmp_neq_f64_e64 vcc, |v[82:83]|, s[0:1]
	v_add_f64 v[68:69], v[80:81], -v[68:69]
	v_add_f64 v[68:69], v[70:71], -v[68:69]
	v_cndmask_b32_e32 v83, 0, v85, vcc
	v_cndmask_b32_e32 v82, 0, v84, vcc
	v_add_f64 v[84:85], v[70:71], -v[52:53]
	v_add_f64 v[66:67], v[66:67], -v[84:85]
	;; [unrolled: 1-line block ×4, first 2 shown]
	v_fma_f64 v[52:53], v[64:65], v[50:51], -v[52:53]
	v_mul_f64 v[64:65], v[54:55], v[50:51]
	v_add_f64 v[66:67], v[66:67], v[84:85]
	v_add_f64 v[84:85], v[64:65], v[52:53]
	;; [unrolled: 1-line block ×3, first 2 shown]
	v_add_f64 v[80:81], v[96:97], -v[84:85]
	v_add_f64 v[66:67], v[66:67], -v[80:81]
	;; [unrolled: 1-line block ×4, first 2 shown]
	v_add_f64 v[66:67], v[66:67], v[80:81]
	v_add_f64 v[80:81], v[84:85], -v[64:65]
	v_add_f64 v[52:53], v[52:53], -v[80:81]
	;; [unrolled: 1-line block ×4, first 2 shown]
	v_add_f64 v[52:53], v[52:53], v[80:81]
	v_add_f64 v[52:53], v[52:53], v[66:67]
	v_fma_f64 v[50:51], v[54:55], v[50:51], -v[64:65]
	v_add_f64 v[70:71], v[68:69], v[96:97]
	v_add_f64 v[50:51], v[50:51], v[52:53]
	v_ldexp_f64 v[52:53], v[82:83], 2
	v_add_f64 v[54:55], v[70:71], v[52:53]
	v_mov_b32_e32 v64, 0x40100000
	v_cmp_gt_f64_e32 vcc, 0, v[54:55]
	v_mov_b32_e32 v86, 0
	v_add_f64 v[68:69], v[70:71], -v[68:69]
	v_cndmask_b32_e32 v87, 0, v64, vcc
	v_add_f64 v[52:53], v[52:53], v[86:87]
	v_add_f64 v[54:55], v[70:71], v[52:53]
	v_cvt_i32_f64_e32 v64, v[54:55]
	v_cvt_f64_i32_e32 v[54:55], v64
	v_add_f64 v[52:53], v[52:53], -v[54:55]
	v_add_f64 v[54:55], v[70:71], v[52:53]
	v_add_f64 v[68:69], v[96:97], -v[68:69]
	v_add_f64 v[52:53], v[54:55], -v[52:53]
	v_add_f64 v[50:51], v[68:69], v[50:51]
	v_add_f64 v[52:53], v[70:71], -v[52:53]
	v_add_f64 v[50:51], v[50:51], v[52:53]
	v_cmp_le_f64_e32 vcc, 0.5, v[54:55]
	v_mov_b32_e32 v52, 0x3ff00000
	s_mov_b32 s8, 0x33145c07
	v_cndmask_b32_e32 v87, 0, v52, vcc
	v_addc_co_u32_e64 v68, s[0:1], 0, v64, vcc
	v_add_f64 v[52:53], v[54:55], -v[86:87]
	v_add_f64 v[54:55], v[52:53], v[50:51]
	s_mov_b32 s0, 0x54442d18
	v_add_f64 v[52:53], v[54:55], -v[52:53]
	s_mov_b32 s1, 0x3ff921fb
	v_add_f64 v[50:51], v[50:51], -v[52:53]
	v_mul_f64 v[52:53], v[54:55], s[0:1]
	v_fma_f64 v[64:65], v[54:55], s[0:1], -v[52:53]
	s_mov_b32 s9, 0x3c91a626
	v_fmac_f64_e32 v[64:65], s[8:9], v[54:55]
	v_fmac_f64_e32 v[64:65], s[0:1], v[50:51]
	v_add_f64 v[50:51], v[52:53], v[64:65]
	v_add_f64 v[52:53], v[50:51], -v[52:53]
	v_add_f64 v[52:53], v[64:65], -v[52:53]
	s_andn2_saveexec_b64 s[0:1], s[6:7]
	s_cbranch_execnz .LBB1_238
	s_branch .LBB1_239
.LBB1_237:
	s_andn2_saveexec_b64 s[0:1], s[6:7]
	s_cbranch_execz .LBB1_239
.LBB1_238:
	s_mov_b32 s6, 0x6dc9c883
	s_mov_b32 s7, 0x3fe45f30
	v_mul_f64 v[50:51], |v[18:19]|, s[6:7]
	s_mov_b32 s6, 0x54442d18
	v_rndne_f64_e32 v[54:55], v[50:51]
	s_mov_b32 s7, 0xbff921fb
	v_fma_f64 v[50:51], v[54:55], s[6:7], |v[18:19]|
	s_mov_b32 s7, 0xbc91a626
	s_mov_b32 s6, 0x33145c00
	v_mul_f64 v[64:65], v[54:55], s[6:7]
	v_add_f64 v[68:69], v[50:51], v[64:65]
	v_fma_f64 v[52:53], s[6:7], v[54:55], v[50:51]
	s_mov_b32 s7, 0x3c91a626
	v_add_f64 v[50:51], v[50:51], -v[68:69]
	v_fma_f64 v[66:67], s[6:7], v[54:55], v[64:65]
	v_add_f64 v[50:51], v[50:51], v[64:65]
	v_add_f64 v[64:65], v[68:69], -v[52:53]
	v_add_f64 v[50:51], v[64:65], v[50:51]
	s_mov_b32 s6, 0x252049c0
	v_add_f64 v[64:65], v[50:51], -v[66:67]
	s_mov_b32 s7, 0xb97b839a
	v_fmac_f64_e32 v[64:65], s[6:7], v[54:55]
	v_add_f64 v[50:51], v[52:53], v[64:65]
	v_add_f64 v[52:53], v[50:51], -v[52:53]
	v_add_f64 v[52:53], v[64:65], -v[52:53]
	v_cvt_i32_f64_e32 v68, v[54:55]
.LBB1_239:
	s_or_b64 exec, exec, s[0:1]
	s_mov_b32 s0, 0
	v_mul_f64 v[54:55], v[20:21], v[20:21]
	s_mov_b32 s1, 0x40390000
	v_div_scale_f64 v[64:65], s[6:7], v[54:55], v[54:55], s[0:1]
	v_rcp_f64_e32 v[66:67], v[64:65]
	v_mov_b32_e32 v82, 0xb1759c7f
	v_mov_b32_e32 v83, 0x408ac370
	;; [unrolled: 1-line block ×3, first 2 shown]
	v_fma_f64 v[70:71], -v[64:65], v[66:67], 1.0
	v_fmac_f64_e32 v[66:67], v[66:67], v[70:71]
	v_fma_f64 v[70:71], -v[64:65], v[66:67], 1.0
	v_fmac_f64_e32 v[66:67], v[66:67], v[70:71]
	v_div_scale_f64 v[70:71], vcc, s[0:1], v[54:55], s[0:1]
	v_mul_f64 v[80:81], v[70:71], v[66:67]
	v_fma_f64 v[64:65], -v[64:65], v[80:81], v[70:71]
	v_mov_b32_e32 v70, 0xab5454e3
	s_nop 0
	v_div_fmas_f64 v[64:65], v[64:65], v[66:67], v[80:81]
	v_div_fixup_f64 v[54:55], v[64:65], v[54:55], s[0:1]
	v_mov_b32_e32 v64, 0x983b6b27
	v_mov_b32_e32 v65, 0x3f4a1d30
	v_fmac_f64_e32 v[64:65], 0, v[54:55]
	v_mov_b32_e32 v66, 0xb35dd1cf
	v_mov_b32_e32 v67, 0x3fb534b0
	v_fmac_f64_e32 v[66:67], v[54:55], v[64:65]
	;; [unrolled: 3-line block ×7, first 2 shown]
	v_mov_b32_e32 v71, 0x3fb5ebc5
	v_fmac_f64_e32 v[70:71], v[54:55], v[64:65]
	v_mov_b32_e32 v64, 0xc9b3069f
	v_mov_b32_e32 v65, 0x3ff40e72
	v_fmac_f64_e32 v[64:65], v[54:55], v[70:71]
	v_mov_b32_e32 v70, 0xe68162bb
	;; [unrolled: 3-line block ×4, first 2 shown]
	v_mov_b32_e32 v71, 0x40153965
	v_fmac_f64_e32 v[70:71], v[54:55], v[64:65]
	v_fma_f64 v[64:65], v[54:55], v[70:71], 1.0
	v_mov_b32_e32 v70, 0x38a5384a
	v_mov_b32_e32 v71, 0xbf874742
	v_fmac_f64_e32 v[70:71], 0, v[54:55]
	v_mov_b32_e32 v80, 0x3a321174
	v_mov_b32_e32 v81, 0xbff4853b
	v_fmac_f64_e32 v[80:81], v[54:55], v[70:71]
	;; [unrolled: 3-line block ×9, first 2 shown]
	v_fmac_f64_e32 v[82:83], v[54:55], v[70:71]
	v_mov_b32_e32 v70, 0xbd748cb5
	v_mov_b32_e32 v71, 0x40ae54cd
	v_fmac_f64_e32 v[70:71], v[54:55], v[82:83]
	v_mov_b32_e32 v82, 0xbdefd63e
	v_mov_b32_e32 v83, 0x40bc4877
	;; [unrolled: 3-line block ×4, first 2 shown]
	v_fma_f64 v[66:67], v[54:55], v[66:67], 1.0
	v_fmac_f64_e32 v[82:83], v[54:55], v[70:71]
	v_div_scale_f64 v[70:71], s[0:1], v[64:65], v[64:65], v[66:67]
	v_rcp_f64_e32 v[84:85], v[70:71]
	v_mov_b32_e32 v87, 0x406e402f
	v_fmac_f64_e32 v[86:87], v[54:55], v[82:83]
	s_mov_b32 s0, 0x9037ab78
	v_fma_f64 v[54:55], -v[70:71], v[84:85], 1.0
	v_fmac_f64_e32 v[84:85], v[84:85], v[54:55]
	v_fma_f64 v[54:55], -v[70:71], v[84:85], 1.0
	v_fmac_f64_e32 v[84:85], v[84:85], v[54:55]
	v_div_scale_f64 v[54:55], vcc, v[66:67], v[64:65], v[66:67]
	v_mul_f64 v[82:83], v[54:55], v[84:85]
	v_fma_f64 v[54:55], -v[70:71], v[82:83], v[54:55]
	s_mov_b32 s1, 0x3e21eeb6
	s_nop 0
	v_div_fmas_f64 v[54:55], v[54:55], v[84:85], v[82:83]
	s_mov_b32 s6, 0x46cc5e42
	v_div_fixup_f64 v[54:55], v[54:55], v[64:65], v[66:67]
	v_mul_f64 v[64:65], v[28:29], v[28:29]
	s_mov_b32 s7, 0xbda907db
	v_mov_b64_e32 v[84:85], s[0:1]
	s_mov_b32 s8, 0xa17f65f6
	v_mul_f64 v[66:67], v[64:65], 0.5
	v_fma_f64 v[96:97], s[6:7], v[64:65], v[84:85]
	s_mov_b32 s9, 0xbe927e4f
	s_mov_b32 s10, 0x19f4ec90
	v_add_f64 v[70:71], -v[66:67], 1.0
	v_fma_f64 v[96:97], v[64:65], v[96:97], s[8:9]
	s_mov_b32 s11, 0x3efa01a0
	s_mov_b32 s12, 0x16c16967
	v_add_f64 v[82:83], -v[70:71], 1.0
	v_fma_f64 v[96:97], v[64:65], v[96:97], s[10:11]
	s_mov_b32 s13, 0xbf56c16c
	s_mov_b32 s14, 0x55555555
	v_add_f64 v[66:67], v[82:83], -v[66:67]
	v_fma_f64 v[96:97], v[64:65], v[96:97], s[12:13]
	s_mov_b32 s15, 0x3fa55555
	v_mul_f64 v[82:83], v[64:65], v[64:65]
	v_fma_f64 v[96:97], v[64:65], v[96:97], s[14:15]
	v_fma_f64 v[66:67], v[28:29], -v[38:39], v[66:67]
	s_mov_b32 s0, 0xb42fdfa7
	v_fmac_f64_e32 v[66:67], v[82:83], v[96:97]
	s_mov_b32 s1, 0xbe5ae600
	s_mov_b32 s16, 0xf9a43bb8
	v_add_f64 v[66:67], v[70:71], v[66:67]
	s_mov_b32 s17, 0x3de5e0b2
	v_mov_b64_e32 v[70:71], s[0:1]
	s_mov_b32 s18, 0x796cde01
	v_fma_f64 v[82:83], s[16:17], v[64:65], v[70:71]
	s_mov_b32 s19, 0x3ec71de3
	s_mov_b32 s20, 0x19e83e5c
	v_fma_f64 v[82:83], v[64:65], v[82:83], s[18:19]
	s_mov_b32 s21, 0xbf2a01a0
	;; [unrolled: 3-line block ×3, first 2 shown]
	v_fma_f64 v[82:83], v[64:65], v[82:83], s[22:23]
	v_mul_f64 v[96:97], v[28:29], -v[64:65]
	v_mul_f64 v[98:99], v[38:39], 0.5
	v_fmac_f64_e32 v[98:99], v[96:97], v[82:83]
	v_fma_f64 v[38:39], v[64:65], v[98:99], -v[38:39]
	s_mov_b32 s25, 0xbfc55555
	s_mov_b32 s24, s14
	v_fmac_f64_e32 v[38:39], s[24:25], v[96:97]
	v_add_f64 v[28:29], v[28:29], -v[38:39]
	v_and_b32_e32 v38, 1, v49
	v_cmp_eq_u32_e32 vcc, 0, v38
	s_mov_b32 s26, 0
	s_mov_b32 s27, 0x40140000
	v_cndmask_b32_e32 v64, v66, v28, vcc
	v_cndmask_b32_e32 v28, v67, v29, vcc
	v_lshlrev_b32_e32 v29, 30, v49
	v_xor_b32_e32 v29, v29, v19
	v_and_b32_e32 v29, 0x80000000, v29
	v_xor_b32_e32 v49, v28, v29
	v_div_scale_f64 v[28:29], s[0:1], v[20:21], v[20:21], s[26:27]
	v_rcp_f64_e32 v[38:39], v[28:29]
	s_movk_i32 s28, 0x1f8
	v_cmp_class_f64_e64 s[0:1], v[18:19], s28
	v_mov_b32_e32 v69, 0x7ff80000
	s_nop 0
	v_cndmask_b32_e64 v18, 0, v64, s[0:1]
	v_fma_f64 v[64:65], -v[28:29], v[38:39], 1.0
	v_fmac_f64_e32 v[38:39], v[38:39], v[64:65]
	v_fma_f64 v[64:65], -v[28:29], v[38:39], 1.0
	v_fmac_f64_e32 v[38:39], v[38:39], v[64:65]
	v_div_scale_f64 v[64:65], vcc, s[26:27], v[20:21], s[26:27]
	v_mul_f64 v[66:67], v[64:65], v[38:39]
	v_fma_f64 v[28:29], -v[28:29], v[66:67], v[64:65]
	v_div_scale_f64 v[64:65], s[28:29], v[86:87], v[86:87], v[80:81]
	v_rcp_f64_e32 v[82:83], v[64:65]
	v_div_fmas_f64 v[28:29], v[28:29], v[38:39], v[66:67]
	v_div_fixup_f64 v[28:29], v[28:29], v[20:21], s[26:27]
	v_cndmask_b32_e64 v19, v69, v49, s[0:1]
	v_fma_f64 v[38:39], -v[64:65], v[82:83], 1.0
	v_fmac_f64_e32 v[82:83], v[82:83], v[38:39]
	v_fma_f64 v[38:39], -v[64:65], v[82:83], 1.0
	v_fmac_f64_e32 v[82:83], v[82:83], v[38:39]
	v_div_scale_f64 v[38:39], vcc, v[80:81], v[86:87], v[80:81]
	v_mul_f64 v[66:67], v[38:39], v[82:83]
	v_fma_f64 v[38:39], -v[64:65], v[66:67], v[38:39]
	v_and_b32_e32 v49, 1, v68
	s_nop 0
	v_div_fmas_f64 v[38:39], v[38:39], v[82:83], v[66:67]
	v_div_fixup_f64 v[38:39], v[38:39], v[86:87], v[80:81]
	v_mul_f64 v[28:29], v[28:29], v[38:39]
	v_mul_f64 v[38:39], v[50:51], v[50:51]
	v_mul_f64 v[64:65], v[38:39], 0.5
	v_fmac_f64_e32 v[84:85], s[6:7], v[38:39]
	v_add_f64 v[66:67], -v[64:65], 1.0
	v_fma_f64 v[82:83], v[38:39], v[84:85], s[8:9]
	v_add_f64 v[80:81], -v[66:67], 1.0
	v_fma_f64 v[82:83], v[38:39], v[82:83], s[10:11]
	v_add_f64 v[64:65], v[80:81], -v[64:65]
	v_fma_f64 v[82:83], v[38:39], v[82:83], s[12:13]
	v_mul_f64 v[80:81], v[38:39], v[38:39]
	v_fma_f64 v[82:83], v[38:39], v[82:83], s[14:15]
	v_fma_f64 v[64:65], v[50:51], -v[52:53], v[64:65]
	v_fmac_f64_e32 v[64:65], v[80:81], v[82:83]
	v_fmac_f64_e32 v[70:71], s[16:17], v[38:39]
	v_add_f64 v[64:65], v[66:67], v[64:65]
	v_fma_f64 v[66:67], v[38:39], v[70:71], s[18:19]
	v_fma_f64 v[66:67], v[38:39], v[66:67], s[20:21]
	;; [unrolled: 1-line block ×3, first 2 shown]
	v_mul_f64 v[70:71], v[50:51], -v[38:39]
	v_mul_f64 v[80:81], v[52:53], 0.5
	v_fmac_f64_e32 v[80:81], v[70:71], v[66:67]
	v_fma_f64 v[38:39], v[38:39], v[80:81], -v[52:53]
	v_fmac_f64_e32 v[38:39], s[24:25], v[70:71]
	v_add_f64 v[38:39], v[50:51], -v[38:39]
	v_xor_b32_e32 v39, 0x80000000, v39
	v_cmp_eq_u32_e32 vcc, 0, v49
	v_lshlrev_b32_e32 v49, 30, v68
	v_and_b32_e32 v49, 0x80000000, v49
	v_cndmask_b32_e32 v39, v39, v65, vcc
	v_cndmask_b32_e32 v38, v38, v64, vcc
	v_xor_b32_e32 v39, v39, v49
	v_cndmask_b32_e64 v38, 0, v38, s[0:1]
	v_cndmask_b32_e64 v39, v69, v39, s[0:1]
	s_mov_b32 s0, 0
	s_brev_b32 s1, 8
	v_mul_f64 v[28:29], v[28:29], v[38:39]
	v_cmp_gt_f64_e32 vcc, s[0:1], v[20:21]
	v_fmac_f64_e32 v[28:29], v[54:55], v[18:19]
	s_mov_b32 s0, 0x33d43651
	v_cndmask_b32_e64 v18, 0, 1, vcc
	v_lshlrev_b32_e32 v18, 8, v18
	v_ldexp_f64 v[18:19], v[20:21], v18
	v_rsq_f64_e32 v[20:21], v[18:19]
	s_mov_b32 s1, 0x3fe98845
	v_mul_f64 v[28:29], v[28:29], s[0:1]
	v_mul_f64 v[38:39], v[18:19], v[20:21]
	v_mul_f64 v[20:21], v[20:21], 0.5
	v_fma_f64 v[50:51], -v[20:21], v[38:39], 0.5
	v_fmac_f64_e32 v[38:39], v[38:39], v[50:51]
	v_fma_f64 v[52:53], -v[38:39], v[38:39], v[18:19]
	v_fmac_f64_e32 v[20:21], v[20:21], v[50:51]
	v_fmac_f64_e32 v[38:39], v[52:53], v[20:21]
	v_fma_f64 v[50:51], -v[38:39], v[38:39], v[18:19]
	v_fmac_f64_e32 v[38:39], v[50:51], v[20:21]
	v_mov_b32_e32 v20, 0xffffff80
	v_cndmask_b32_e32 v20, 0, v20, vcc
	v_ldexp_f64 v[20:21], v[38:39], v20
	v_mov_b32_e32 v38, 0x260
	v_cmp_class_f64_e32 vcc, v[18:19], v38
	s_nop 1
	v_cndmask_b32_e32 v19, v21, v19, vcc
	v_cndmask_b32_e32 v18, v20, v18, vcc
	v_div_scale_f64 v[20:21], s[0:1], v[18:19], v[18:19], v[28:29]
	v_rcp_f64_e32 v[38:39], v[20:21]
	s_nop 0
	v_fma_f64 v[50:51], -v[20:21], v[38:39], 1.0
	v_fmac_f64_e32 v[38:39], v[38:39], v[50:51]
	v_fma_f64 v[50:51], -v[20:21], v[38:39], 1.0
	v_fmac_f64_e32 v[38:39], v[38:39], v[50:51]
	v_div_scale_f64 v[50:51], vcc, v[28:29], v[18:19], v[28:29]
	v_mul_f64 v[52:53], v[50:51], v[38:39]
	v_fma_f64 v[20:21], -v[20:21], v[52:53], v[50:51]
	s_nop 1
	v_div_fmas_f64 v[20:21], v[20:21], v[38:39], v[52:53]
	v_div_fixup_f64 v[28:29], v[20:21], v[18:19], v[28:29]
.LBB1_240:
	s_or_b64 exec, exec, s[4:5]
	s_mov_b32 s0, 0
	s_mov_b32 s1, 0x40140000
	v_cmp_ge_f64_e32 vcc, s[0:1], v[10:11]
                                        ; implicit-def: $vgpr18_vgpr19
	s_and_saveexec_b64 s[0:1], vcc
	s_xor_b64 s[0:1], exec, s[0:1]
	s_cbranch_execz .LBB1_250
; %bb.241:
	v_mov_b32_e32 v18, 0
	v_cmp_neq_f64_e32 vcc, 0, v[10:11]
	v_mov_b32_e32 v19, 0xfff00000
	s_and_saveexec_b64 s[4:5], vcc
	s_cbranch_execz .LBB1_249
; %bb.242:
	v_mov_b32_e32 v18, 0
	v_cmp_ngt_f64_e32 vcc, 0, v[10:11]
	v_mov_b32_e32 v19, 0x7ff80000
	s_and_saveexec_b64 s[6:7], vcc
	s_cbranch_execz .LBB1_248
; %bb.243:
	s_mov_b32 s8, 0x88e368f1
	v_mul_f64 v[18:19], v[10:11], v[10:11]
	s_mov_b32 s9, 0x3ee4f8b5
	v_mul_f64 v[38:39], v[18:19], 0
	v_cmp_ngt_f64_e32 vcc, s[8:9], v[10:11]
                                        ; implicit-def: $vgpr20_vgpr21
	s_and_saveexec_b64 s[8:9], vcc
	s_xor_b64 s[8:9], exec, s[8:9]
	s_cbranch_execz .LBB1_245
; %bb.244:
	s_mov_b32 s10, 0xad1c8325
	s_mov_b32 s11, 0xc1f1dc53
	v_add_f64 v[20:21], v[38:39], s[10:11]
	v_mov_b32_e32 v50, 0xc772990d
	v_mov_b32_e32 v51, 0x427c7751
	s_mov_b32 s10, 0xa696b78c
	v_fmac_f64_e32 v[50:51], v[18:19], v[20:21]
	v_mov_b32_e32 v20, 0xe0d900f7
	v_mov_b32_e32 v21, 0xc2ec5614
	s_mov_b32 s11, 0x407f3902
	v_fmac_f64_e32 v[20:21], v[18:19], v[50:51]
	v_add_f64 v[50:51], v[38:39], s[10:11]
	v_mov_b32_e32 v52, 0x36a21a67
	v_mov_b32_e32 v53, 0x410536cb
	v_fmac_f64_e32 v[52:53], v[18:19], v[50:51]
	v_mov_b32_e32 v50, 0x2eac0634
	v_mov_b32_e32 v51, 0x41871934
	v_fmac_f64_e32 v[50:51], v[18:19], v[52:53]
	;; [unrolled: 3-line block ×6, first 2 shown]
	v_mov_b32_e32 v52, 0xc7b662cc
	v_mov_b32_e32 v53, 0x43b7be34
	s_mov_b32 s10, 0x80462bbb
	v_fmac_f64_e32 v[52:53], v[18:19], v[50:51]
	v_mov_b32_e32 v50, 0x69ff5fb4
	v_mov_b32_e32 v51, 0x43413ef8
	s_mov_b32 s11, 0xc01721fb
	v_fmac_f64_e32 v[50:51], v[18:19], v[20:21]
	v_add_f64 v[20:21], v[18:19], s[10:11]
	s_mov_b32 s10, 0xa621dd6f
	s_mov_b32 s11, 0xc03e78a4
	v_add_f64 v[54:55], v[18:19], s[10:11]
	v_mul_f64 v[20:21], v[20:21], v[54:55]
	v_mul_f64 v[20:21], v[20:21], v[50:51]
	v_div_scale_f64 v[50:51], s[10:11], v[52:53], v[52:53], v[20:21]
	v_rcp_f64_e32 v[54:55], v[50:51]
	s_nop 0
	v_fma_f64 v[64:65], -v[50:51], v[54:55], 1.0
	v_fmac_f64_e32 v[54:55], v[54:55], v[64:65]
	v_fma_f64 v[64:65], -v[50:51], v[54:55], 1.0
	v_fmac_f64_e32 v[54:55], v[54:55], v[64:65]
	v_div_scale_f64 v[64:65], vcc, v[20:21], v[52:53], v[20:21]
	v_mul_f64 v[66:67], v[64:65], v[54:55]
	v_fma_f64 v[50:51], -v[50:51], v[66:67], v[64:65]
	s_nop 1
	v_div_fmas_f64 v[50:51], v[50:51], v[54:55], v[66:67]
	v_div_fixup_f64 v[20:21], v[50:51], v[52:53], v[20:21]
.LBB1_245:
	s_andn2_saveexec_b64 s[8:9], s[8:9]
; %bb.246:
	s_mov_b32 s10, 0
	s_mov_b32 s11, 0xbfd00000
	v_fma_f64 v[20:21], v[18:19], s[10:11], 1.0
; %bb.247:
	s_or_b64 exec, exec, s[8:9]
	s_mov_b32 s8, 0xe896898f
	s_mov_b32 s9, 0x40ce7437
	v_add_f64 v[50:51], v[38:39], s[8:9]
	v_mov_b32_e32 v52, 0x32e48896
	v_mov_b32_e32 v53, 0xc16bf81f
	v_fmac_f64_e32 v[52:53], v[18:19], v[50:51]
	v_mov_b32_e32 v50, 0xf0284cdd
	v_mov_b32_e32 v51, 0x41f43f78
	v_fmac_f64_e32 v[50:51], v[18:19], v[52:53]
	;; [unrolled: 3-line block ×4, first 2 shown]
	v_mov_b32_e32 v52, 0xd1d8cc02
	v_mov_b32_e32 v53, 0xc328a121
	s_mov_b32 s8, 0x576dfcb6
	v_fmac_f64_e32 v[52:53], v[18:19], v[50:51]
	v_mov_b32_e32 v50, 0x660b4003
	v_mov_b32_e32 v51, 0x4363a94b
	s_mov_b32 s9, 0x40904522
	v_fmac_f64_e32 v[50:51], v[18:19], v[52:53]
	v_add_f64 v[38:39], v[38:39], s[8:9]
	v_mov_b32_e32 v52, 0xa907bc0c
	v_mov_b32_e32 v53, 0x41231b76
	v_fmac_f64_e32 v[52:53], v[18:19], v[38:39]
	v_mov_b32_e32 v38, 0x5164d101
	v_mov_b32_e32 v39, 0x41b00763
	v_fmac_f64_e32 v[38:39], v[18:19], v[52:53]
	v_mov_b32_e32 v52, 0x2b8664bc
	v_mov_b32_e32 v53, 0x42341ddb
	v_fmac_f64_e32 v[52:53], v[18:19], v[38:39]
	v_mov_b32_e32 v38, 0xc57e828e
	v_mov_b32_e32 v39, 0x42b275fc
	v_fmac_f64_e32 v[38:39], v[18:19], v[52:53]
	v_mov_b32_e32 v52, 0xdfeb596d
	v_mov_b32_e32 v53, 0x43268910
	v_fmac_f64_e32 v[52:53], v[18:19], v[38:39]
	v_mov_b32_e32 v38, 0xbcf9b5d0
	v_mov_b32_e32 v39, 0x438bd25f
	v_fmac_f64_e32 v[38:39], v[18:19], v[52:53]
	v_mov_b32_e32 v52, 0x5906367b
	v_mov_b32_e32 v53, 0xc3506d4b
	v_fmac_f64_e32 v[52:53], v[18:19], v[50:51]
	v_div_scale_f64 v[18:19], s[8:9], v[38:39], v[38:39], v[52:53]
	v_rcp_f64_e32 v[50:51], v[18:19]
	s_mov_b32 s8, 0x55555555
	s_mov_b32 s9, 0x3fe55555
	v_frexp_exp_i32_f64_e32 v49, v[10:11]
	v_fma_f64 v[54:55], -v[18:19], v[50:51], 1.0
	v_fmac_f64_e32 v[50:51], v[50:51], v[54:55]
	v_fma_f64 v[54:55], -v[18:19], v[50:51], 1.0
	v_fmac_f64_e32 v[50:51], v[50:51], v[54:55]
	v_div_scale_f64 v[54:55], vcc, v[52:53], v[38:39], v[52:53]
	v_mul_f64 v[64:65], v[54:55], v[50:51]
	v_fma_f64 v[18:19], -v[18:19], v[64:65], v[54:55]
	s_nop 1
	v_div_fmas_f64 v[18:19], v[18:19], v[50:51], v[64:65]
	v_div_fixup_f64 v[18:19], v[18:19], v[38:39], v[52:53]
	v_frexp_mant_f64_e32 v[38:39], v[10:11]
	v_mov_b32_e32 v50, 0x3ff00000
	v_cmp_gt_f64_e32 vcc, s[8:9], v[38:39]
	s_mov_b32 s8, 0xbf559e2b
	s_mov_b32 s9, 0x3fc3ab76
	v_cndmask_b32_e64 v51, v50, 2.0, vcc
	v_mov_b32_e32 v50, 0
	v_mul_f64 v[38:39], v[38:39], v[50:51]
	v_add_f64 v[50:51], v[38:39], 1.0
	v_rcp_f64_e32 v[52:53], v[50:51]
	v_add_f64 v[64:65], v[50:51], -1.0
	v_add_f64 v[54:55], v[38:39], -1.0
	v_add_f64 v[38:39], v[38:39], -v[64:65]
	v_fma_f64 v[64:65], -v[50:51], v[52:53], 1.0
	v_fmac_f64_e32 v[52:53], v[64:65], v[52:53]
	v_fma_f64 v[64:65], -v[50:51], v[52:53], 1.0
	v_fmac_f64_e32 v[52:53], v[64:65], v[52:53]
	v_mul_f64 v[64:65], v[54:55], v[52:53]
	v_mul_f64 v[66:67], v[50:51], v[64:65]
	v_fma_f64 v[50:51], v[64:65], v[50:51], -v[66:67]
	v_fmac_f64_e32 v[50:51], v[64:65], v[38:39]
	v_add_f64 v[38:39], v[66:67], v[50:51]
	v_add_f64 v[68:69], v[54:55], -v[38:39]
	v_add_f64 v[66:67], v[38:39], -v[66:67]
	;; [unrolled: 1-line block ×5, first 2 shown]
	v_add_f64 v[38:39], v[50:51], v[38:39]
	v_add_f64 v[38:39], v[68:69], v[38:39]
	v_mul_f64 v[38:39], v[52:53], v[38:39]
	v_add_f64 v[50:51], v[64:65], v[38:39]
	v_add_f64 v[52:53], v[50:51], -v[64:65]
	v_add_f64 v[38:39], v[38:39], -v[52:53]
	v_mul_f64 v[52:53], v[50:51], v[50:51]
	v_mov_b32_e32 v54, 0x6b47b09a
	v_mov_b32_e32 v55, 0x3fc38538
	v_fmac_f64_e32 v[54:55], s[8:9], v[52:53]
	v_mov_b32_e32 v64, 0xd7f4df2e
	v_mov_b32_e32 v65, 0x3fc7474d
	v_fmac_f64_e32 v[64:65], v[52:53], v[54:55]
	;; [unrolled: 3-line block ×6, first 2 shown]
	v_ldexp_f64 v[54:55], v[50:51], 1
	v_mul_f64 v[50:51], v[50:51], v[52:53]
	v_mul_f64 v[50:51], v[50:51], v[64:65]
	v_add_f64 v[52:53], v[54:55], v[50:51]
	v_add_f64 v[54:55], v[52:53], -v[54:55]
	v_ldexp_f64 v[38:39], v[38:39], 1
	v_add_f64 v[50:51], v[50:51], -v[54:55]
	v_add_f64 v[38:39], v[38:39], v[50:51]
	v_add_f64 v[50:51], v[52:53], v[38:39]
	v_subbrev_co_u32_e32 v49, vcc, 0, v49, vcc
	v_add_f64 v[52:53], v[50:51], -v[52:53]
	s_mov_b32 s8, 0xfefa39ef
	v_add_f64 v[38:39], v[38:39], -v[52:53]
	v_cvt_f64_i32_e32 v[52:53], v49
	s_mov_b32 s9, 0x3fe62e42
	v_mul_f64 v[54:55], v[52:53], s[8:9]
	v_fma_f64 v[64:65], v[52:53], s[8:9], -v[54:55]
	s_mov_b32 s8, 0x3b39803f
	s_mov_b32 s9, 0x3c7abc9e
	v_fmac_f64_e32 v[64:65], s[8:9], v[52:53]
	v_add_f64 v[52:53], v[54:55], v[64:65]
	v_add_f64 v[54:55], v[52:53], -v[54:55]
	v_add_f64 v[54:55], v[64:65], -v[54:55]
	v_add_f64 v[64:65], v[52:53], v[50:51]
	v_add_f64 v[66:67], v[64:65], -v[52:53]
	v_add_f64 v[68:69], v[64:65], -v[66:67]
	;; [unrolled: 1-line block ×4, first 2 shown]
	v_add_f64 v[50:51], v[50:51], v[52:53]
	v_add_f64 v[52:53], v[54:55], v[38:39]
	v_add_f64 v[66:67], v[52:53], -v[54:55]
	v_add_f64 v[68:69], v[52:53], -v[66:67]
	v_add_f64 v[50:51], v[52:53], v[50:51]
	v_add_f64 v[54:55], v[54:55], -v[68:69]
	v_add_f64 v[38:39], v[38:39], -v[66:67]
	v_add_f64 v[52:53], v[64:65], v[50:51]
	v_add_f64 v[38:39], v[38:39], v[54:55]
	v_add_f64 v[54:55], v[52:53], -v[64:65]
	v_add_f64 v[50:51], v[50:51], -v[54:55]
	v_add_f64 v[38:39], v[38:39], v[50:51]
	s_mov_b32 s8, 0x6dc9c883
	v_add_f64 v[38:39], v[52:53], v[38:39]
	s_mov_b32 s9, 0x3fe45f30
	v_mul_f64 v[38:39], v[38:39], s[8:9]
	v_fmac_f64_e32 v[18:19], v[38:39], v[20:21]
.LBB1_248:
	s_or_b64 exec, exec, s[6:7]
.LBB1_249:
	s_or_b64 exec, exec, s[4:5]
.LBB1_250:
	s_andn2_saveexec_b64 s[4:5], s[0:1]
	s_cbranch_execz .LBB1_260
; %bb.251:
	s_mov_b32 s9, 0xbfe921fb
	s_mov_b32 s8, 0x54442d18
	;; [unrolled: 1-line block ×3, first 2 shown]
	v_add_f64 v[18:19], v[10:11], s[8:9]
	s_mov_b32 s1, 0x41d00000
	v_cmp_nlt_f64_e64 s[6:7], |v[18:19]|, s[0:1]
	v_trig_preop_f64 v[66:67], |v[18:19]|, 0
	v_trig_preop_f64 v[64:65], |v[18:19]|, 1
	;; [unrolled: 1-line block ×3, first 2 shown]
                                        ; implicit-def: $vgpr49
                                        ; implicit-def: $vgpr20_vgpr21
                                        ; implicit-def: $vgpr38_vgpr39
	s_and_saveexec_b64 s[0:1], s[6:7]
	s_xor_b64 s[10:11], exec, s[0:1]
	s_cbranch_execz .LBB1_253
; %bb.252:
	s_mov_b32 s0, 0
	s_mov_b32 s1, 0x7b000000
	s_movk_i32 s9, 0xff80
	v_and_b32_e32 v38, 0x7fffffff, v19
	v_ldexp_f64 v[20:21], |v[18:19]|, s9
	v_cmp_ge_f64_e64 vcc, |v[18:19]|, s[0:1]
	s_mov_b32 s0, 0
	s_mov_b32 s1, 0x7ff00000
	v_cndmask_b32_e32 v21, v38, v21, vcc
	v_cndmask_b32_e32 v20, v18, v20, vcc
	v_mul_f64 v[50:51], v[66:67], v[20:21]
	v_mul_f64 v[38:39], v[64:65], v[20:21]
	v_fma_f64 v[52:53], v[66:67], v[20:21], -v[50:51]
	v_add_f64 v[68:69], v[38:39], v[52:53]
	v_add_f64 v[70:71], v[50:51], v[68:69]
	v_ldexp_f64 v[80:81], v[70:71], -2
	v_fract_f64_e32 v[82:83], v[80:81]
	v_cmp_neq_f64_e64 vcc, |v[80:81]|, s[0:1]
	v_add_f64 v[50:51], v[70:71], -v[50:51]
	v_add_f64 v[50:51], v[68:69], -v[50:51]
	v_cndmask_b32_e32 v81, 0, v83, vcc
	v_cndmask_b32_e32 v80, 0, v82, vcc
	v_add_f64 v[82:83], v[68:69], -v[38:39]
	v_add_f64 v[52:53], v[52:53], -v[82:83]
	;; [unrolled: 1-line block ×4, first 2 shown]
	v_add_f64 v[52:53], v[52:53], v[82:83]
	v_fma_f64 v[38:39], v[64:65], v[20:21], -v[38:39]
	v_mul_f64 v[82:83], v[54:55], v[20:21]
	v_add_f64 v[86:87], v[82:83], v[38:39]
	v_add_f64 v[96:97], v[86:87], v[52:53]
	v_add_f64 v[70:71], v[96:97], -v[86:87]
	v_add_f64 v[52:53], v[52:53], -v[70:71]
	;; [unrolled: 1-line block ×4, first 2 shown]
	v_add_f64 v[52:53], v[52:53], v[70:71]
	v_add_f64 v[70:71], v[86:87], -v[82:83]
	v_add_f64 v[38:39], v[38:39], -v[70:71]
	;; [unrolled: 1-line block ×4, first 2 shown]
	v_add_f64 v[68:69], v[50:51], v[96:97]
	v_add_f64 v[38:39], v[38:39], v[70:71]
	v_add_f64 v[50:51], v[68:69], -v[50:51]
	v_add_f64 v[38:39], v[38:39], v[52:53]
	v_fma_f64 v[20:21], v[54:55], v[20:21], -v[82:83]
	v_add_f64 v[50:51], v[96:97], -v[50:51]
	v_add_f64 v[20:21], v[20:21], v[38:39]
	v_ldexp_f64 v[38:39], v[80:81], 2
	v_add_f64 v[20:21], v[50:51], v[20:21]
	v_add_f64 v[50:51], v[68:69], v[38:39]
	v_mov_b32_e32 v49, 0x40100000
	v_cmp_gt_f64_e32 vcc, 0, v[50:51]
	v_mov_b32_e32 v84, 0
	s_mov_b32 s9, 0x3ff921fb
	v_cndmask_b32_e32 v85, 0, v49, vcc
	v_add_f64 v[38:39], v[38:39], v[84:85]
	v_add_f64 v[50:51], v[68:69], v[38:39]
	v_cvt_i32_f64_e32 v49, v[50:51]
	v_cvt_f64_i32_e32 v[50:51], v49
	v_add_f64 v[38:39], v[38:39], -v[50:51]
	v_add_f64 v[50:51], v[68:69], v[38:39]
	v_add_f64 v[38:39], v[50:51], -v[38:39]
	v_add_f64 v[38:39], v[68:69], -v[38:39]
	v_add_f64 v[20:21], v[20:21], v[38:39]
	v_cmp_le_f64_e32 vcc, 0.5, v[50:51]
	v_mov_b32_e32 v38, 0x3ff00000
	s_nop 0
	v_cndmask_b32_e32 v85, 0, v38, vcc
	v_add_f64 v[38:39], v[50:51], -v[84:85]
	v_add_f64 v[50:51], v[38:39], v[20:21]
	v_addc_co_u32_e64 v49, s[0:1], 0, v49, vcc
	v_add_f64 v[38:39], v[50:51], -v[38:39]
	v_add_f64 v[20:21], v[20:21], -v[38:39]
	v_mul_f64 v[38:39], v[50:51], s[8:9]
	s_mov_b32 s0, 0x33145c07
	v_fma_f64 v[52:53], v[50:51], s[8:9], -v[38:39]
	s_mov_b32 s1, 0x3c91a626
	v_fmac_f64_e32 v[52:53], s[0:1], v[50:51]
	v_fmac_f64_e32 v[52:53], s[8:9], v[20:21]
	v_add_f64 v[20:21], v[38:39], v[52:53]
	v_add_f64 v[38:39], v[20:21], -v[38:39]
	v_add_f64 v[38:39], v[52:53], -v[38:39]
	s_andn2_saveexec_b64 s[0:1], s[10:11]
	s_cbranch_execz .LBB1_255
	s_branch .LBB1_254
.LBB1_253:
	s_andn2_saveexec_b64 s[0:1], s[10:11]
	s_cbranch_execz .LBB1_255
.LBB1_254:
	s_mov_b32 s8, 0x6dc9c883
	s_mov_b32 s9, 0x3fe45f30
	v_mul_f64 v[20:21], |v[18:19]|, s[8:9]
	s_mov_b32 s8, 0x54442d18
	v_rndne_f64_e32 v[50:51], v[20:21]
	s_mov_b32 s9, 0xbff921fb
	v_fma_f64 v[20:21], v[50:51], s[8:9], |v[18:19]|
	s_mov_b32 s9, 0xbc91a626
	s_mov_b32 s8, 0x33145c00
	v_mul_f64 v[52:53], v[50:51], s[8:9]
	v_add_f64 v[70:71], v[20:21], v[52:53]
	v_fma_f64 v[38:39], s[8:9], v[50:51], v[20:21]
	s_mov_b32 s9, 0x3c91a626
	v_add_f64 v[20:21], v[20:21], -v[70:71]
	v_fma_f64 v[68:69], s[8:9], v[50:51], v[52:53]
	v_add_f64 v[20:21], v[20:21], v[52:53]
	v_add_f64 v[52:53], v[70:71], -v[38:39]
	v_add_f64 v[20:21], v[52:53], v[20:21]
	s_mov_b32 s8, 0x252049c0
	v_add_f64 v[52:53], v[20:21], -v[68:69]
	s_mov_b32 s9, 0xb97b839a
	v_fmac_f64_e32 v[52:53], s[8:9], v[50:51]
	v_add_f64 v[20:21], v[38:39], v[52:53]
	v_add_f64 v[38:39], v[20:21], -v[38:39]
	v_add_f64 v[38:39], v[52:53], -v[38:39]
	v_cvt_i32_f64_e32 v49, v[50:51]
.LBB1_255:
	s_or_b64 exec, exec, s[0:1]
                                        ; implicit-def: $vgpr68
                                        ; implicit-def: $vgpr50_vgpr51
                                        ; implicit-def: $vgpr52_vgpr53
	s_and_saveexec_b64 s[0:1], s[6:7]
	s_xor_b64 s[6:7], exec, s[0:1]
	s_cbranch_execz .LBB1_257
; %bb.256:
	s_mov_b32 s0, 0
	s_mov_b32 s1, 0x7b000000
	s_movk_i32 s8, 0xff80
	v_and_b32_e32 v52, 0x7fffffff, v19
	v_ldexp_f64 v[50:51], |v[18:19]|, s8
	v_cmp_ge_f64_e64 vcc, |v[18:19]|, s[0:1]
	s_mov_b32 s0, 0
	s_mov_b32 s1, 0x7ff00000
	v_cndmask_b32_e32 v51, v52, v51, vcc
	v_cndmask_b32_e32 v50, v18, v50, vcc
	v_mul_f64 v[68:69], v[66:67], v[50:51]
	v_mul_f64 v[52:53], v[64:65], v[50:51]
	v_fma_f64 v[66:67], v[66:67], v[50:51], -v[68:69]
	v_add_f64 v[70:71], v[52:53], v[66:67]
	v_add_f64 v[80:81], v[68:69], v[70:71]
	v_ldexp_f64 v[82:83], v[80:81], -2
	v_fract_f64_e32 v[84:85], v[82:83]
	v_cmp_neq_f64_e64 vcc, |v[82:83]|, s[0:1]
	v_add_f64 v[68:69], v[80:81], -v[68:69]
	v_add_f64 v[68:69], v[70:71], -v[68:69]
	v_cndmask_b32_e32 v83, 0, v85, vcc
	v_cndmask_b32_e32 v82, 0, v84, vcc
	v_add_f64 v[84:85], v[70:71], -v[52:53]
	v_add_f64 v[66:67], v[66:67], -v[84:85]
	;; [unrolled: 1-line block ×4, first 2 shown]
	v_fma_f64 v[52:53], v[64:65], v[50:51], -v[52:53]
	v_mul_f64 v[64:65], v[54:55], v[50:51]
	v_add_f64 v[66:67], v[66:67], v[84:85]
	v_add_f64 v[84:85], v[64:65], v[52:53]
	;; [unrolled: 1-line block ×3, first 2 shown]
	v_add_f64 v[80:81], v[96:97], -v[84:85]
	v_add_f64 v[66:67], v[66:67], -v[80:81]
	;; [unrolled: 1-line block ×4, first 2 shown]
	v_add_f64 v[66:67], v[66:67], v[80:81]
	v_add_f64 v[80:81], v[84:85], -v[64:65]
	v_add_f64 v[52:53], v[52:53], -v[80:81]
	;; [unrolled: 1-line block ×4, first 2 shown]
	v_add_f64 v[52:53], v[52:53], v[80:81]
	v_add_f64 v[52:53], v[52:53], v[66:67]
	v_fma_f64 v[50:51], v[54:55], v[50:51], -v[64:65]
	v_add_f64 v[70:71], v[68:69], v[96:97]
	v_add_f64 v[50:51], v[50:51], v[52:53]
	v_ldexp_f64 v[52:53], v[82:83], 2
	v_add_f64 v[54:55], v[70:71], v[52:53]
	v_mov_b32_e32 v64, 0x40100000
	v_cmp_gt_f64_e32 vcc, 0, v[54:55]
	v_mov_b32_e32 v86, 0
	v_add_f64 v[68:69], v[70:71], -v[68:69]
	v_cndmask_b32_e32 v87, 0, v64, vcc
	v_add_f64 v[52:53], v[52:53], v[86:87]
	v_add_f64 v[54:55], v[70:71], v[52:53]
	v_cvt_i32_f64_e32 v64, v[54:55]
	v_cvt_f64_i32_e32 v[54:55], v64
	v_add_f64 v[52:53], v[52:53], -v[54:55]
	v_add_f64 v[54:55], v[70:71], v[52:53]
	v_add_f64 v[68:69], v[96:97], -v[68:69]
	v_add_f64 v[52:53], v[54:55], -v[52:53]
	v_add_f64 v[50:51], v[68:69], v[50:51]
	v_add_f64 v[52:53], v[70:71], -v[52:53]
	v_add_f64 v[50:51], v[50:51], v[52:53]
	v_cmp_le_f64_e32 vcc, 0.5, v[54:55]
	v_mov_b32_e32 v52, 0x3ff00000
	s_mov_b32 s8, 0x33145c07
	v_cndmask_b32_e32 v87, 0, v52, vcc
	v_addc_co_u32_e64 v68, s[0:1], 0, v64, vcc
	v_add_f64 v[52:53], v[54:55], -v[86:87]
	v_add_f64 v[54:55], v[52:53], v[50:51]
	s_mov_b32 s0, 0x54442d18
	v_add_f64 v[52:53], v[54:55], -v[52:53]
	s_mov_b32 s1, 0x3ff921fb
	v_add_f64 v[50:51], v[50:51], -v[52:53]
	v_mul_f64 v[52:53], v[54:55], s[0:1]
	v_fma_f64 v[64:65], v[54:55], s[0:1], -v[52:53]
	s_mov_b32 s9, 0x3c91a626
	v_fmac_f64_e32 v[64:65], s[8:9], v[54:55]
	v_fmac_f64_e32 v[64:65], s[0:1], v[50:51]
	v_add_f64 v[50:51], v[52:53], v[64:65]
	v_add_f64 v[52:53], v[50:51], -v[52:53]
	v_add_f64 v[52:53], v[64:65], -v[52:53]
	s_andn2_saveexec_b64 s[0:1], s[6:7]
	s_cbranch_execnz .LBB1_258
	s_branch .LBB1_259
.LBB1_257:
	s_andn2_saveexec_b64 s[0:1], s[6:7]
	s_cbranch_execz .LBB1_259
.LBB1_258:
	s_mov_b32 s6, 0x6dc9c883
	s_mov_b32 s7, 0x3fe45f30
	v_mul_f64 v[50:51], |v[18:19]|, s[6:7]
	s_mov_b32 s6, 0x54442d18
	v_rndne_f64_e32 v[54:55], v[50:51]
	s_mov_b32 s7, 0xbff921fb
	v_fma_f64 v[50:51], v[54:55], s[6:7], |v[18:19]|
	s_mov_b32 s7, 0xbc91a626
	s_mov_b32 s6, 0x33145c00
	v_mul_f64 v[64:65], v[54:55], s[6:7]
	v_add_f64 v[68:69], v[50:51], v[64:65]
	v_fma_f64 v[52:53], s[6:7], v[54:55], v[50:51]
	s_mov_b32 s7, 0x3c91a626
	v_add_f64 v[50:51], v[50:51], -v[68:69]
	v_fma_f64 v[66:67], s[6:7], v[54:55], v[64:65]
	v_add_f64 v[50:51], v[50:51], v[64:65]
	v_add_f64 v[64:65], v[68:69], -v[52:53]
	v_add_f64 v[50:51], v[64:65], v[50:51]
	s_mov_b32 s6, 0x252049c0
	v_add_f64 v[64:65], v[50:51], -v[66:67]
	s_mov_b32 s7, 0xb97b839a
	v_fmac_f64_e32 v[64:65], s[6:7], v[54:55]
	v_add_f64 v[50:51], v[52:53], v[64:65]
	v_add_f64 v[52:53], v[50:51], -v[52:53]
	v_add_f64 v[52:53], v[64:65], -v[52:53]
	v_cvt_i32_f64_e32 v68, v[54:55]
.LBB1_259:
	s_or_b64 exec, exec, s[0:1]
	s_mov_b32 s0, 0
	v_mul_f64 v[54:55], v[10:11], v[10:11]
	s_mov_b32 s1, 0x40390000
	v_div_scale_f64 v[64:65], s[6:7], v[54:55], v[54:55], s[0:1]
	v_rcp_f64_e32 v[66:67], v[64:65]
	v_mov_b32_e32 v82, 0xb1759c7f
	v_mov_b32_e32 v83, 0x408ac370
	;; [unrolled: 1-line block ×3, first 2 shown]
	v_fma_f64 v[70:71], -v[64:65], v[66:67], 1.0
	v_fmac_f64_e32 v[66:67], v[66:67], v[70:71]
	v_fma_f64 v[70:71], -v[64:65], v[66:67], 1.0
	v_fmac_f64_e32 v[66:67], v[66:67], v[70:71]
	v_div_scale_f64 v[70:71], vcc, s[0:1], v[54:55], s[0:1]
	v_mul_f64 v[80:81], v[70:71], v[66:67]
	v_fma_f64 v[64:65], -v[64:65], v[80:81], v[70:71]
	v_mov_b32_e32 v70, 0xab5454e3
	s_nop 0
	v_div_fmas_f64 v[64:65], v[64:65], v[66:67], v[80:81]
	v_div_fixup_f64 v[54:55], v[64:65], v[54:55], s[0:1]
	v_mov_b32_e32 v64, 0x983b6b27
	v_mov_b32_e32 v65, 0x3f4a1d30
	v_fmac_f64_e32 v[64:65], 0, v[54:55]
	v_mov_b32_e32 v66, 0xb35dd1cf
	v_mov_b32_e32 v67, 0x3fb534b0
	v_fmac_f64_e32 v[66:67], v[54:55], v[64:65]
	;; [unrolled: 3-line block ×7, first 2 shown]
	v_mov_b32_e32 v71, 0x3fb5ebc5
	v_fmac_f64_e32 v[70:71], v[54:55], v[64:65]
	v_mov_b32_e32 v64, 0xc9b3069f
	v_mov_b32_e32 v65, 0x3ff40e72
	v_fmac_f64_e32 v[64:65], v[54:55], v[70:71]
	v_mov_b32_e32 v70, 0xe68162bb
	;; [unrolled: 3-line block ×4, first 2 shown]
	v_mov_b32_e32 v71, 0x40153965
	v_fmac_f64_e32 v[70:71], v[54:55], v[64:65]
	v_fma_f64 v[64:65], v[54:55], v[70:71], 1.0
	v_mov_b32_e32 v70, 0x38a5384a
	v_mov_b32_e32 v71, 0xbf874742
	v_fmac_f64_e32 v[70:71], 0, v[54:55]
	v_mov_b32_e32 v80, 0x3a321174
	v_mov_b32_e32 v81, 0xbff4853b
	v_fmac_f64_e32 v[80:81], v[54:55], v[70:71]
	;; [unrolled: 3-line block ×9, first 2 shown]
	v_fmac_f64_e32 v[82:83], v[54:55], v[70:71]
	v_mov_b32_e32 v70, 0xbd748cb5
	v_mov_b32_e32 v71, 0x40ae54cd
	v_fmac_f64_e32 v[70:71], v[54:55], v[82:83]
	v_mov_b32_e32 v82, 0xbdefd63e
	v_mov_b32_e32 v83, 0x40bc4877
	;; [unrolled: 3-line block ×4, first 2 shown]
	v_fma_f64 v[66:67], v[54:55], v[66:67], 1.0
	v_fmac_f64_e32 v[82:83], v[54:55], v[70:71]
	v_div_scale_f64 v[70:71], s[0:1], v[64:65], v[64:65], v[66:67]
	v_rcp_f64_e32 v[84:85], v[70:71]
	v_mov_b32_e32 v87, 0x406e402f
	v_fmac_f64_e32 v[86:87], v[54:55], v[82:83]
	s_mov_b32 s0, 0x9037ab78
	v_fma_f64 v[54:55], -v[70:71], v[84:85], 1.0
	v_fmac_f64_e32 v[84:85], v[84:85], v[54:55]
	v_fma_f64 v[54:55], -v[70:71], v[84:85], 1.0
	v_fmac_f64_e32 v[84:85], v[84:85], v[54:55]
	v_div_scale_f64 v[54:55], vcc, v[66:67], v[64:65], v[66:67]
	v_mul_f64 v[82:83], v[54:55], v[84:85]
	v_fma_f64 v[54:55], -v[70:71], v[82:83], v[54:55]
	s_mov_b32 s1, 0x3e21eeb6
	s_nop 0
	v_div_fmas_f64 v[54:55], v[54:55], v[84:85], v[82:83]
	s_mov_b32 s6, 0x46cc5e42
	v_div_fixup_f64 v[54:55], v[54:55], v[64:65], v[66:67]
	v_mul_f64 v[64:65], v[20:21], v[20:21]
	s_mov_b32 s7, 0xbda907db
	v_mov_b64_e32 v[84:85], s[0:1]
	s_mov_b32 s8, 0xa17f65f6
	v_mul_f64 v[66:67], v[64:65], 0.5
	v_fma_f64 v[96:97], s[6:7], v[64:65], v[84:85]
	s_mov_b32 s9, 0xbe927e4f
	s_mov_b32 s10, 0x19f4ec90
	v_add_f64 v[70:71], -v[66:67], 1.0
	v_fma_f64 v[96:97], v[64:65], v[96:97], s[8:9]
	s_mov_b32 s11, 0x3efa01a0
	s_mov_b32 s12, 0x16c16967
	v_add_f64 v[82:83], -v[70:71], 1.0
	v_fma_f64 v[96:97], v[64:65], v[96:97], s[10:11]
	s_mov_b32 s13, 0xbf56c16c
	s_mov_b32 s14, 0x55555555
	v_add_f64 v[66:67], v[82:83], -v[66:67]
	v_fma_f64 v[96:97], v[64:65], v[96:97], s[12:13]
	s_mov_b32 s15, 0x3fa55555
	v_mul_f64 v[82:83], v[64:65], v[64:65]
	v_fma_f64 v[96:97], v[64:65], v[96:97], s[14:15]
	v_fma_f64 v[66:67], v[20:21], -v[38:39], v[66:67]
	s_mov_b32 s0, 0xb42fdfa7
	v_fmac_f64_e32 v[66:67], v[82:83], v[96:97]
	s_mov_b32 s1, 0xbe5ae600
	s_mov_b32 s16, 0xf9a43bb8
	v_add_f64 v[66:67], v[70:71], v[66:67]
	s_mov_b32 s17, 0x3de5e0b2
	v_mov_b64_e32 v[70:71], s[0:1]
	s_mov_b32 s18, 0x796cde01
	v_fma_f64 v[82:83], s[16:17], v[64:65], v[70:71]
	s_mov_b32 s19, 0x3ec71de3
	s_mov_b32 s20, 0x19e83e5c
	v_fma_f64 v[82:83], v[64:65], v[82:83], s[18:19]
	s_mov_b32 s21, 0xbf2a01a0
	;; [unrolled: 3-line block ×3, first 2 shown]
	v_fma_f64 v[82:83], v[64:65], v[82:83], s[22:23]
	v_mul_f64 v[96:97], v[20:21], -v[64:65]
	v_mul_f64 v[98:99], v[38:39], 0.5
	v_fmac_f64_e32 v[98:99], v[96:97], v[82:83]
	v_fma_f64 v[38:39], v[64:65], v[98:99], -v[38:39]
	s_mov_b32 s25, 0xbfc55555
	s_mov_b32 s24, s14
	v_fmac_f64_e32 v[38:39], s[24:25], v[96:97]
	v_add_f64 v[20:21], v[20:21], -v[38:39]
	v_and_b32_e32 v38, 1, v49
	v_cmp_eq_u32_e32 vcc, 0, v38
	s_mov_b32 s26, 0
	s_mov_b32 s27, 0x40140000
	v_cndmask_b32_e32 v64, v66, v20, vcc
	v_cndmask_b32_e32 v20, v67, v21, vcc
	v_lshlrev_b32_e32 v21, 30, v49
	v_xor_b32_e32 v21, v21, v19
	v_and_b32_e32 v21, 0x80000000, v21
	v_xor_b32_e32 v49, v20, v21
	v_div_scale_f64 v[20:21], s[0:1], v[10:11], v[10:11], s[26:27]
	v_rcp_f64_e32 v[38:39], v[20:21]
	s_movk_i32 s28, 0x1f8
	v_cmp_class_f64_e64 s[0:1], v[18:19], s28
	v_mov_b32_e32 v69, 0x7ff80000
	s_nop 0
	v_cndmask_b32_e64 v18, 0, v64, s[0:1]
	v_fma_f64 v[64:65], -v[20:21], v[38:39], 1.0
	v_fmac_f64_e32 v[38:39], v[38:39], v[64:65]
	v_fma_f64 v[64:65], -v[20:21], v[38:39], 1.0
	v_fmac_f64_e32 v[38:39], v[38:39], v[64:65]
	v_div_scale_f64 v[64:65], vcc, s[26:27], v[10:11], s[26:27]
	v_mul_f64 v[66:67], v[64:65], v[38:39]
	v_fma_f64 v[20:21], -v[20:21], v[66:67], v[64:65]
	v_div_scale_f64 v[64:65], s[28:29], v[86:87], v[86:87], v[80:81]
	v_rcp_f64_e32 v[82:83], v[64:65]
	v_div_fmas_f64 v[20:21], v[20:21], v[38:39], v[66:67]
	v_div_fixup_f64 v[20:21], v[20:21], v[10:11], s[26:27]
	v_cndmask_b32_e64 v19, v69, v49, s[0:1]
	v_fma_f64 v[38:39], -v[64:65], v[82:83], 1.0
	v_fmac_f64_e32 v[82:83], v[82:83], v[38:39]
	v_fma_f64 v[38:39], -v[64:65], v[82:83], 1.0
	v_fmac_f64_e32 v[82:83], v[82:83], v[38:39]
	v_div_scale_f64 v[38:39], vcc, v[80:81], v[86:87], v[80:81]
	v_mul_f64 v[66:67], v[38:39], v[82:83]
	v_fma_f64 v[38:39], -v[64:65], v[66:67], v[38:39]
	v_and_b32_e32 v49, 1, v68
	s_nop 0
	v_div_fmas_f64 v[38:39], v[38:39], v[82:83], v[66:67]
	v_div_fixup_f64 v[38:39], v[38:39], v[86:87], v[80:81]
	v_mul_f64 v[20:21], v[20:21], v[38:39]
	v_mul_f64 v[38:39], v[50:51], v[50:51]
	v_mul_f64 v[64:65], v[38:39], 0.5
	v_fmac_f64_e32 v[84:85], s[6:7], v[38:39]
	v_add_f64 v[66:67], -v[64:65], 1.0
	v_fma_f64 v[82:83], v[38:39], v[84:85], s[8:9]
	v_add_f64 v[80:81], -v[66:67], 1.0
	v_fma_f64 v[82:83], v[38:39], v[82:83], s[10:11]
	v_add_f64 v[64:65], v[80:81], -v[64:65]
	v_fma_f64 v[82:83], v[38:39], v[82:83], s[12:13]
	v_mul_f64 v[80:81], v[38:39], v[38:39]
	v_fma_f64 v[82:83], v[38:39], v[82:83], s[14:15]
	v_fma_f64 v[64:65], v[50:51], -v[52:53], v[64:65]
	v_fmac_f64_e32 v[64:65], v[80:81], v[82:83]
	v_fmac_f64_e32 v[70:71], s[16:17], v[38:39]
	v_add_f64 v[64:65], v[66:67], v[64:65]
	v_fma_f64 v[66:67], v[38:39], v[70:71], s[18:19]
	v_fma_f64 v[66:67], v[38:39], v[66:67], s[20:21]
	;; [unrolled: 1-line block ×3, first 2 shown]
	v_mul_f64 v[70:71], v[50:51], -v[38:39]
	v_mul_f64 v[80:81], v[52:53], 0.5
	v_fmac_f64_e32 v[80:81], v[70:71], v[66:67]
	v_fma_f64 v[38:39], v[38:39], v[80:81], -v[52:53]
	v_fmac_f64_e32 v[38:39], s[24:25], v[70:71]
	v_add_f64 v[38:39], v[50:51], -v[38:39]
	v_xor_b32_e32 v39, 0x80000000, v39
	v_cmp_eq_u32_e32 vcc, 0, v49
	v_lshlrev_b32_e32 v49, 30, v68
	v_and_b32_e32 v49, 0x80000000, v49
	v_cndmask_b32_e32 v39, v39, v65, vcc
	v_cndmask_b32_e32 v38, v38, v64, vcc
	v_xor_b32_e32 v39, v39, v49
	v_cndmask_b32_e64 v38, 0, v38, s[0:1]
	v_cndmask_b32_e64 v39, v69, v39, s[0:1]
	s_mov_b32 s0, 0
	s_brev_b32 s1, 8
	v_mul_f64 v[20:21], v[20:21], v[38:39]
	v_cmp_gt_f64_e32 vcc, s[0:1], v[10:11]
	v_fmac_f64_e32 v[20:21], v[54:55], v[18:19]
	s_mov_b32 s0, 0x33d43651
	v_cndmask_b32_e64 v18, 0, 1, vcc
	v_lshlrev_b32_e32 v18, 8, v18
	v_ldexp_f64 v[10:11], v[10:11], v18
	v_rsq_f64_e32 v[18:19], v[10:11]
	s_mov_b32 s1, 0x3fe98845
	v_mul_f64 v[20:21], v[20:21], s[0:1]
	v_mul_f64 v[38:39], v[10:11], v[18:19]
	v_mul_f64 v[18:19], v[18:19], 0.5
	v_fma_f64 v[50:51], -v[18:19], v[38:39], 0.5
	v_fmac_f64_e32 v[38:39], v[38:39], v[50:51]
	v_fma_f64 v[52:53], -v[38:39], v[38:39], v[10:11]
	v_fmac_f64_e32 v[18:19], v[18:19], v[50:51]
	v_fmac_f64_e32 v[38:39], v[52:53], v[18:19]
	v_fma_f64 v[50:51], -v[38:39], v[38:39], v[10:11]
	v_fmac_f64_e32 v[38:39], v[50:51], v[18:19]
	v_mov_b32_e32 v18, 0xffffff80
	v_cndmask_b32_e32 v18, 0, v18, vcc
	v_ldexp_f64 v[18:19], v[38:39], v18
	v_mov_b32_e32 v38, 0x260
	v_cmp_class_f64_e32 vcc, v[10:11], v38
	s_nop 1
	v_cndmask_b32_e32 v11, v19, v11, vcc
	v_cndmask_b32_e32 v10, v18, v10, vcc
	v_div_scale_f64 v[18:19], s[0:1], v[10:11], v[10:11], v[20:21]
	v_rcp_f64_e32 v[38:39], v[18:19]
	s_nop 0
	v_fma_f64 v[50:51], -v[18:19], v[38:39], 1.0
	v_fmac_f64_e32 v[38:39], v[38:39], v[50:51]
	v_fma_f64 v[50:51], -v[18:19], v[38:39], 1.0
	v_fmac_f64_e32 v[38:39], v[38:39], v[50:51]
	v_div_scale_f64 v[50:51], vcc, v[20:21], v[10:11], v[20:21]
	v_mul_f64 v[52:53], v[50:51], v[38:39]
	v_fma_f64 v[18:19], -v[18:19], v[52:53], v[50:51]
	s_nop 1
	v_div_fmas_f64 v[18:19], v[18:19], v[38:39], v[52:53]
	v_div_fixup_f64 v[18:19], v[18:19], v[10:11], v[20:21]
.LBB1_260:
	s_or_b64 exec, exec, s[4:5]
	s_mov_b32 s0, 0
	s_mov_b32 s1, 0x40140000
	v_cmp_ge_f64_e32 vcc, s[0:1], v[12:13]
	s_and_saveexec_b64 s[0:1], vcc
	s_xor_b64 s[0:1], exec, s[0:1]
	s_cbranch_execz .LBB1_270
; %bb.261:
	v_mov_b32_e32 v20, 0
	v_cmp_neq_f64_e32 vcc, 0, v[12:13]
	v_mov_b32_e32 v21, 0xfff00000
	s_and_saveexec_b64 s[4:5], vcc
	s_cbranch_execz .LBB1_269
; %bb.262:
	v_mov_b32_e32 v20, 0
	v_cmp_ngt_f64_e32 vcc, 0, v[12:13]
	v_mov_b32_e32 v21, 0x7ff80000
	s_and_saveexec_b64 s[6:7], vcc
	s_cbranch_execz .LBB1_268
; %bb.263:
	s_mov_b32 s8, 0x88e368f1
	v_mul_f64 v[20:21], v[12:13], v[12:13]
	s_mov_b32 s9, 0x3ee4f8b5
	v_mul_f64 v[38:39], v[20:21], 0
	v_cmp_ngt_f64_e32 vcc, s[8:9], v[12:13]
                                        ; implicit-def: $vgpr10_vgpr11
	s_and_saveexec_b64 s[8:9], vcc
	s_xor_b64 s[8:9], exec, s[8:9]
	s_cbranch_execz .LBB1_265
; %bb.264:
	s_mov_b32 s10, 0xad1c8325
	s_mov_b32 s11, 0xc1f1dc53
	v_add_f64 v[10:11], v[38:39], s[10:11]
	v_mov_b32_e32 v50, 0xc772990d
	v_mov_b32_e32 v51, 0x427c7751
	s_mov_b32 s10, 0xa696b78c
	v_fmac_f64_e32 v[50:51], v[20:21], v[10:11]
	v_mov_b32_e32 v10, 0xe0d900f7
	v_mov_b32_e32 v11, 0xc2ec5614
	s_mov_b32 s11, 0x407f3902
	v_fmac_f64_e32 v[10:11], v[20:21], v[50:51]
	v_add_f64 v[50:51], v[38:39], s[10:11]
	v_mov_b32_e32 v52, 0x36a21a67
	v_mov_b32_e32 v53, 0x410536cb
	v_fmac_f64_e32 v[52:53], v[20:21], v[50:51]
	v_mov_b32_e32 v50, 0x2eac0634
	v_mov_b32_e32 v51, 0x41871934
	v_fmac_f64_e32 v[50:51], v[20:21], v[52:53]
	;; [unrolled: 3-line block ×6, first 2 shown]
	v_mov_b32_e32 v52, 0xc7b662cc
	v_mov_b32_e32 v53, 0x43b7be34
	s_mov_b32 s10, 0x80462bbb
	v_fmac_f64_e32 v[52:53], v[20:21], v[50:51]
	v_mov_b32_e32 v50, 0x69ff5fb4
	v_mov_b32_e32 v51, 0x43413ef8
	s_mov_b32 s11, 0xc01721fb
	v_fmac_f64_e32 v[50:51], v[20:21], v[10:11]
	v_add_f64 v[10:11], v[20:21], s[10:11]
	s_mov_b32 s10, 0xa621dd6f
	s_mov_b32 s11, 0xc03e78a4
	v_add_f64 v[54:55], v[20:21], s[10:11]
	v_mul_f64 v[10:11], v[10:11], v[54:55]
	v_mul_f64 v[10:11], v[10:11], v[50:51]
	v_div_scale_f64 v[50:51], s[10:11], v[52:53], v[52:53], v[10:11]
	v_rcp_f64_e32 v[54:55], v[50:51]
	s_nop 0
	v_fma_f64 v[64:65], -v[50:51], v[54:55], 1.0
	v_fmac_f64_e32 v[54:55], v[54:55], v[64:65]
	v_fma_f64 v[64:65], -v[50:51], v[54:55], 1.0
	v_fmac_f64_e32 v[54:55], v[54:55], v[64:65]
	v_div_scale_f64 v[64:65], vcc, v[10:11], v[52:53], v[10:11]
	v_mul_f64 v[66:67], v[64:65], v[54:55]
	v_fma_f64 v[50:51], -v[50:51], v[66:67], v[64:65]
	s_nop 1
	v_div_fmas_f64 v[50:51], v[50:51], v[54:55], v[66:67]
	v_div_fixup_f64 v[10:11], v[50:51], v[52:53], v[10:11]
.LBB1_265:
	s_andn2_saveexec_b64 s[8:9], s[8:9]
; %bb.266:
	s_mov_b32 s10, 0
	s_mov_b32 s11, 0xbfd00000
	v_fma_f64 v[10:11], v[20:21], s[10:11], 1.0
; %bb.267:
	s_or_b64 exec, exec, s[8:9]
	s_mov_b32 s8, 0xe896898f
	s_mov_b32 s9, 0x40ce7437
	v_add_f64 v[50:51], v[38:39], s[8:9]
	v_mov_b32_e32 v52, 0x32e48896
	v_mov_b32_e32 v53, 0xc16bf81f
	v_fmac_f64_e32 v[52:53], v[20:21], v[50:51]
	v_mov_b32_e32 v50, 0xf0284cdd
	v_mov_b32_e32 v51, 0x41f43f78
	v_fmac_f64_e32 v[50:51], v[20:21], v[52:53]
	;; [unrolled: 3-line block ×4, first 2 shown]
	v_mov_b32_e32 v52, 0xd1d8cc02
	v_mov_b32_e32 v53, 0xc328a121
	s_mov_b32 s8, 0x576dfcb6
	v_fmac_f64_e32 v[52:53], v[20:21], v[50:51]
	v_mov_b32_e32 v50, 0x660b4003
	v_mov_b32_e32 v51, 0x4363a94b
	s_mov_b32 s9, 0x40904522
	v_fmac_f64_e32 v[50:51], v[20:21], v[52:53]
	v_add_f64 v[38:39], v[38:39], s[8:9]
	v_mov_b32_e32 v52, 0xa907bc0c
	v_mov_b32_e32 v53, 0x41231b76
	v_fmac_f64_e32 v[52:53], v[20:21], v[38:39]
	v_mov_b32_e32 v38, 0x5164d101
	v_mov_b32_e32 v39, 0x41b00763
	v_fmac_f64_e32 v[38:39], v[20:21], v[52:53]
	;; [unrolled: 3-line block ×7, first 2 shown]
	v_div_scale_f64 v[20:21], s[8:9], v[38:39], v[38:39], v[52:53]
	v_rcp_f64_e32 v[50:51], v[20:21]
	s_mov_b32 s8, 0x55555555
	v_frexp_exp_i32_f64_e32 v49, v[12:13]
	v_frexp_mant_f64_e32 v[12:13], v[12:13]
	v_fma_f64 v[54:55], -v[20:21], v[50:51], 1.0
	v_fmac_f64_e32 v[50:51], v[50:51], v[54:55]
	v_fma_f64 v[54:55], -v[20:21], v[50:51], 1.0
	v_fmac_f64_e32 v[50:51], v[50:51], v[54:55]
	v_div_scale_f64 v[54:55], vcc, v[52:53], v[38:39], v[52:53]
	v_mul_f64 v[64:65], v[54:55], v[50:51]
	v_fma_f64 v[20:21], -v[20:21], v[64:65], v[54:55]
	s_mov_b32 s9, 0x3fe55555
	s_nop 0
	v_div_fmas_f64 v[20:21], v[20:21], v[50:51], v[64:65]
	v_div_fixup_f64 v[20:21], v[20:21], v[38:39], v[52:53]
	v_mov_b32_e32 v38, 0x3ff00000
	v_cmp_gt_f64_e32 vcc, s[8:9], v[12:13]
	s_mov_b32 s8, 0xbf559e2b
	s_mov_b32 s9, 0x3fc3ab76
	v_cndmask_b32_e64 v39, v38, 2.0, vcc
	v_mov_b32_e32 v38, 0
	v_mul_f64 v[12:13], v[12:13], v[38:39]
	v_add_f64 v[38:39], v[12:13], 1.0
	v_rcp_f64_e32 v[50:51], v[38:39]
	v_add_f64 v[54:55], v[38:39], -1.0
	v_add_f64 v[52:53], v[12:13], -1.0
	v_add_f64 v[12:13], v[12:13], -v[54:55]
	v_fma_f64 v[54:55], -v[38:39], v[50:51], 1.0
	v_fmac_f64_e32 v[50:51], v[54:55], v[50:51]
	v_fma_f64 v[54:55], -v[38:39], v[50:51], 1.0
	v_fmac_f64_e32 v[50:51], v[54:55], v[50:51]
	v_mul_f64 v[54:55], v[52:53], v[50:51]
	v_mul_f64 v[64:65], v[38:39], v[54:55]
	v_fma_f64 v[38:39], v[54:55], v[38:39], -v[64:65]
	v_fmac_f64_e32 v[38:39], v[54:55], v[12:13]
	v_add_f64 v[12:13], v[64:65], v[38:39]
	v_add_f64 v[66:67], v[52:53], -v[12:13]
	v_add_f64 v[64:65], v[12:13], -v[64:65]
	;; [unrolled: 1-line block ×5, first 2 shown]
	v_add_f64 v[12:13], v[38:39], v[12:13]
	v_add_f64 v[12:13], v[66:67], v[12:13]
	v_mul_f64 v[12:13], v[50:51], v[12:13]
	v_add_f64 v[38:39], v[54:55], v[12:13]
	v_add_f64 v[50:51], v[38:39], -v[54:55]
	v_add_f64 v[12:13], v[12:13], -v[50:51]
	v_mul_f64 v[50:51], v[38:39], v[38:39]
	v_mov_b32_e32 v52, 0x6b47b09a
	v_mov_b32_e32 v53, 0x3fc38538
	v_fmac_f64_e32 v[52:53], s[8:9], v[50:51]
	v_mov_b32_e32 v54, 0xd7f4df2e
	v_mov_b32_e32 v55, 0x3fc7474d
	v_fmac_f64_e32 v[54:55], v[50:51], v[52:53]
	;; [unrolled: 3-line block ×6, first 2 shown]
	v_ldexp_f64 v[52:53], v[38:39], 1
	v_mul_f64 v[38:39], v[38:39], v[50:51]
	v_mul_f64 v[38:39], v[38:39], v[54:55]
	v_add_f64 v[50:51], v[52:53], v[38:39]
	v_add_f64 v[52:53], v[50:51], -v[52:53]
	v_ldexp_f64 v[12:13], v[12:13], 1
	v_add_f64 v[38:39], v[38:39], -v[52:53]
	v_add_f64 v[12:13], v[12:13], v[38:39]
	v_add_f64 v[38:39], v[50:51], v[12:13]
	v_subbrev_co_u32_e32 v49, vcc, 0, v49, vcc
	v_add_f64 v[50:51], v[38:39], -v[50:51]
	s_mov_b32 s8, 0xfefa39ef
	v_add_f64 v[12:13], v[12:13], -v[50:51]
	v_cvt_f64_i32_e32 v[50:51], v49
	s_mov_b32 s9, 0x3fe62e42
	v_mul_f64 v[52:53], v[50:51], s[8:9]
	v_fma_f64 v[54:55], v[50:51], s[8:9], -v[52:53]
	s_mov_b32 s8, 0x3b39803f
	s_mov_b32 s9, 0x3c7abc9e
	v_fmac_f64_e32 v[54:55], s[8:9], v[50:51]
	v_add_f64 v[50:51], v[52:53], v[54:55]
	v_add_f64 v[52:53], v[50:51], -v[52:53]
	v_add_f64 v[52:53], v[54:55], -v[52:53]
	v_add_f64 v[54:55], v[50:51], v[38:39]
	v_add_f64 v[64:65], v[54:55], -v[50:51]
	v_add_f64 v[66:67], v[54:55], -v[64:65]
	;; [unrolled: 1-line block ×4, first 2 shown]
	v_add_f64 v[38:39], v[38:39], v[50:51]
	v_add_f64 v[50:51], v[52:53], v[12:13]
	v_add_f64 v[64:65], v[50:51], -v[52:53]
	v_add_f64 v[66:67], v[50:51], -v[64:65]
	v_add_f64 v[38:39], v[50:51], v[38:39]
	v_add_f64 v[52:53], v[52:53], -v[66:67]
	v_add_f64 v[12:13], v[12:13], -v[64:65]
	v_add_f64 v[50:51], v[54:55], v[38:39]
	v_add_f64 v[12:13], v[12:13], v[52:53]
	v_add_f64 v[52:53], v[50:51], -v[54:55]
	v_add_f64 v[38:39], v[38:39], -v[52:53]
	v_add_f64 v[12:13], v[12:13], v[38:39]
	s_mov_b32 s8, 0x6dc9c883
	v_add_f64 v[12:13], v[50:51], v[12:13]
	s_mov_b32 s9, 0x3fe45f30
	v_mul_f64 v[12:13], v[12:13], s[8:9]
	v_fmac_f64_e32 v[20:21], v[12:13], v[10:11]
.LBB1_268:
	s_or_b64 exec, exec, s[6:7]
.LBB1_269:
	s_or_b64 exec, exec, s[4:5]
                                        ; implicit-def: $vgpr12_vgpr13
.LBB1_270:
	s_andn2_saveexec_b64 s[4:5], s[0:1]
	s_cbranch_execz .LBB1_280
; %bb.271:
	s_mov_b32 s9, 0xbfe921fb
	s_mov_b32 s8, 0x54442d18
	;; [unrolled: 1-line block ×3, first 2 shown]
	v_add_f64 v[10:11], v[12:13], s[8:9]
	s_mov_b32 s1, 0x41d00000
	v_cmp_nlt_f64_e64 s[6:7], |v[10:11]|, s[0:1]
	v_trig_preop_f64 v[66:67], |v[10:11]|, 0
	v_trig_preop_f64 v[64:65], |v[10:11]|, 1
	;; [unrolled: 1-line block ×3, first 2 shown]
                                        ; implicit-def: $vgpr49
                                        ; implicit-def: $vgpr20_vgpr21
                                        ; implicit-def: $vgpr38_vgpr39
	s_and_saveexec_b64 s[0:1], s[6:7]
	s_xor_b64 s[10:11], exec, s[0:1]
	s_cbranch_execz .LBB1_273
; %bb.272:
	s_mov_b32 s0, 0
	s_mov_b32 s1, 0x7b000000
	s_movk_i32 s9, 0xff80
	v_and_b32_e32 v38, 0x7fffffff, v11
	v_ldexp_f64 v[20:21], |v[10:11]|, s9
	v_cmp_ge_f64_e64 vcc, |v[10:11]|, s[0:1]
	s_mov_b32 s0, 0
	s_mov_b32 s1, 0x7ff00000
	v_cndmask_b32_e32 v21, v38, v21, vcc
	v_cndmask_b32_e32 v20, v10, v20, vcc
	v_mul_f64 v[50:51], v[66:67], v[20:21]
	v_mul_f64 v[38:39], v[64:65], v[20:21]
	v_fma_f64 v[52:53], v[66:67], v[20:21], -v[50:51]
	v_add_f64 v[68:69], v[38:39], v[52:53]
	v_add_f64 v[70:71], v[50:51], v[68:69]
	v_ldexp_f64 v[80:81], v[70:71], -2
	v_fract_f64_e32 v[82:83], v[80:81]
	v_cmp_neq_f64_e64 vcc, |v[80:81]|, s[0:1]
	v_add_f64 v[50:51], v[70:71], -v[50:51]
	v_add_f64 v[50:51], v[68:69], -v[50:51]
	v_cndmask_b32_e32 v81, 0, v83, vcc
	v_cndmask_b32_e32 v80, 0, v82, vcc
	v_add_f64 v[82:83], v[68:69], -v[38:39]
	v_add_f64 v[52:53], v[52:53], -v[82:83]
	;; [unrolled: 1-line block ×4, first 2 shown]
	v_add_f64 v[52:53], v[52:53], v[82:83]
	v_fma_f64 v[38:39], v[64:65], v[20:21], -v[38:39]
	v_mul_f64 v[82:83], v[54:55], v[20:21]
	v_add_f64 v[86:87], v[82:83], v[38:39]
	v_add_f64 v[96:97], v[86:87], v[52:53]
	v_add_f64 v[70:71], v[96:97], -v[86:87]
	v_add_f64 v[52:53], v[52:53], -v[70:71]
	;; [unrolled: 1-line block ×4, first 2 shown]
	v_add_f64 v[52:53], v[52:53], v[70:71]
	v_add_f64 v[70:71], v[86:87], -v[82:83]
	v_add_f64 v[38:39], v[38:39], -v[70:71]
	;; [unrolled: 1-line block ×4, first 2 shown]
	v_add_f64 v[68:69], v[50:51], v[96:97]
	v_add_f64 v[38:39], v[38:39], v[70:71]
	v_add_f64 v[50:51], v[68:69], -v[50:51]
	v_add_f64 v[38:39], v[38:39], v[52:53]
	v_fma_f64 v[20:21], v[54:55], v[20:21], -v[82:83]
	v_add_f64 v[50:51], v[96:97], -v[50:51]
	v_add_f64 v[20:21], v[20:21], v[38:39]
	v_ldexp_f64 v[38:39], v[80:81], 2
	v_add_f64 v[20:21], v[50:51], v[20:21]
	v_add_f64 v[50:51], v[68:69], v[38:39]
	v_mov_b32_e32 v49, 0x40100000
	v_cmp_gt_f64_e32 vcc, 0, v[50:51]
	v_mov_b32_e32 v84, 0
	s_mov_b32 s9, 0x3ff921fb
	v_cndmask_b32_e32 v85, 0, v49, vcc
	v_add_f64 v[38:39], v[38:39], v[84:85]
	v_add_f64 v[50:51], v[68:69], v[38:39]
	v_cvt_i32_f64_e32 v49, v[50:51]
	v_cvt_f64_i32_e32 v[50:51], v49
	v_add_f64 v[38:39], v[38:39], -v[50:51]
	v_add_f64 v[50:51], v[68:69], v[38:39]
	v_add_f64 v[38:39], v[50:51], -v[38:39]
	v_add_f64 v[38:39], v[68:69], -v[38:39]
	v_add_f64 v[20:21], v[20:21], v[38:39]
	v_cmp_le_f64_e32 vcc, 0.5, v[50:51]
	v_mov_b32_e32 v38, 0x3ff00000
	s_nop 0
	v_cndmask_b32_e32 v85, 0, v38, vcc
	v_add_f64 v[38:39], v[50:51], -v[84:85]
	v_add_f64 v[50:51], v[38:39], v[20:21]
	v_addc_co_u32_e64 v49, s[0:1], 0, v49, vcc
	v_add_f64 v[38:39], v[50:51], -v[38:39]
	v_add_f64 v[20:21], v[20:21], -v[38:39]
	v_mul_f64 v[38:39], v[50:51], s[8:9]
	s_mov_b32 s0, 0x33145c07
	v_fma_f64 v[52:53], v[50:51], s[8:9], -v[38:39]
	s_mov_b32 s1, 0x3c91a626
	v_fmac_f64_e32 v[52:53], s[0:1], v[50:51]
	v_fmac_f64_e32 v[52:53], s[8:9], v[20:21]
	v_add_f64 v[20:21], v[38:39], v[52:53]
	v_add_f64 v[38:39], v[20:21], -v[38:39]
	v_add_f64 v[38:39], v[52:53], -v[38:39]
	s_andn2_saveexec_b64 s[0:1], s[10:11]
	s_cbranch_execz .LBB1_275
	s_branch .LBB1_274
.LBB1_273:
	s_andn2_saveexec_b64 s[0:1], s[10:11]
	s_cbranch_execz .LBB1_275
.LBB1_274:
	s_mov_b32 s8, 0x6dc9c883
	s_mov_b32 s9, 0x3fe45f30
	v_mul_f64 v[20:21], |v[10:11]|, s[8:9]
	s_mov_b32 s8, 0x54442d18
	v_rndne_f64_e32 v[50:51], v[20:21]
	s_mov_b32 s9, 0xbff921fb
	v_fma_f64 v[20:21], v[50:51], s[8:9], |v[10:11]|
	s_mov_b32 s9, 0xbc91a626
	s_mov_b32 s8, 0x33145c00
	v_mul_f64 v[52:53], v[50:51], s[8:9]
	v_add_f64 v[70:71], v[20:21], v[52:53]
	v_fma_f64 v[38:39], s[8:9], v[50:51], v[20:21]
	s_mov_b32 s9, 0x3c91a626
	v_add_f64 v[20:21], v[20:21], -v[70:71]
	v_fma_f64 v[68:69], s[8:9], v[50:51], v[52:53]
	v_add_f64 v[20:21], v[20:21], v[52:53]
	v_add_f64 v[52:53], v[70:71], -v[38:39]
	v_add_f64 v[20:21], v[52:53], v[20:21]
	s_mov_b32 s8, 0x252049c0
	v_add_f64 v[52:53], v[20:21], -v[68:69]
	s_mov_b32 s9, 0xb97b839a
	v_fmac_f64_e32 v[52:53], s[8:9], v[50:51]
	v_add_f64 v[20:21], v[38:39], v[52:53]
	v_add_f64 v[38:39], v[20:21], -v[38:39]
	v_add_f64 v[38:39], v[52:53], -v[38:39]
	v_cvt_i32_f64_e32 v49, v[50:51]
.LBB1_275:
	s_or_b64 exec, exec, s[0:1]
                                        ; implicit-def: $vgpr68
                                        ; implicit-def: $vgpr50_vgpr51
                                        ; implicit-def: $vgpr52_vgpr53
	s_and_saveexec_b64 s[0:1], s[6:7]
	s_xor_b64 s[6:7], exec, s[0:1]
	s_cbranch_execz .LBB1_277
; %bb.276:
	s_mov_b32 s0, 0
	s_mov_b32 s1, 0x7b000000
	s_movk_i32 s8, 0xff80
	v_and_b32_e32 v52, 0x7fffffff, v11
	v_ldexp_f64 v[50:51], |v[10:11]|, s8
	v_cmp_ge_f64_e64 vcc, |v[10:11]|, s[0:1]
	s_mov_b32 s0, 0
	s_mov_b32 s1, 0x7ff00000
	v_cndmask_b32_e32 v51, v52, v51, vcc
	v_cndmask_b32_e32 v50, v10, v50, vcc
	v_mul_f64 v[68:69], v[66:67], v[50:51]
	v_mul_f64 v[52:53], v[64:65], v[50:51]
	v_fma_f64 v[66:67], v[66:67], v[50:51], -v[68:69]
	v_add_f64 v[70:71], v[52:53], v[66:67]
	v_add_f64 v[80:81], v[68:69], v[70:71]
	v_ldexp_f64 v[82:83], v[80:81], -2
	v_fract_f64_e32 v[84:85], v[82:83]
	v_cmp_neq_f64_e64 vcc, |v[82:83]|, s[0:1]
	v_add_f64 v[68:69], v[80:81], -v[68:69]
	v_add_f64 v[68:69], v[70:71], -v[68:69]
	v_cndmask_b32_e32 v83, 0, v85, vcc
	v_cndmask_b32_e32 v82, 0, v84, vcc
	v_add_f64 v[84:85], v[70:71], -v[52:53]
	v_add_f64 v[66:67], v[66:67], -v[84:85]
	;; [unrolled: 1-line block ×4, first 2 shown]
	v_fma_f64 v[52:53], v[64:65], v[50:51], -v[52:53]
	v_mul_f64 v[64:65], v[54:55], v[50:51]
	v_add_f64 v[66:67], v[66:67], v[84:85]
	v_add_f64 v[84:85], v[64:65], v[52:53]
	;; [unrolled: 1-line block ×3, first 2 shown]
	v_add_f64 v[80:81], v[96:97], -v[84:85]
	v_add_f64 v[66:67], v[66:67], -v[80:81]
	;; [unrolled: 1-line block ×4, first 2 shown]
	v_add_f64 v[66:67], v[66:67], v[80:81]
	v_add_f64 v[80:81], v[84:85], -v[64:65]
	v_add_f64 v[52:53], v[52:53], -v[80:81]
	;; [unrolled: 1-line block ×4, first 2 shown]
	v_add_f64 v[52:53], v[52:53], v[80:81]
	v_add_f64 v[52:53], v[52:53], v[66:67]
	v_fma_f64 v[50:51], v[54:55], v[50:51], -v[64:65]
	v_add_f64 v[70:71], v[68:69], v[96:97]
	v_add_f64 v[50:51], v[50:51], v[52:53]
	v_ldexp_f64 v[52:53], v[82:83], 2
	v_add_f64 v[54:55], v[70:71], v[52:53]
	v_mov_b32_e32 v64, 0x40100000
	v_cmp_gt_f64_e32 vcc, 0, v[54:55]
	v_mov_b32_e32 v86, 0
	v_add_f64 v[68:69], v[70:71], -v[68:69]
	v_cndmask_b32_e32 v87, 0, v64, vcc
	v_add_f64 v[52:53], v[52:53], v[86:87]
	v_add_f64 v[54:55], v[70:71], v[52:53]
	v_cvt_i32_f64_e32 v64, v[54:55]
	v_cvt_f64_i32_e32 v[54:55], v64
	v_add_f64 v[52:53], v[52:53], -v[54:55]
	v_add_f64 v[54:55], v[70:71], v[52:53]
	v_add_f64 v[68:69], v[96:97], -v[68:69]
	v_add_f64 v[52:53], v[54:55], -v[52:53]
	v_add_f64 v[50:51], v[68:69], v[50:51]
	v_add_f64 v[52:53], v[70:71], -v[52:53]
	v_add_f64 v[50:51], v[50:51], v[52:53]
	v_cmp_le_f64_e32 vcc, 0.5, v[54:55]
	v_mov_b32_e32 v52, 0x3ff00000
	s_mov_b32 s8, 0x33145c07
	v_cndmask_b32_e32 v87, 0, v52, vcc
	v_addc_co_u32_e64 v68, s[0:1], 0, v64, vcc
	v_add_f64 v[52:53], v[54:55], -v[86:87]
	v_add_f64 v[54:55], v[52:53], v[50:51]
	s_mov_b32 s0, 0x54442d18
	v_add_f64 v[52:53], v[54:55], -v[52:53]
	s_mov_b32 s1, 0x3ff921fb
	v_add_f64 v[50:51], v[50:51], -v[52:53]
	v_mul_f64 v[52:53], v[54:55], s[0:1]
	v_fma_f64 v[64:65], v[54:55], s[0:1], -v[52:53]
	s_mov_b32 s9, 0x3c91a626
	v_fmac_f64_e32 v[64:65], s[8:9], v[54:55]
	v_fmac_f64_e32 v[64:65], s[0:1], v[50:51]
	v_add_f64 v[50:51], v[52:53], v[64:65]
	v_add_f64 v[52:53], v[50:51], -v[52:53]
	v_add_f64 v[52:53], v[64:65], -v[52:53]
	s_andn2_saveexec_b64 s[0:1], s[6:7]
	s_cbranch_execnz .LBB1_278
	s_branch .LBB1_279
.LBB1_277:
	s_andn2_saveexec_b64 s[0:1], s[6:7]
	s_cbranch_execz .LBB1_279
.LBB1_278:
	s_mov_b32 s6, 0x6dc9c883
	s_mov_b32 s7, 0x3fe45f30
	v_mul_f64 v[50:51], |v[10:11]|, s[6:7]
	s_mov_b32 s6, 0x54442d18
	v_rndne_f64_e32 v[54:55], v[50:51]
	s_mov_b32 s7, 0xbff921fb
	v_fma_f64 v[50:51], v[54:55], s[6:7], |v[10:11]|
	s_mov_b32 s7, 0xbc91a626
	s_mov_b32 s6, 0x33145c00
	v_mul_f64 v[64:65], v[54:55], s[6:7]
	v_add_f64 v[68:69], v[50:51], v[64:65]
	v_fma_f64 v[52:53], s[6:7], v[54:55], v[50:51]
	s_mov_b32 s7, 0x3c91a626
	v_add_f64 v[50:51], v[50:51], -v[68:69]
	v_fma_f64 v[66:67], s[6:7], v[54:55], v[64:65]
	v_add_f64 v[50:51], v[50:51], v[64:65]
	v_add_f64 v[64:65], v[68:69], -v[52:53]
	v_add_f64 v[50:51], v[64:65], v[50:51]
	s_mov_b32 s6, 0x252049c0
	v_add_f64 v[64:65], v[50:51], -v[66:67]
	s_mov_b32 s7, 0xb97b839a
	v_fmac_f64_e32 v[64:65], s[6:7], v[54:55]
	v_add_f64 v[50:51], v[52:53], v[64:65]
	v_add_f64 v[52:53], v[50:51], -v[52:53]
	v_add_f64 v[52:53], v[64:65], -v[52:53]
	v_cvt_i32_f64_e32 v68, v[54:55]
.LBB1_279:
	s_or_b64 exec, exec, s[0:1]
	s_mov_b32 s0, 0
	v_mul_f64 v[54:55], v[12:13], v[12:13]
	s_mov_b32 s1, 0x40390000
	v_div_scale_f64 v[64:65], s[6:7], v[54:55], v[54:55], s[0:1]
	v_rcp_f64_e32 v[66:67], v[64:65]
	v_mov_b32_e32 v82, 0xb1759c7f
	v_mov_b32_e32 v83, 0x408ac370
	;; [unrolled: 1-line block ×3, first 2 shown]
	v_fma_f64 v[70:71], -v[64:65], v[66:67], 1.0
	v_fmac_f64_e32 v[66:67], v[66:67], v[70:71]
	v_fma_f64 v[70:71], -v[64:65], v[66:67], 1.0
	v_fmac_f64_e32 v[66:67], v[66:67], v[70:71]
	v_div_scale_f64 v[70:71], vcc, s[0:1], v[54:55], s[0:1]
	v_mul_f64 v[80:81], v[70:71], v[66:67]
	v_fma_f64 v[64:65], -v[64:65], v[80:81], v[70:71]
	v_mov_b32_e32 v70, 0xab5454e3
	s_nop 0
	v_div_fmas_f64 v[64:65], v[64:65], v[66:67], v[80:81]
	v_div_fixup_f64 v[54:55], v[64:65], v[54:55], s[0:1]
	v_mov_b32_e32 v64, 0x983b6b27
	v_mov_b32_e32 v65, 0x3f4a1d30
	v_fmac_f64_e32 v[64:65], 0, v[54:55]
	v_mov_b32_e32 v66, 0xb35dd1cf
	v_mov_b32_e32 v67, 0x3fb534b0
	v_fmac_f64_e32 v[66:67], v[54:55], v[64:65]
	;; [unrolled: 3-line block ×7, first 2 shown]
	v_mov_b32_e32 v71, 0x3fb5ebc5
	v_fmac_f64_e32 v[70:71], v[54:55], v[64:65]
	v_mov_b32_e32 v64, 0xc9b3069f
	v_mov_b32_e32 v65, 0x3ff40e72
	v_fmac_f64_e32 v[64:65], v[54:55], v[70:71]
	v_mov_b32_e32 v70, 0xe68162bb
	;; [unrolled: 3-line block ×4, first 2 shown]
	v_mov_b32_e32 v71, 0x40153965
	v_fmac_f64_e32 v[70:71], v[54:55], v[64:65]
	v_fma_f64 v[64:65], v[54:55], v[70:71], 1.0
	v_mov_b32_e32 v70, 0x38a5384a
	v_mov_b32_e32 v71, 0xbf874742
	v_fmac_f64_e32 v[70:71], 0, v[54:55]
	v_mov_b32_e32 v80, 0x3a321174
	v_mov_b32_e32 v81, 0xbff4853b
	v_fmac_f64_e32 v[80:81], v[54:55], v[70:71]
	;; [unrolled: 3-line block ×9, first 2 shown]
	v_fmac_f64_e32 v[82:83], v[54:55], v[70:71]
	v_mov_b32_e32 v70, 0xbd748cb5
	v_mov_b32_e32 v71, 0x40ae54cd
	v_fmac_f64_e32 v[70:71], v[54:55], v[82:83]
	v_mov_b32_e32 v82, 0xbdefd63e
	v_mov_b32_e32 v83, 0x40bc4877
	;; [unrolled: 3-line block ×4, first 2 shown]
	v_fma_f64 v[66:67], v[54:55], v[66:67], 1.0
	v_fmac_f64_e32 v[82:83], v[54:55], v[70:71]
	v_div_scale_f64 v[70:71], s[0:1], v[64:65], v[64:65], v[66:67]
	v_rcp_f64_e32 v[84:85], v[70:71]
	v_mov_b32_e32 v87, 0x406e402f
	v_fmac_f64_e32 v[86:87], v[54:55], v[82:83]
	s_mov_b32 s0, 0x9037ab78
	v_fma_f64 v[54:55], -v[70:71], v[84:85], 1.0
	v_fmac_f64_e32 v[84:85], v[84:85], v[54:55]
	v_fma_f64 v[54:55], -v[70:71], v[84:85], 1.0
	v_fmac_f64_e32 v[84:85], v[84:85], v[54:55]
	v_div_scale_f64 v[54:55], vcc, v[66:67], v[64:65], v[66:67]
	v_mul_f64 v[82:83], v[54:55], v[84:85]
	v_fma_f64 v[54:55], -v[70:71], v[82:83], v[54:55]
	s_mov_b32 s1, 0x3e21eeb6
	s_nop 0
	v_div_fmas_f64 v[54:55], v[54:55], v[84:85], v[82:83]
	s_mov_b32 s6, 0x46cc5e42
	v_div_fixup_f64 v[54:55], v[54:55], v[64:65], v[66:67]
	v_mul_f64 v[64:65], v[20:21], v[20:21]
	s_mov_b32 s7, 0xbda907db
	v_mov_b64_e32 v[84:85], s[0:1]
	s_mov_b32 s8, 0xa17f65f6
	v_mul_f64 v[66:67], v[64:65], 0.5
	v_fma_f64 v[96:97], s[6:7], v[64:65], v[84:85]
	s_mov_b32 s9, 0xbe927e4f
	s_mov_b32 s10, 0x19f4ec90
	v_add_f64 v[70:71], -v[66:67], 1.0
	v_fma_f64 v[96:97], v[64:65], v[96:97], s[8:9]
	s_mov_b32 s11, 0x3efa01a0
	s_mov_b32 s12, 0x16c16967
	v_add_f64 v[82:83], -v[70:71], 1.0
	v_fma_f64 v[96:97], v[64:65], v[96:97], s[10:11]
	s_mov_b32 s13, 0xbf56c16c
	s_mov_b32 s14, 0x55555555
	v_add_f64 v[66:67], v[82:83], -v[66:67]
	v_fma_f64 v[96:97], v[64:65], v[96:97], s[12:13]
	s_mov_b32 s15, 0x3fa55555
	v_mul_f64 v[82:83], v[64:65], v[64:65]
	v_fma_f64 v[96:97], v[64:65], v[96:97], s[14:15]
	v_fma_f64 v[66:67], v[20:21], -v[38:39], v[66:67]
	s_mov_b32 s0, 0xb42fdfa7
	v_fmac_f64_e32 v[66:67], v[82:83], v[96:97]
	s_mov_b32 s1, 0xbe5ae600
	s_mov_b32 s16, 0xf9a43bb8
	v_add_f64 v[66:67], v[70:71], v[66:67]
	s_mov_b32 s17, 0x3de5e0b2
	v_mov_b64_e32 v[70:71], s[0:1]
	s_mov_b32 s18, 0x796cde01
	v_fma_f64 v[82:83], s[16:17], v[64:65], v[70:71]
	s_mov_b32 s19, 0x3ec71de3
	s_mov_b32 s20, 0x19e83e5c
	v_fma_f64 v[82:83], v[64:65], v[82:83], s[18:19]
	s_mov_b32 s21, 0xbf2a01a0
	;; [unrolled: 3-line block ×3, first 2 shown]
	v_fma_f64 v[82:83], v[64:65], v[82:83], s[22:23]
	v_mul_f64 v[96:97], v[20:21], -v[64:65]
	v_mul_f64 v[98:99], v[38:39], 0.5
	v_fmac_f64_e32 v[98:99], v[96:97], v[82:83]
	v_fma_f64 v[38:39], v[64:65], v[98:99], -v[38:39]
	s_mov_b32 s25, 0xbfc55555
	s_mov_b32 s24, s14
	v_fmac_f64_e32 v[38:39], s[24:25], v[96:97]
	v_add_f64 v[20:21], v[20:21], -v[38:39]
	v_and_b32_e32 v38, 1, v49
	v_cmp_eq_u32_e32 vcc, 0, v38
	s_mov_b32 s26, 0
	s_mov_b32 s27, 0x40140000
	v_cndmask_b32_e32 v64, v66, v20, vcc
	v_cndmask_b32_e32 v20, v67, v21, vcc
	v_lshlrev_b32_e32 v21, 30, v49
	v_xor_b32_e32 v21, v21, v11
	v_and_b32_e32 v21, 0x80000000, v21
	v_xor_b32_e32 v49, v20, v21
	v_div_scale_f64 v[20:21], s[0:1], v[12:13], v[12:13], s[26:27]
	v_rcp_f64_e32 v[38:39], v[20:21]
	s_movk_i32 s28, 0x1f8
	v_cmp_class_f64_e64 s[0:1], v[10:11], s28
	v_mov_b32_e32 v69, 0x7ff80000
	s_nop 0
	v_cndmask_b32_e64 v10, 0, v64, s[0:1]
	v_fma_f64 v[64:65], -v[20:21], v[38:39], 1.0
	v_fmac_f64_e32 v[38:39], v[38:39], v[64:65]
	v_fma_f64 v[64:65], -v[20:21], v[38:39], 1.0
	v_fmac_f64_e32 v[38:39], v[38:39], v[64:65]
	v_div_scale_f64 v[64:65], vcc, s[26:27], v[12:13], s[26:27]
	v_mul_f64 v[66:67], v[64:65], v[38:39]
	v_fma_f64 v[20:21], -v[20:21], v[66:67], v[64:65]
	v_div_scale_f64 v[64:65], s[28:29], v[86:87], v[86:87], v[80:81]
	v_rcp_f64_e32 v[82:83], v[64:65]
	v_div_fmas_f64 v[20:21], v[20:21], v[38:39], v[66:67]
	v_div_fixup_f64 v[20:21], v[20:21], v[12:13], s[26:27]
	v_cndmask_b32_e64 v11, v69, v49, s[0:1]
	v_fma_f64 v[38:39], -v[64:65], v[82:83], 1.0
	v_fmac_f64_e32 v[82:83], v[82:83], v[38:39]
	v_fma_f64 v[38:39], -v[64:65], v[82:83], 1.0
	v_fmac_f64_e32 v[82:83], v[82:83], v[38:39]
	v_div_scale_f64 v[38:39], vcc, v[80:81], v[86:87], v[80:81]
	v_mul_f64 v[66:67], v[38:39], v[82:83]
	v_fma_f64 v[38:39], -v[64:65], v[66:67], v[38:39]
	v_and_b32_e32 v49, 1, v68
	s_nop 0
	v_div_fmas_f64 v[38:39], v[38:39], v[82:83], v[66:67]
	v_div_fixup_f64 v[38:39], v[38:39], v[86:87], v[80:81]
	v_mul_f64 v[20:21], v[20:21], v[38:39]
	v_mul_f64 v[38:39], v[50:51], v[50:51]
	v_mul_f64 v[64:65], v[38:39], 0.5
	v_fmac_f64_e32 v[84:85], s[6:7], v[38:39]
	v_add_f64 v[66:67], -v[64:65], 1.0
	v_fma_f64 v[82:83], v[38:39], v[84:85], s[8:9]
	v_add_f64 v[80:81], -v[66:67], 1.0
	v_fma_f64 v[82:83], v[38:39], v[82:83], s[10:11]
	v_add_f64 v[64:65], v[80:81], -v[64:65]
	v_fma_f64 v[82:83], v[38:39], v[82:83], s[12:13]
	v_mul_f64 v[80:81], v[38:39], v[38:39]
	v_fma_f64 v[82:83], v[38:39], v[82:83], s[14:15]
	v_fma_f64 v[64:65], v[50:51], -v[52:53], v[64:65]
	v_fmac_f64_e32 v[64:65], v[80:81], v[82:83]
	v_fmac_f64_e32 v[70:71], s[16:17], v[38:39]
	v_add_f64 v[64:65], v[66:67], v[64:65]
	v_fma_f64 v[66:67], v[38:39], v[70:71], s[18:19]
	v_fma_f64 v[66:67], v[38:39], v[66:67], s[20:21]
	;; [unrolled: 1-line block ×3, first 2 shown]
	v_mul_f64 v[70:71], v[50:51], -v[38:39]
	v_mul_f64 v[80:81], v[52:53], 0.5
	v_fmac_f64_e32 v[80:81], v[70:71], v[66:67]
	v_fma_f64 v[38:39], v[38:39], v[80:81], -v[52:53]
	v_fmac_f64_e32 v[38:39], s[24:25], v[70:71]
	v_add_f64 v[38:39], v[50:51], -v[38:39]
	v_xor_b32_e32 v39, 0x80000000, v39
	v_cmp_eq_u32_e32 vcc, 0, v49
	v_lshlrev_b32_e32 v49, 30, v68
	v_and_b32_e32 v49, 0x80000000, v49
	v_cndmask_b32_e32 v39, v39, v65, vcc
	v_cndmask_b32_e32 v38, v38, v64, vcc
	v_xor_b32_e32 v39, v39, v49
	v_cndmask_b32_e64 v38, 0, v38, s[0:1]
	v_cndmask_b32_e64 v39, v69, v39, s[0:1]
	s_mov_b32 s0, 0
	s_brev_b32 s1, 8
	v_mul_f64 v[20:21], v[20:21], v[38:39]
	v_cmp_gt_f64_e32 vcc, s[0:1], v[12:13]
	v_fmac_f64_e32 v[20:21], v[54:55], v[10:11]
	s_mov_b32 s0, 0x33d43651
	v_cndmask_b32_e64 v10, 0, 1, vcc
	v_lshlrev_b32_e32 v10, 8, v10
	v_ldexp_f64 v[10:11], v[12:13], v10
	v_rsq_f64_e32 v[12:13], v[10:11]
	s_mov_b32 s1, 0x3fe98845
	v_mul_f64 v[20:21], v[20:21], s[0:1]
	v_mul_f64 v[38:39], v[10:11], v[12:13]
	v_mul_f64 v[12:13], v[12:13], 0.5
	v_fma_f64 v[50:51], -v[12:13], v[38:39], 0.5
	v_fmac_f64_e32 v[38:39], v[38:39], v[50:51]
	v_fma_f64 v[52:53], -v[38:39], v[38:39], v[10:11]
	v_fmac_f64_e32 v[12:13], v[12:13], v[50:51]
	v_fmac_f64_e32 v[38:39], v[52:53], v[12:13]
	v_fma_f64 v[50:51], -v[38:39], v[38:39], v[10:11]
	v_fmac_f64_e32 v[38:39], v[50:51], v[12:13]
	v_mov_b32_e32 v12, 0xffffff80
	v_cndmask_b32_e32 v12, 0, v12, vcc
	v_ldexp_f64 v[12:13], v[38:39], v12
	v_mov_b32_e32 v38, 0x260
	v_cmp_class_f64_e32 vcc, v[10:11], v38
	s_nop 1
	v_cndmask_b32_e32 v11, v13, v11, vcc
	v_cndmask_b32_e32 v10, v12, v10, vcc
	v_div_scale_f64 v[12:13], s[0:1], v[10:11], v[10:11], v[20:21]
	v_rcp_f64_e32 v[38:39], v[12:13]
	s_nop 0
	v_fma_f64 v[50:51], -v[12:13], v[38:39], 1.0
	v_fmac_f64_e32 v[38:39], v[38:39], v[50:51]
	v_fma_f64 v[50:51], -v[12:13], v[38:39], 1.0
	v_fmac_f64_e32 v[38:39], v[38:39], v[50:51]
	v_div_scale_f64 v[50:51], vcc, v[20:21], v[10:11], v[20:21]
	v_mul_f64 v[52:53], v[50:51], v[38:39]
	v_fma_f64 v[12:13], -v[12:13], v[52:53], v[50:51]
	s_nop 1
	v_div_fmas_f64 v[12:13], v[12:13], v[38:39], v[52:53]
	v_div_fixup_f64 v[20:21], v[12:13], v[10:11], v[20:21]
.LBB1_280:
	s_or_b64 exec, exec, s[4:5]
	s_mov_b32 s0, 0
	s_mov_b32 s1, 0x40140000
	v_cmp_ge_f64_e32 vcc, s[0:1], v[2:3]
                                        ; implicit-def: $vgpr10_vgpr11
	s_and_saveexec_b64 s[0:1], vcc
	s_xor_b64 s[0:1], exec, s[0:1]
	s_cbranch_execz .LBB1_290
; %bb.281:
	v_mov_b32_e32 v10, 0
	v_cmp_neq_f64_e32 vcc, 0, v[2:3]
	v_mov_b32_e32 v11, 0xfff00000
	s_and_saveexec_b64 s[4:5], vcc
	s_cbranch_execz .LBB1_289
; %bb.282:
	v_mov_b32_e32 v10, 0
	v_cmp_ngt_f64_e32 vcc, 0, v[2:3]
	v_mov_b32_e32 v11, 0x7ff80000
	s_and_saveexec_b64 s[6:7], vcc
	s_cbranch_execz .LBB1_288
; %bb.283:
	s_mov_b32 s8, 0x88e368f1
	v_mul_f64 v[10:11], v[2:3], v[2:3]
	s_mov_b32 s9, 0x3ee4f8b5
	v_mul_f64 v[38:39], v[10:11], 0
	v_cmp_ngt_f64_e32 vcc, s[8:9], v[2:3]
                                        ; implicit-def: $vgpr12_vgpr13
	s_and_saveexec_b64 s[8:9], vcc
	s_xor_b64 s[8:9], exec, s[8:9]
	s_cbranch_execz .LBB1_285
; %bb.284:
	s_mov_b32 s10, 0xad1c8325
	s_mov_b32 s11, 0xc1f1dc53
	v_add_f64 v[12:13], v[38:39], s[10:11]
	v_mov_b32_e32 v50, 0xc772990d
	v_mov_b32_e32 v51, 0x427c7751
	s_mov_b32 s10, 0xa696b78c
	v_fmac_f64_e32 v[50:51], v[10:11], v[12:13]
	v_mov_b32_e32 v12, 0xe0d900f7
	v_mov_b32_e32 v13, 0xc2ec5614
	s_mov_b32 s11, 0x407f3902
	v_fmac_f64_e32 v[12:13], v[10:11], v[50:51]
	v_add_f64 v[50:51], v[38:39], s[10:11]
	v_mov_b32_e32 v52, 0x36a21a67
	v_mov_b32_e32 v53, 0x410536cb
	v_fmac_f64_e32 v[52:53], v[10:11], v[50:51]
	v_mov_b32_e32 v50, 0x2eac0634
	v_mov_b32_e32 v51, 0x41871934
	v_fmac_f64_e32 v[50:51], v[10:11], v[52:53]
	;; [unrolled: 3-line block ×6, first 2 shown]
	v_mov_b32_e32 v52, 0xc7b662cc
	v_mov_b32_e32 v53, 0x43b7be34
	s_mov_b32 s10, 0x80462bbb
	v_fmac_f64_e32 v[52:53], v[10:11], v[50:51]
	v_mov_b32_e32 v50, 0x69ff5fb4
	v_mov_b32_e32 v51, 0x43413ef8
	s_mov_b32 s11, 0xc01721fb
	v_fmac_f64_e32 v[50:51], v[10:11], v[12:13]
	v_add_f64 v[12:13], v[10:11], s[10:11]
	s_mov_b32 s10, 0xa621dd6f
	s_mov_b32 s11, 0xc03e78a4
	v_add_f64 v[54:55], v[10:11], s[10:11]
	v_mul_f64 v[12:13], v[12:13], v[54:55]
	v_mul_f64 v[12:13], v[12:13], v[50:51]
	v_div_scale_f64 v[50:51], s[10:11], v[52:53], v[52:53], v[12:13]
	v_rcp_f64_e32 v[54:55], v[50:51]
	s_nop 0
	v_fma_f64 v[64:65], -v[50:51], v[54:55], 1.0
	v_fmac_f64_e32 v[54:55], v[54:55], v[64:65]
	v_fma_f64 v[64:65], -v[50:51], v[54:55], 1.0
	v_fmac_f64_e32 v[54:55], v[54:55], v[64:65]
	v_div_scale_f64 v[64:65], vcc, v[12:13], v[52:53], v[12:13]
	v_mul_f64 v[66:67], v[64:65], v[54:55]
	v_fma_f64 v[50:51], -v[50:51], v[66:67], v[64:65]
	s_nop 1
	v_div_fmas_f64 v[50:51], v[50:51], v[54:55], v[66:67]
	v_div_fixup_f64 v[12:13], v[50:51], v[52:53], v[12:13]
.LBB1_285:
	s_andn2_saveexec_b64 s[8:9], s[8:9]
; %bb.286:
	s_mov_b32 s10, 0
	s_mov_b32 s11, 0xbfd00000
	v_fma_f64 v[12:13], v[10:11], s[10:11], 1.0
; %bb.287:
	s_or_b64 exec, exec, s[8:9]
	s_mov_b32 s8, 0xe896898f
	s_mov_b32 s9, 0x40ce7437
	v_add_f64 v[50:51], v[38:39], s[8:9]
	v_mov_b32_e32 v52, 0x32e48896
	v_mov_b32_e32 v53, 0xc16bf81f
	v_fmac_f64_e32 v[52:53], v[10:11], v[50:51]
	v_mov_b32_e32 v50, 0xf0284cdd
	v_mov_b32_e32 v51, 0x41f43f78
	v_fmac_f64_e32 v[50:51], v[10:11], v[52:53]
	;; [unrolled: 3-line block ×4, first 2 shown]
	v_mov_b32_e32 v52, 0xd1d8cc02
	v_mov_b32_e32 v53, 0xc328a121
	s_mov_b32 s8, 0x576dfcb6
	v_fmac_f64_e32 v[52:53], v[10:11], v[50:51]
	v_mov_b32_e32 v50, 0x660b4003
	v_mov_b32_e32 v51, 0x4363a94b
	s_mov_b32 s9, 0x40904522
	v_fmac_f64_e32 v[50:51], v[10:11], v[52:53]
	v_add_f64 v[38:39], v[38:39], s[8:9]
	v_mov_b32_e32 v52, 0xa907bc0c
	v_mov_b32_e32 v53, 0x41231b76
	v_fmac_f64_e32 v[52:53], v[10:11], v[38:39]
	v_mov_b32_e32 v38, 0x5164d101
	v_mov_b32_e32 v39, 0x41b00763
	v_fmac_f64_e32 v[38:39], v[10:11], v[52:53]
	;; [unrolled: 3-line block ×7, first 2 shown]
	v_div_scale_f64 v[10:11], s[8:9], v[38:39], v[38:39], v[52:53]
	v_rcp_f64_e32 v[50:51], v[10:11]
	s_mov_b32 s8, 0x55555555
	s_mov_b32 s9, 0x3fe55555
	v_frexp_exp_i32_f64_e32 v49, v[2:3]
	v_fma_f64 v[54:55], -v[10:11], v[50:51], 1.0
	v_fmac_f64_e32 v[50:51], v[50:51], v[54:55]
	v_fma_f64 v[54:55], -v[10:11], v[50:51], 1.0
	v_fmac_f64_e32 v[50:51], v[50:51], v[54:55]
	v_div_scale_f64 v[54:55], vcc, v[52:53], v[38:39], v[52:53]
	v_mul_f64 v[64:65], v[54:55], v[50:51]
	v_fma_f64 v[10:11], -v[10:11], v[64:65], v[54:55]
	s_nop 1
	v_div_fmas_f64 v[10:11], v[10:11], v[50:51], v[64:65]
	v_div_fixup_f64 v[10:11], v[10:11], v[38:39], v[52:53]
	v_frexp_mant_f64_e32 v[38:39], v[2:3]
	v_mov_b32_e32 v50, 0x3ff00000
	v_cmp_gt_f64_e32 vcc, s[8:9], v[38:39]
	s_mov_b32 s8, 0xbf559e2b
	s_mov_b32 s9, 0x3fc3ab76
	v_cndmask_b32_e64 v51, v50, 2.0, vcc
	v_mov_b32_e32 v50, 0
	v_mul_f64 v[38:39], v[38:39], v[50:51]
	v_add_f64 v[50:51], v[38:39], 1.0
	v_rcp_f64_e32 v[52:53], v[50:51]
	v_add_f64 v[64:65], v[50:51], -1.0
	v_add_f64 v[54:55], v[38:39], -1.0
	v_add_f64 v[38:39], v[38:39], -v[64:65]
	v_fma_f64 v[64:65], -v[50:51], v[52:53], 1.0
	v_fmac_f64_e32 v[52:53], v[64:65], v[52:53]
	v_fma_f64 v[64:65], -v[50:51], v[52:53], 1.0
	v_fmac_f64_e32 v[52:53], v[64:65], v[52:53]
	v_mul_f64 v[64:65], v[54:55], v[52:53]
	v_mul_f64 v[66:67], v[50:51], v[64:65]
	v_fma_f64 v[50:51], v[64:65], v[50:51], -v[66:67]
	v_fmac_f64_e32 v[50:51], v[64:65], v[38:39]
	v_add_f64 v[38:39], v[66:67], v[50:51]
	v_add_f64 v[68:69], v[54:55], -v[38:39]
	v_add_f64 v[66:67], v[38:39], -v[66:67]
	;; [unrolled: 1-line block ×5, first 2 shown]
	v_add_f64 v[38:39], v[50:51], v[38:39]
	v_add_f64 v[38:39], v[68:69], v[38:39]
	v_mul_f64 v[38:39], v[52:53], v[38:39]
	v_add_f64 v[50:51], v[64:65], v[38:39]
	v_add_f64 v[52:53], v[50:51], -v[64:65]
	v_add_f64 v[38:39], v[38:39], -v[52:53]
	v_mul_f64 v[52:53], v[50:51], v[50:51]
	v_mov_b32_e32 v54, 0x6b47b09a
	v_mov_b32_e32 v55, 0x3fc38538
	v_fmac_f64_e32 v[54:55], s[8:9], v[52:53]
	v_mov_b32_e32 v64, 0xd7f4df2e
	v_mov_b32_e32 v65, 0x3fc7474d
	v_fmac_f64_e32 v[64:65], v[52:53], v[54:55]
	;; [unrolled: 3-line block ×6, first 2 shown]
	v_ldexp_f64 v[54:55], v[50:51], 1
	v_mul_f64 v[50:51], v[50:51], v[52:53]
	v_mul_f64 v[50:51], v[50:51], v[64:65]
	v_add_f64 v[52:53], v[54:55], v[50:51]
	v_add_f64 v[54:55], v[52:53], -v[54:55]
	v_ldexp_f64 v[38:39], v[38:39], 1
	v_add_f64 v[50:51], v[50:51], -v[54:55]
	v_add_f64 v[38:39], v[38:39], v[50:51]
	v_add_f64 v[50:51], v[52:53], v[38:39]
	v_subbrev_co_u32_e32 v49, vcc, 0, v49, vcc
	v_add_f64 v[52:53], v[50:51], -v[52:53]
	s_mov_b32 s8, 0xfefa39ef
	v_add_f64 v[38:39], v[38:39], -v[52:53]
	v_cvt_f64_i32_e32 v[52:53], v49
	s_mov_b32 s9, 0x3fe62e42
	v_mul_f64 v[54:55], v[52:53], s[8:9]
	v_fma_f64 v[64:65], v[52:53], s[8:9], -v[54:55]
	s_mov_b32 s8, 0x3b39803f
	s_mov_b32 s9, 0x3c7abc9e
	v_fmac_f64_e32 v[64:65], s[8:9], v[52:53]
	v_add_f64 v[52:53], v[54:55], v[64:65]
	v_add_f64 v[54:55], v[52:53], -v[54:55]
	v_add_f64 v[54:55], v[64:65], -v[54:55]
	v_add_f64 v[64:65], v[52:53], v[50:51]
	v_add_f64 v[66:67], v[64:65], -v[52:53]
	v_add_f64 v[68:69], v[64:65], -v[66:67]
	;; [unrolled: 1-line block ×4, first 2 shown]
	v_add_f64 v[50:51], v[50:51], v[52:53]
	v_add_f64 v[52:53], v[54:55], v[38:39]
	v_add_f64 v[66:67], v[52:53], -v[54:55]
	v_add_f64 v[68:69], v[52:53], -v[66:67]
	v_add_f64 v[50:51], v[52:53], v[50:51]
	v_add_f64 v[54:55], v[54:55], -v[68:69]
	v_add_f64 v[38:39], v[38:39], -v[66:67]
	v_add_f64 v[52:53], v[64:65], v[50:51]
	v_add_f64 v[38:39], v[38:39], v[54:55]
	v_add_f64 v[54:55], v[52:53], -v[64:65]
	v_add_f64 v[50:51], v[50:51], -v[54:55]
	v_add_f64 v[38:39], v[38:39], v[50:51]
	s_mov_b32 s8, 0x6dc9c883
	v_add_f64 v[38:39], v[52:53], v[38:39]
	s_mov_b32 s9, 0x3fe45f30
	v_mul_f64 v[38:39], v[38:39], s[8:9]
	v_fmac_f64_e32 v[10:11], v[38:39], v[12:13]
.LBB1_288:
	s_or_b64 exec, exec, s[6:7]
.LBB1_289:
	s_or_b64 exec, exec, s[4:5]
.LBB1_290:
	s_andn2_saveexec_b64 s[4:5], s[0:1]
	s_cbranch_execz .LBB1_300
; %bb.291:
	s_mov_b32 s9, 0xbfe921fb
	s_mov_b32 s8, 0x54442d18
	;; [unrolled: 1-line block ×3, first 2 shown]
	v_add_f64 v[10:11], v[2:3], s[8:9]
	s_mov_b32 s1, 0x41d00000
	v_cmp_nlt_f64_e64 s[6:7], |v[10:11]|, s[0:1]
	v_trig_preop_f64 v[66:67], |v[10:11]|, 0
	v_trig_preop_f64 v[64:65], |v[10:11]|, 1
	;; [unrolled: 1-line block ×3, first 2 shown]
                                        ; implicit-def: $vgpr49
                                        ; implicit-def: $vgpr12_vgpr13
                                        ; implicit-def: $vgpr38_vgpr39
	s_and_saveexec_b64 s[0:1], s[6:7]
	s_xor_b64 s[10:11], exec, s[0:1]
	s_cbranch_execz .LBB1_293
; %bb.292:
	s_mov_b32 s0, 0
	s_mov_b32 s1, 0x7b000000
	s_movk_i32 s9, 0xff80
	v_and_b32_e32 v38, 0x7fffffff, v11
	v_ldexp_f64 v[12:13], |v[10:11]|, s9
	v_cmp_ge_f64_e64 vcc, |v[10:11]|, s[0:1]
	s_mov_b32 s0, 0
	s_mov_b32 s1, 0x7ff00000
	v_cndmask_b32_e32 v13, v38, v13, vcc
	v_cndmask_b32_e32 v12, v10, v12, vcc
	v_mul_f64 v[50:51], v[66:67], v[12:13]
	v_mul_f64 v[38:39], v[64:65], v[12:13]
	v_fma_f64 v[52:53], v[66:67], v[12:13], -v[50:51]
	v_add_f64 v[68:69], v[38:39], v[52:53]
	v_add_f64 v[70:71], v[50:51], v[68:69]
	v_ldexp_f64 v[80:81], v[70:71], -2
	v_fract_f64_e32 v[82:83], v[80:81]
	v_cmp_neq_f64_e64 vcc, |v[80:81]|, s[0:1]
	v_add_f64 v[50:51], v[70:71], -v[50:51]
	v_add_f64 v[50:51], v[68:69], -v[50:51]
	v_cndmask_b32_e32 v81, 0, v83, vcc
	v_cndmask_b32_e32 v80, 0, v82, vcc
	v_add_f64 v[82:83], v[68:69], -v[38:39]
	v_add_f64 v[52:53], v[52:53], -v[82:83]
	;; [unrolled: 1-line block ×4, first 2 shown]
	v_add_f64 v[52:53], v[52:53], v[82:83]
	v_fma_f64 v[38:39], v[64:65], v[12:13], -v[38:39]
	v_mul_f64 v[82:83], v[54:55], v[12:13]
	v_add_f64 v[86:87], v[82:83], v[38:39]
	v_add_f64 v[96:97], v[86:87], v[52:53]
	v_add_f64 v[70:71], v[96:97], -v[86:87]
	v_add_f64 v[52:53], v[52:53], -v[70:71]
	;; [unrolled: 1-line block ×4, first 2 shown]
	v_add_f64 v[52:53], v[52:53], v[70:71]
	v_add_f64 v[70:71], v[86:87], -v[82:83]
	v_add_f64 v[38:39], v[38:39], -v[70:71]
	;; [unrolled: 1-line block ×4, first 2 shown]
	v_add_f64 v[68:69], v[50:51], v[96:97]
	v_add_f64 v[38:39], v[38:39], v[70:71]
	v_add_f64 v[50:51], v[68:69], -v[50:51]
	v_add_f64 v[38:39], v[38:39], v[52:53]
	v_fma_f64 v[12:13], v[54:55], v[12:13], -v[82:83]
	v_add_f64 v[50:51], v[96:97], -v[50:51]
	v_add_f64 v[12:13], v[12:13], v[38:39]
	v_ldexp_f64 v[38:39], v[80:81], 2
	v_add_f64 v[12:13], v[50:51], v[12:13]
	v_add_f64 v[50:51], v[68:69], v[38:39]
	v_mov_b32_e32 v49, 0x40100000
	v_cmp_gt_f64_e32 vcc, 0, v[50:51]
	v_mov_b32_e32 v84, 0
	s_mov_b32 s9, 0x3ff921fb
	v_cndmask_b32_e32 v85, 0, v49, vcc
	v_add_f64 v[38:39], v[38:39], v[84:85]
	v_add_f64 v[50:51], v[68:69], v[38:39]
	v_cvt_i32_f64_e32 v49, v[50:51]
	v_cvt_f64_i32_e32 v[50:51], v49
	v_add_f64 v[38:39], v[38:39], -v[50:51]
	v_add_f64 v[50:51], v[68:69], v[38:39]
	v_add_f64 v[38:39], v[50:51], -v[38:39]
	v_add_f64 v[38:39], v[68:69], -v[38:39]
	v_add_f64 v[12:13], v[12:13], v[38:39]
	v_cmp_le_f64_e32 vcc, 0.5, v[50:51]
	v_mov_b32_e32 v38, 0x3ff00000
	s_nop 0
	v_cndmask_b32_e32 v85, 0, v38, vcc
	v_add_f64 v[38:39], v[50:51], -v[84:85]
	v_add_f64 v[50:51], v[38:39], v[12:13]
	v_addc_co_u32_e64 v49, s[0:1], 0, v49, vcc
	v_add_f64 v[38:39], v[50:51], -v[38:39]
	v_add_f64 v[12:13], v[12:13], -v[38:39]
	v_mul_f64 v[38:39], v[50:51], s[8:9]
	s_mov_b32 s0, 0x33145c07
	v_fma_f64 v[52:53], v[50:51], s[8:9], -v[38:39]
	s_mov_b32 s1, 0x3c91a626
	v_fmac_f64_e32 v[52:53], s[0:1], v[50:51]
	v_fmac_f64_e32 v[52:53], s[8:9], v[12:13]
	v_add_f64 v[12:13], v[38:39], v[52:53]
	v_add_f64 v[38:39], v[12:13], -v[38:39]
	v_add_f64 v[38:39], v[52:53], -v[38:39]
	s_andn2_saveexec_b64 s[0:1], s[10:11]
	s_cbranch_execz .LBB1_295
	s_branch .LBB1_294
.LBB1_293:
	s_andn2_saveexec_b64 s[0:1], s[10:11]
	s_cbranch_execz .LBB1_295
.LBB1_294:
	s_mov_b32 s8, 0x6dc9c883
	s_mov_b32 s9, 0x3fe45f30
	v_mul_f64 v[12:13], |v[10:11]|, s[8:9]
	s_mov_b32 s8, 0x54442d18
	v_rndne_f64_e32 v[50:51], v[12:13]
	s_mov_b32 s9, 0xbff921fb
	v_fma_f64 v[12:13], v[50:51], s[8:9], |v[10:11]|
	s_mov_b32 s9, 0xbc91a626
	s_mov_b32 s8, 0x33145c00
	v_mul_f64 v[52:53], v[50:51], s[8:9]
	v_add_f64 v[70:71], v[12:13], v[52:53]
	v_fma_f64 v[38:39], s[8:9], v[50:51], v[12:13]
	s_mov_b32 s9, 0x3c91a626
	v_add_f64 v[12:13], v[12:13], -v[70:71]
	v_fma_f64 v[68:69], s[8:9], v[50:51], v[52:53]
	v_add_f64 v[12:13], v[12:13], v[52:53]
	v_add_f64 v[52:53], v[70:71], -v[38:39]
	v_add_f64 v[12:13], v[52:53], v[12:13]
	s_mov_b32 s8, 0x252049c0
	v_add_f64 v[52:53], v[12:13], -v[68:69]
	s_mov_b32 s9, 0xb97b839a
	v_fmac_f64_e32 v[52:53], s[8:9], v[50:51]
	v_add_f64 v[12:13], v[38:39], v[52:53]
	v_add_f64 v[38:39], v[12:13], -v[38:39]
	v_add_f64 v[38:39], v[52:53], -v[38:39]
	v_cvt_i32_f64_e32 v49, v[50:51]
.LBB1_295:
	s_or_b64 exec, exec, s[0:1]
                                        ; implicit-def: $vgpr68
                                        ; implicit-def: $vgpr50_vgpr51
                                        ; implicit-def: $vgpr52_vgpr53
	s_and_saveexec_b64 s[0:1], s[6:7]
	s_xor_b64 s[6:7], exec, s[0:1]
	s_cbranch_execz .LBB1_297
; %bb.296:
	s_mov_b32 s0, 0
	s_mov_b32 s1, 0x7b000000
	s_movk_i32 s8, 0xff80
	v_and_b32_e32 v52, 0x7fffffff, v11
	v_ldexp_f64 v[50:51], |v[10:11]|, s8
	v_cmp_ge_f64_e64 vcc, |v[10:11]|, s[0:1]
	s_mov_b32 s0, 0
	s_mov_b32 s1, 0x7ff00000
	v_cndmask_b32_e32 v51, v52, v51, vcc
	v_cndmask_b32_e32 v50, v10, v50, vcc
	v_mul_f64 v[68:69], v[66:67], v[50:51]
	v_mul_f64 v[52:53], v[64:65], v[50:51]
	v_fma_f64 v[66:67], v[66:67], v[50:51], -v[68:69]
	v_add_f64 v[70:71], v[52:53], v[66:67]
	v_add_f64 v[80:81], v[68:69], v[70:71]
	v_ldexp_f64 v[82:83], v[80:81], -2
	v_fract_f64_e32 v[84:85], v[82:83]
	v_cmp_neq_f64_e64 vcc, |v[82:83]|, s[0:1]
	v_add_f64 v[68:69], v[80:81], -v[68:69]
	v_add_f64 v[68:69], v[70:71], -v[68:69]
	v_cndmask_b32_e32 v83, 0, v85, vcc
	v_cndmask_b32_e32 v82, 0, v84, vcc
	v_add_f64 v[84:85], v[70:71], -v[52:53]
	v_add_f64 v[66:67], v[66:67], -v[84:85]
	;; [unrolled: 1-line block ×4, first 2 shown]
	v_fma_f64 v[52:53], v[64:65], v[50:51], -v[52:53]
	v_mul_f64 v[64:65], v[54:55], v[50:51]
	v_add_f64 v[66:67], v[66:67], v[84:85]
	v_add_f64 v[84:85], v[64:65], v[52:53]
	;; [unrolled: 1-line block ×3, first 2 shown]
	v_add_f64 v[80:81], v[96:97], -v[84:85]
	v_add_f64 v[66:67], v[66:67], -v[80:81]
	;; [unrolled: 1-line block ×4, first 2 shown]
	v_add_f64 v[66:67], v[66:67], v[80:81]
	v_add_f64 v[80:81], v[84:85], -v[64:65]
	v_add_f64 v[52:53], v[52:53], -v[80:81]
	;; [unrolled: 1-line block ×4, first 2 shown]
	v_add_f64 v[52:53], v[52:53], v[80:81]
	v_add_f64 v[52:53], v[52:53], v[66:67]
	v_fma_f64 v[50:51], v[54:55], v[50:51], -v[64:65]
	v_add_f64 v[70:71], v[68:69], v[96:97]
	v_add_f64 v[50:51], v[50:51], v[52:53]
	v_ldexp_f64 v[52:53], v[82:83], 2
	v_add_f64 v[54:55], v[70:71], v[52:53]
	v_mov_b32_e32 v64, 0x40100000
	v_cmp_gt_f64_e32 vcc, 0, v[54:55]
	v_mov_b32_e32 v86, 0
	v_add_f64 v[68:69], v[70:71], -v[68:69]
	v_cndmask_b32_e32 v87, 0, v64, vcc
	v_add_f64 v[52:53], v[52:53], v[86:87]
	v_add_f64 v[54:55], v[70:71], v[52:53]
	v_cvt_i32_f64_e32 v64, v[54:55]
	v_cvt_f64_i32_e32 v[54:55], v64
	v_add_f64 v[52:53], v[52:53], -v[54:55]
	v_add_f64 v[54:55], v[70:71], v[52:53]
	v_add_f64 v[68:69], v[96:97], -v[68:69]
	v_add_f64 v[52:53], v[54:55], -v[52:53]
	v_add_f64 v[50:51], v[68:69], v[50:51]
	v_add_f64 v[52:53], v[70:71], -v[52:53]
	v_add_f64 v[50:51], v[50:51], v[52:53]
	v_cmp_le_f64_e32 vcc, 0.5, v[54:55]
	v_mov_b32_e32 v52, 0x3ff00000
	s_mov_b32 s8, 0x33145c07
	v_cndmask_b32_e32 v87, 0, v52, vcc
	v_addc_co_u32_e64 v68, s[0:1], 0, v64, vcc
	v_add_f64 v[52:53], v[54:55], -v[86:87]
	v_add_f64 v[54:55], v[52:53], v[50:51]
	s_mov_b32 s0, 0x54442d18
	v_add_f64 v[52:53], v[54:55], -v[52:53]
	s_mov_b32 s1, 0x3ff921fb
	v_add_f64 v[50:51], v[50:51], -v[52:53]
	v_mul_f64 v[52:53], v[54:55], s[0:1]
	v_fma_f64 v[64:65], v[54:55], s[0:1], -v[52:53]
	s_mov_b32 s9, 0x3c91a626
	v_fmac_f64_e32 v[64:65], s[8:9], v[54:55]
	v_fmac_f64_e32 v[64:65], s[0:1], v[50:51]
	v_add_f64 v[50:51], v[52:53], v[64:65]
	v_add_f64 v[52:53], v[50:51], -v[52:53]
	v_add_f64 v[52:53], v[64:65], -v[52:53]
	s_andn2_saveexec_b64 s[0:1], s[6:7]
	s_cbranch_execnz .LBB1_298
	s_branch .LBB1_299
.LBB1_297:
	s_andn2_saveexec_b64 s[0:1], s[6:7]
	s_cbranch_execz .LBB1_299
.LBB1_298:
	s_mov_b32 s6, 0x6dc9c883
	s_mov_b32 s7, 0x3fe45f30
	v_mul_f64 v[50:51], |v[10:11]|, s[6:7]
	s_mov_b32 s6, 0x54442d18
	v_rndne_f64_e32 v[54:55], v[50:51]
	s_mov_b32 s7, 0xbff921fb
	v_fma_f64 v[50:51], v[54:55], s[6:7], |v[10:11]|
	s_mov_b32 s7, 0xbc91a626
	s_mov_b32 s6, 0x33145c00
	v_mul_f64 v[64:65], v[54:55], s[6:7]
	v_add_f64 v[68:69], v[50:51], v[64:65]
	v_fma_f64 v[52:53], s[6:7], v[54:55], v[50:51]
	s_mov_b32 s7, 0x3c91a626
	v_add_f64 v[50:51], v[50:51], -v[68:69]
	v_fma_f64 v[66:67], s[6:7], v[54:55], v[64:65]
	v_add_f64 v[50:51], v[50:51], v[64:65]
	v_add_f64 v[64:65], v[68:69], -v[52:53]
	v_add_f64 v[50:51], v[64:65], v[50:51]
	s_mov_b32 s6, 0x252049c0
	v_add_f64 v[64:65], v[50:51], -v[66:67]
	s_mov_b32 s7, 0xb97b839a
	v_fmac_f64_e32 v[64:65], s[6:7], v[54:55]
	v_add_f64 v[50:51], v[52:53], v[64:65]
	v_add_f64 v[52:53], v[50:51], -v[52:53]
	v_add_f64 v[52:53], v[64:65], -v[52:53]
	v_cvt_i32_f64_e32 v68, v[54:55]
.LBB1_299:
	s_or_b64 exec, exec, s[0:1]
	s_mov_b32 s0, 0
	v_mul_f64 v[54:55], v[2:3], v[2:3]
	s_mov_b32 s1, 0x40390000
	v_div_scale_f64 v[64:65], s[6:7], v[54:55], v[54:55], s[0:1]
	v_rcp_f64_e32 v[66:67], v[64:65]
	v_mov_b32_e32 v82, 0xb1759c7f
	v_mov_b32_e32 v83, 0x408ac370
	;; [unrolled: 1-line block ×3, first 2 shown]
	v_fma_f64 v[70:71], -v[64:65], v[66:67], 1.0
	v_fmac_f64_e32 v[66:67], v[66:67], v[70:71]
	v_fma_f64 v[70:71], -v[64:65], v[66:67], 1.0
	v_fmac_f64_e32 v[66:67], v[66:67], v[70:71]
	v_div_scale_f64 v[70:71], vcc, s[0:1], v[54:55], s[0:1]
	v_mul_f64 v[80:81], v[70:71], v[66:67]
	v_fma_f64 v[64:65], -v[64:65], v[80:81], v[70:71]
	v_mov_b32_e32 v70, 0xab5454e3
	s_nop 0
	v_div_fmas_f64 v[64:65], v[64:65], v[66:67], v[80:81]
	v_div_fixup_f64 v[54:55], v[64:65], v[54:55], s[0:1]
	v_mov_b32_e32 v64, 0x983b6b27
	v_mov_b32_e32 v65, 0x3f4a1d30
	v_fmac_f64_e32 v[64:65], 0, v[54:55]
	v_mov_b32_e32 v66, 0xb35dd1cf
	v_mov_b32_e32 v67, 0x3fb534b0
	v_fmac_f64_e32 v[66:67], v[54:55], v[64:65]
	;; [unrolled: 3-line block ×7, first 2 shown]
	v_mov_b32_e32 v71, 0x3fb5ebc5
	v_fmac_f64_e32 v[70:71], v[54:55], v[64:65]
	v_mov_b32_e32 v64, 0xc9b3069f
	v_mov_b32_e32 v65, 0x3ff40e72
	v_fmac_f64_e32 v[64:65], v[54:55], v[70:71]
	v_mov_b32_e32 v70, 0xe68162bb
	;; [unrolled: 3-line block ×4, first 2 shown]
	v_mov_b32_e32 v71, 0x40153965
	v_fmac_f64_e32 v[70:71], v[54:55], v[64:65]
	v_fma_f64 v[64:65], v[54:55], v[70:71], 1.0
	v_mov_b32_e32 v70, 0x38a5384a
	v_mov_b32_e32 v71, 0xbf874742
	v_fmac_f64_e32 v[70:71], 0, v[54:55]
	v_mov_b32_e32 v80, 0x3a321174
	v_mov_b32_e32 v81, 0xbff4853b
	v_fmac_f64_e32 v[80:81], v[54:55], v[70:71]
	;; [unrolled: 3-line block ×9, first 2 shown]
	v_fmac_f64_e32 v[82:83], v[54:55], v[70:71]
	v_mov_b32_e32 v70, 0xbd748cb5
	v_mov_b32_e32 v71, 0x40ae54cd
	v_fmac_f64_e32 v[70:71], v[54:55], v[82:83]
	v_mov_b32_e32 v82, 0xbdefd63e
	v_mov_b32_e32 v83, 0x40bc4877
	;; [unrolled: 3-line block ×4, first 2 shown]
	v_fma_f64 v[66:67], v[54:55], v[66:67], 1.0
	v_fmac_f64_e32 v[82:83], v[54:55], v[70:71]
	v_div_scale_f64 v[70:71], s[0:1], v[64:65], v[64:65], v[66:67]
	v_rcp_f64_e32 v[84:85], v[70:71]
	v_mov_b32_e32 v87, 0x406e402f
	v_fmac_f64_e32 v[86:87], v[54:55], v[82:83]
	s_mov_b32 s0, 0x9037ab78
	v_fma_f64 v[54:55], -v[70:71], v[84:85], 1.0
	v_fmac_f64_e32 v[84:85], v[84:85], v[54:55]
	v_fma_f64 v[54:55], -v[70:71], v[84:85], 1.0
	v_fmac_f64_e32 v[84:85], v[84:85], v[54:55]
	v_div_scale_f64 v[54:55], vcc, v[66:67], v[64:65], v[66:67]
	v_mul_f64 v[82:83], v[54:55], v[84:85]
	v_fma_f64 v[54:55], -v[70:71], v[82:83], v[54:55]
	s_mov_b32 s1, 0x3e21eeb6
	s_nop 0
	v_div_fmas_f64 v[54:55], v[54:55], v[84:85], v[82:83]
	s_mov_b32 s6, 0x46cc5e42
	v_div_fixup_f64 v[54:55], v[54:55], v[64:65], v[66:67]
	v_mul_f64 v[64:65], v[12:13], v[12:13]
	s_mov_b32 s7, 0xbda907db
	v_mov_b64_e32 v[84:85], s[0:1]
	s_mov_b32 s8, 0xa17f65f6
	v_mul_f64 v[66:67], v[64:65], 0.5
	v_fma_f64 v[96:97], s[6:7], v[64:65], v[84:85]
	s_mov_b32 s9, 0xbe927e4f
	s_mov_b32 s10, 0x19f4ec90
	v_add_f64 v[70:71], -v[66:67], 1.0
	v_fma_f64 v[96:97], v[64:65], v[96:97], s[8:9]
	s_mov_b32 s11, 0x3efa01a0
	s_mov_b32 s12, 0x16c16967
	v_add_f64 v[82:83], -v[70:71], 1.0
	v_fma_f64 v[96:97], v[64:65], v[96:97], s[10:11]
	s_mov_b32 s13, 0xbf56c16c
	s_mov_b32 s14, 0x55555555
	v_add_f64 v[66:67], v[82:83], -v[66:67]
	v_fma_f64 v[96:97], v[64:65], v[96:97], s[12:13]
	s_mov_b32 s15, 0x3fa55555
	v_mul_f64 v[82:83], v[64:65], v[64:65]
	v_fma_f64 v[96:97], v[64:65], v[96:97], s[14:15]
	v_fma_f64 v[66:67], v[12:13], -v[38:39], v[66:67]
	s_mov_b32 s0, 0xb42fdfa7
	v_fmac_f64_e32 v[66:67], v[82:83], v[96:97]
	s_mov_b32 s1, 0xbe5ae600
	s_mov_b32 s16, 0xf9a43bb8
	v_add_f64 v[66:67], v[70:71], v[66:67]
	s_mov_b32 s17, 0x3de5e0b2
	v_mov_b64_e32 v[70:71], s[0:1]
	s_mov_b32 s18, 0x796cde01
	v_fma_f64 v[82:83], s[16:17], v[64:65], v[70:71]
	s_mov_b32 s19, 0x3ec71de3
	s_mov_b32 s20, 0x19e83e5c
	v_fma_f64 v[82:83], v[64:65], v[82:83], s[18:19]
	s_mov_b32 s21, 0xbf2a01a0
	;; [unrolled: 3-line block ×3, first 2 shown]
	v_fma_f64 v[82:83], v[64:65], v[82:83], s[22:23]
	v_mul_f64 v[96:97], v[12:13], -v[64:65]
	v_mul_f64 v[98:99], v[38:39], 0.5
	v_fmac_f64_e32 v[98:99], v[96:97], v[82:83]
	v_fma_f64 v[38:39], v[64:65], v[98:99], -v[38:39]
	s_mov_b32 s25, 0xbfc55555
	s_mov_b32 s24, s14
	v_fmac_f64_e32 v[38:39], s[24:25], v[96:97]
	v_add_f64 v[12:13], v[12:13], -v[38:39]
	v_and_b32_e32 v38, 1, v49
	v_cmp_eq_u32_e32 vcc, 0, v38
	s_mov_b32 s26, 0
	s_mov_b32 s27, 0x40140000
	v_cndmask_b32_e32 v64, v66, v12, vcc
	v_cndmask_b32_e32 v12, v67, v13, vcc
	v_lshlrev_b32_e32 v13, 30, v49
	v_xor_b32_e32 v13, v13, v11
	v_and_b32_e32 v13, 0x80000000, v13
	v_xor_b32_e32 v49, v12, v13
	v_div_scale_f64 v[12:13], s[0:1], v[2:3], v[2:3], s[26:27]
	v_rcp_f64_e32 v[38:39], v[12:13]
	s_movk_i32 s28, 0x1f8
	v_cmp_class_f64_e64 s[0:1], v[10:11], s28
	v_mov_b32_e32 v69, 0x7ff80000
	s_nop 0
	v_cndmask_b32_e64 v10, 0, v64, s[0:1]
	v_fma_f64 v[64:65], -v[12:13], v[38:39], 1.0
	v_fmac_f64_e32 v[38:39], v[38:39], v[64:65]
	v_fma_f64 v[64:65], -v[12:13], v[38:39], 1.0
	v_fmac_f64_e32 v[38:39], v[38:39], v[64:65]
	v_div_scale_f64 v[64:65], vcc, s[26:27], v[2:3], s[26:27]
	v_mul_f64 v[66:67], v[64:65], v[38:39]
	v_fma_f64 v[12:13], -v[12:13], v[66:67], v[64:65]
	v_div_scale_f64 v[64:65], s[28:29], v[86:87], v[86:87], v[80:81]
	v_rcp_f64_e32 v[82:83], v[64:65]
	v_div_fmas_f64 v[12:13], v[12:13], v[38:39], v[66:67]
	v_div_fixup_f64 v[12:13], v[12:13], v[2:3], s[26:27]
	v_cndmask_b32_e64 v11, v69, v49, s[0:1]
	v_fma_f64 v[38:39], -v[64:65], v[82:83], 1.0
	v_fmac_f64_e32 v[82:83], v[82:83], v[38:39]
	v_fma_f64 v[38:39], -v[64:65], v[82:83], 1.0
	v_fmac_f64_e32 v[82:83], v[82:83], v[38:39]
	v_div_scale_f64 v[38:39], vcc, v[80:81], v[86:87], v[80:81]
	v_mul_f64 v[66:67], v[38:39], v[82:83]
	v_fma_f64 v[38:39], -v[64:65], v[66:67], v[38:39]
	v_and_b32_e32 v49, 1, v68
	s_nop 0
	v_div_fmas_f64 v[38:39], v[38:39], v[82:83], v[66:67]
	v_div_fixup_f64 v[38:39], v[38:39], v[86:87], v[80:81]
	v_mul_f64 v[12:13], v[12:13], v[38:39]
	v_mul_f64 v[38:39], v[50:51], v[50:51]
	v_mul_f64 v[64:65], v[38:39], 0.5
	v_fmac_f64_e32 v[84:85], s[6:7], v[38:39]
	v_add_f64 v[66:67], -v[64:65], 1.0
	v_fma_f64 v[82:83], v[38:39], v[84:85], s[8:9]
	v_add_f64 v[80:81], -v[66:67], 1.0
	v_fma_f64 v[82:83], v[38:39], v[82:83], s[10:11]
	v_add_f64 v[64:65], v[80:81], -v[64:65]
	v_fma_f64 v[82:83], v[38:39], v[82:83], s[12:13]
	v_mul_f64 v[80:81], v[38:39], v[38:39]
	v_fma_f64 v[82:83], v[38:39], v[82:83], s[14:15]
	v_fma_f64 v[64:65], v[50:51], -v[52:53], v[64:65]
	v_fmac_f64_e32 v[64:65], v[80:81], v[82:83]
	v_fmac_f64_e32 v[70:71], s[16:17], v[38:39]
	v_add_f64 v[64:65], v[66:67], v[64:65]
	v_fma_f64 v[66:67], v[38:39], v[70:71], s[18:19]
	v_fma_f64 v[66:67], v[38:39], v[66:67], s[20:21]
	;; [unrolled: 1-line block ×3, first 2 shown]
	v_mul_f64 v[70:71], v[50:51], -v[38:39]
	v_mul_f64 v[80:81], v[52:53], 0.5
	v_fmac_f64_e32 v[80:81], v[70:71], v[66:67]
	v_fma_f64 v[38:39], v[38:39], v[80:81], -v[52:53]
	v_fmac_f64_e32 v[38:39], s[24:25], v[70:71]
	v_add_f64 v[38:39], v[50:51], -v[38:39]
	v_xor_b32_e32 v39, 0x80000000, v39
	v_cmp_eq_u32_e32 vcc, 0, v49
	v_lshlrev_b32_e32 v49, 30, v68
	v_and_b32_e32 v49, 0x80000000, v49
	v_cndmask_b32_e32 v39, v39, v65, vcc
	v_cndmask_b32_e32 v38, v38, v64, vcc
	v_xor_b32_e32 v39, v39, v49
	v_cndmask_b32_e64 v38, 0, v38, s[0:1]
	v_cndmask_b32_e64 v39, v69, v39, s[0:1]
	s_mov_b32 s0, 0
	s_brev_b32 s1, 8
	v_mul_f64 v[12:13], v[12:13], v[38:39]
	v_cmp_gt_f64_e32 vcc, s[0:1], v[2:3]
	v_fmac_f64_e32 v[12:13], v[54:55], v[10:11]
	s_mov_b32 s0, 0x33d43651
	v_cndmask_b32_e64 v10, 0, 1, vcc
	v_lshlrev_b32_e32 v10, 8, v10
	v_ldexp_f64 v[2:3], v[2:3], v10
	v_rsq_f64_e32 v[10:11], v[2:3]
	s_mov_b32 s1, 0x3fe98845
	v_mul_f64 v[12:13], v[12:13], s[0:1]
	v_mul_f64 v[38:39], v[2:3], v[10:11]
	v_mul_f64 v[10:11], v[10:11], 0.5
	v_fma_f64 v[50:51], -v[10:11], v[38:39], 0.5
	v_fmac_f64_e32 v[38:39], v[38:39], v[50:51]
	v_fma_f64 v[52:53], -v[38:39], v[38:39], v[2:3]
	v_fmac_f64_e32 v[10:11], v[10:11], v[50:51]
	v_fmac_f64_e32 v[38:39], v[52:53], v[10:11]
	v_fma_f64 v[50:51], -v[38:39], v[38:39], v[2:3]
	v_fmac_f64_e32 v[38:39], v[50:51], v[10:11]
	v_mov_b32_e32 v10, 0xffffff80
	v_cndmask_b32_e32 v10, 0, v10, vcc
	v_ldexp_f64 v[10:11], v[38:39], v10
	v_mov_b32_e32 v38, 0x260
	v_cmp_class_f64_e32 vcc, v[2:3], v38
	s_nop 1
	v_cndmask_b32_e32 v3, v11, v3, vcc
	v_cndmask_b32_e32 v2, v10, v2, vcc
	v_div_scale_f64 v[10:11], s[0:1], v[2:3], v[2:3], v[12:13]
	v_rcp_f64_e32 v[38:39], v[10:11]
	s_nop 0
	v_fma_f64 v[50:51], -v[10:11], v[38:39], 1.0
	v_fmac_f64_e32 v[38:39], v[38:39], v[50:51]
	v_fma_f64 v[50:51], -v[10:11], v[38:39], 1.0
	v_fmac_f64_e32 v[38:39], v[38:39], v[50:51]
	v_div_scale_f64 v[50:51], vcc, v[12:13], v[2:3], v[12:13]
	v_mul_f64 v[52:53], v[50:51], v[38:39]
	v_fma_f64 v[10:11], -v[10:11], v[52:53], v[50:51]
	s_nop 1
	v_div_fmas_f64 v[10:11], v[10:11], v[38:39], v[52:53]
	v_div_fixup_f64 v[10:11], v[10:11], v[2:3], v[12:13]
.LBB1_300:
	s_or_b64 exec, exec, s[4:5]
	s_mov_b32 s0, 0
	s_mov_b32 s1, 0x40140000
	v_cmp_ge_f64_e32 vcc, s[0:1], v[4:5]
	s_and_saveexec_b64 s[0:1], vcc
	s_xor_b64 s[0:1], exec, s[0:1]
	s_cbranch_execz .LBB1_310
; %bb.301:
	v_mov_b32_e32 v12, 0
	v_cmp_neq_f64_e32 vcc, 0, v[4:5]
	v_mov_b32_e32 v13, 0xfff00000
	s_and_saveexec_b64 s[4:5], vcc
	s_cbranch_execz .LBB1_309
; %bb.302:
	v_mov_b32_e32 v12, 0
	v_cmp_ngt_f64_e32 vcc, 0, v[4:5]
	v_mov_b32_e32 v13, 0x7ff80000
	s_and_saveexec_b64 s[6:7], vcc
	s_cbranch_execz .LBB1_308
; %bb.303:
	s_mov_b32 s8, 0x88e368f1
	v_mul_f64 v[12:13], v[4:5], v[4:5]
	s_mov_b32 s9, 0x3ee4f8b5
	v_mul_f64 v[38:39], v[12:13], 0
	v_cmp_ngt_f64_e32 vcc, s[8:9], v[4:5]
                                        ; implicit-def: $vgpr2_vgpr3
	s_and_saveexec_b64 s[8:9], vcc
	s_xor_b64 s[8:9], exec, s[8:9]
	s_cbranch_execz .LBB1_305
; %bb.304:
	s_mov_b32 s10, 0xad1c8325
	s_mov_b32 s11, 0xc1f1dc53
	v_add_f64 v[2:3], v[38:39], s[10:11]
	v_mov_b32_e32 v50, 0xc772990d
	v_mov_b32_e32 v51, 0x427c7751
	s_mov_b32 s10, 0xa696b78c
	v_fmac_f64_e32 v[50:51], v[12:13], v[2:3]
	v_mov_b32_e32 v2, 0xe0d900f7
	v_mov_b32_e32 v3, 0xc2ec5614
	s_mov_b32 s11, 0x407f3902
	v_fmac_f64_e32 v[2:3], v[12:13], v[50:51]
	v_add_f64 v[50:51], v[38:39], s[10:11]
	v_mov_b32_e32 v52, 0x36a21a67
	v_mov_b32_e32 v53, 0x410536cb
	v_fmac_f64_e32 v[52:53], v[12:13], v[50:51]
	v_mov_b32_e32 v50, 0x2eac0634
	v_mov_b32_e32 v51, 0x41871934
	v_fmac_f64_e32 v[50:51], v[12:13], v[52:53]
	;; [unrolled: 3-line block ×6, first 2 shown]
	v_mov_b32_e32 v52, 0xc7b662cc
	v_mov_b32_e32 v53, 0x43b7be34
	s_mov_b32 s10, 0x80462bbb
	v_fmac_f64_e32 v[52:53], v[12:13], v[50:51]
	v_mov_b32_e32 v50, 0x69ff5fb4
	v_mov_b32_e32 v51, 0x43413ef8
	s_mov_b32 s11, 0xc01721fb
	v_fmac_f64_e32 v[50:51], v[12:13], v[2:3]
	v_add_f64 v[2:3], v[12:13], s[10:11]
	s_mov_b32 s10, 0xa621dd6f
	s_mov_b32 s11, 0xc03e78a4
	v_add_f64 v[54:55], v[12:13], s[10:11]
	v_mul_f64 v[2:3], v[2:3], v[54:55]
	v_mul_f64 v[2:3], v[2:3], v[50:51]
	v_div_scale_f64 v[50:51], s[10:11], v[52:53], v[52:53], v[2:3]
	v_rcp_f64_e32 v[54:55], v[50:51]
	s_nop 0
	v_fma_f64 v[64:65], -v[50:51], v[54:55], 1.0
	v_fmac_f64_e32 v[54:55], v[54:55], v[64:65]
	v_fma_f64 v[64:65], -v[50:51], v[54:55], 1.0
	v_fmac_f64_e32 v[54:55], v[54:55], v[64:65]
	v_div_scale_f64 v[64:65], vcc, v[2:3], v[52:53], v[2:3]
	v_mul_f64 v[66:67], v[64:65], v[54:55]
	v_fma_f64 v[50:51], -v[50:51], v[66:67], v[64:65]
	s_nop 1
	v_div_fmas_f64 v[50:51], v[50:51], v[54:55], v[66:67]
	v_div_fixup_f64 v[2:3], v[50:51], v[52:53], v[2:3]
.LBB1_305:
	s_andn2_saveexec_b64 s[8:9], s[8:9]
; %bb.306:
	s_mov_b32 s10, 0
	s_mov_b32 s11, 0xbfd00000
	v_fma_f64 v[2:3], v[12:13], s[10:11], 1.0
; %bb.307:
	s_or_b64 exec, exec, s[8:9]
	s_mov_b32 s8, 0xe896898f
	s_mov_b32 s9, 0x40ce7437
	v_add_f64 v[50:51], v[38:39], s[8:9]
	v_mov_b32_e32 v52, 0x32e48896
	v_mov_b32_e32 v53, 0xc16bf81f
	v_fmac_f64_e32 v[52:53], v[12:13], v[50:51]
	v_mov_b32_e32 v50, 0xf0284cdd
	v_mov_b32_e32 v51, 0x41f43f78
	v_fmac_f64_e32 v[50:51], v[12:13], v[52:53]
	;; [unrolled: 3-line block ×4, first 2 shown]
	v_mov_b32_e32 v52, 0xd1d8cc02
	v_mov_b32_e32 v53, 0xc328a121
	s_mov_b32 s8, 0x576dfcb6
	v_fmac_f64_e32 v[52:53], v[12:13], v[50:51]
	v_mov_b32_e32 v50, 0x660b4003
	v_mov_b32_e32 v51, 0x4363a94b
	s_mov_b32 s9, 0x40904522
	v_fmac_f64_e32 v[50:51], v[12:13], v[52:53]
	v_add_f64 v[38:39], v[38:39], s[8:9]
	v_mov_b32_e32 v52, 0xa907bc0c
	v_mov_b32_e32 v53, 0x41231b76
	v_fmac_f64_e32 v[52:53], v[12:13], v[38:39]
	v_mov_b32_e32 v38, 0x5164d101
	v_mov_b32_e32 v39, 0x41b00763
	v_fmac_f64_e32 v[38:39], v[12:13], v[52:53]
	;; [unrolled: 3-line block ×7, first 2 shown]
	v_div_scale_f64 v[12:13], s[8:9], v[38:39], v[38:39], v[52:53]
	v_rcp_f64_e32 v[50:51], v[12:13]
	s_mov_b32 s8, 0x55555555
	v_frexp_exp_i32_f64_e32 v49, v[4:5]
	v_frexp_mant_f64_e32 v[4:5], v[4:5]
	v_fma_f64 v[54:55], -v[12:13], v[50:51], 1.0
	v_fmac_f64_e32 v[50:51], v[50:51], v[54:55]
	v_fma_f64 v[54:55], -v[12:13], v[50:51], 1.0
	v_fmac_f64_e32 v[50:51], v[50:51], v[54:55]
	v_div_scale_f64 v[54:55], vcc, v[52:53], v[38:39], v[52:53]
	v_mul_f64 v[64:65], v[54:55], v[50:51]
	v_fma_f64 v[12:13], -v[12:13], v[64:65], v[54:55]
	s_mov_b32 s9, 0x3fe55555
	s_nop 0
	v_div_fmas_f64 v[12:13], v[12:13], v[50:51], v[64:65]
	v_div_fixup_f64 v[12:13], v[12:13], v[38:39], v[52:53]
	v_mov_b32_e32 v38, 0x3ff00000
	v_cmp_gt_f64_e32 vcc, s[8:9], v[4:5]
	s_mov_b32 s8, 0xbf559e2b
	s_mov_b32 s9, 0x3fc3ab76
	v_cndmask_b32_e64 v39, v38, 2.0, vcc
	v_mov_b32_e32 v38, 0
	v_mul_f64 v[4:5], v[4:5], v[38:39]
	v_add_f64 v[38:39], v[4:5], 1.0
	v_rcp_f64_e32 v[50:51], v[38:39]
	v_add_f64 v[54:55], v[38:39], -1.0
	v_add_f64 v[52:53], v[4:5], -1.0
	v_add_f64 v[4:5], v[4:5], -v[54:55]
	v_fma_f64 v[54:55], -v[38:39], v[50:51], 1.0
	v_fmac_f64_e32 v[50:51], v[54:55], v[50:51]
	v_fma_f64 v[54:55], -v[38:39], v[50:51], 1.0
	v_fmac_f64_e32 v[50:51], v[54:55], v[50:51]
	v_mul_f64 v[54:55], v[52:53], v[50:51]
	v_mul_f64 v[64:65], v[38:39], v[54:55]
	v_fma_f64 v[38:39], v[54:55], v[38:39], -v[64:65]
	v_fmac_f64_e32 v[38:39], v[54:55], v[4:5]
	v_add_f64 v[4:5], v[64:65], v[38:39]
	v_add_f64 v[66:67], v[52:53], -v[4:5]
	v_add_f64 v[64:65], v[4:5], -v[64:65]
	;; [unrolled: 1-line block ×5, first 2 shown]
	v_add_f64 v[4:5], v[38:39], v[4:5]
	v_add_f64 v[4:5], v[66:67], v[4:5]
	v_mul_f64 v[4:5], v[50:51], v[4:5]
	v_add_f64 v[38:39], v[54:55], v[4:5]
	v_add_f64 v[50:51], v[38:39], -v[54:55]
	v_add_f64 v[4:5], v[4:5], -v[50:51]
	v_mul_f64 v[50:51], v[38:39], v[38:39]
	v_mov_b32_e32 v52, 0x6b47b09a
	v_mov_b32_e32 v53, 0x3fc38538
	v_fmac_f64_e32 v[52:53], s[8:9], v[50:51]
	v_mov_b32_e32 v54, 0xd7f4df2e
	v_mov_b32_e32 v55, 0x3fc7474d
	v_fmac_f64_e32 v[54:55], v[50:51], v[52:53]
	;; [unrolled: 3-line block ×6, first 2 shown]
	v_ldexp_f64 v[52:53], v[38:39], 1
	v_mul_f64 v[38:39], v[38:39], v[50:51]
	v_mul_f64 v[38:39], v[38:39], v[54:55]
	v_add_f64 v[50:51], v[52:53], v[38:39]
	v_add_f64 v[52:53], v[50:51], -v[52:53]
	v_ldexp_f64 v[4:5], v[4:5], 1
	v_add_f64 v[38:39], v[38:39], -v[52:53]
	v_add_f64 v[4:5], v[4:5], v[38:39]
	v_add_f64 v[38:39], v[50:51], v[4:5]
	v_subbrev_co_u32_e32 v49, vcc, 0, v49, vcc
	v_add_f64 v[50:51], v[38:39], -v[50:51]
	s_mov_b32 s8, 0xfefa39ef
	v_add_f64 v[4:5], v[4:5], -v[50:51]
	v_cvt_f64_i32_e32 v[50:51], v49
	s_mov_b32 s9, 0x3fe62e42
	v_mul_f64 v[52:53], v[50:51], s[8:9]
	v_fma_f64 v[54:55], v[50:51], s[8:9], -v[52:53]
	s_mov_b32 s8, 0x3b39803f
	s_mov_b32 s9, 0x3c7abc9e
	v_fmac_f64_e32 v[54:55], s[8:9], v[50:51]
	v_add_f64 v[50:51], v[52:53], v[54:55]
	v_add_f64 v[52:53], v[50:51], -v[52:53]
	v_add_f64 v[52:53], v[54:55], -v[52:53]
	v_add_f64 v[54:55], v[50:51], v[38:39]
	v_add_f64 v[64:65], v[54:55], -v[50:51]
	v_add_f64 v[66:67], v[54:55], -v[64:65]
	;; [unrolled: 1-line block ×4, first 2 shown]
	v_add_f64 v[38:39], v[38:39], v[50:51]
	v_add_f64 v[50:51], v[52:53], v[4:5]
	v_add_f64 v[64:65], v[50:51], -v[52:53]
	v_add_f64 v[66:67], v[50:51], -v[64:65]
	v_add_f64 v[38:39], v[50:51], v[38:39]
	v_add_f64 v[52:53], v[52:53], -v[66:67]
	v_add_f64 v[4:5], v[4:5], -v[64:65]
	v_add_f64 v[50:51], v[54:55], v[38:39]
	v_add_f64 v[4:5], v[4:5], v[52:53]
	v_add_f64 v[52:53], v[50:51], -v[54:55]
	v_add_f64 v[38:39], v[38:39], -v[52:53]
	v_add_f64 v[4:5], v[4:5], v[38:39]
	s_mov_b32 s8, 0x6dc9c883
	v_add_f64 v[4:5], v[50:51], v[4:5]
	s_mov_b32 s9, 0x3fe45f30
	v_mul_f64 v[4:5], v[4:5], s[8:9]
	v_fmac_f64_e32 v[12:13], v[4:5], v[2:3]
.LBB1_308:
	s_or_b64 exec, exec, s[6:7]
.LBB1_309:
	s_or_b64 exec, exec, s[4:5]
                                        ; implicit-def: $vgpr4_vgpr5
.LBB1_310:
	s_andn2_saveexec_b64 s[4:5], s[0:1]
	s_cbranch_execz .LBB1_320
; %bb.311:
	s_mov_b32 s9, 0xbfe921fb
	s_mov_b32 s8, 0x54442d18
	;; [unrolled: 1-line block ×3, first 2 shown]
	v_add_f64 v[2:3], v[4:5], s[8:9]
	s_mov_b32 s1, 0x41d00000
	v_cmp_nlt_f64_e64 s[6:7], |v[2:3]|, s[0:1]
	v_trig_preop_f64 v[66:67], |v[2:3]|, 0
	v_trig_preop_f64 v[64:65], |v[2:3]|, 1
	v_trig_preop_f64 v[54:55], |v[2:3]|, 2
                                        ; implicit-def: $vgpr49
                                        ; implicit-def: $vgpr12_vgpr13
                                        ; implicit-def: $vgpr38_vgpr39
	s_and_saveexec_b64 s[0:1], s[6:7]
	s_xor_b64 s[10:11], exec, s[0:1]
	s_cbranch_execz .LBB1_313
; %bb.312:
	s_mov_b32 s0, 0
	s_mov_b32 s1, 0x7b000000
	s_movk_i32 s9, 0xff80
	v_and_b32_e32 v38, 0x7fffffff, v3
	v_ldexp_f64 v[12:13], |v[2:3]|, s9
	v_cmp_ge_f64_e64 vcc, |v[2:3]|, s[0:1]
	s_mov_b32 s0, 0
	s_mov_b32 s1, 0x7ff00000
	v_cndmask_b32_e32 v13, v38, v13, vcc
	v_cndmask_b32_e32 v12, v2, v12, vcc
	v_mul_f64 v[50:51], v[66:67], v[12:13]
	v_mul_f64 v[38:39], v[64:65], v[12:13]
	v_fma_f64 v[52:53], v[66:67], v[12:13], -v[50:51]
	v_add_f64 v[68:69], v[38:39], v[52:53]
	v_add_f64 v[70:71], v[50:51], v[68:69]
	v_ldexp_f64 v[80:81], v[70:71], -2
	v_fract_f64_e32 v[82:83], v[80:81]
	v_cmp_neq_f64_e64 vcc, |v[80:81]|, s[0:1]
	v_add_f64 v[50:51], v[70:71], -v[50:51]
	v_add_f64 v[50:51], v[68:69], -v[50:51]
	v_cndmask_b32_e32 v81, 0, v83, vcc
	v_cndmask_b32_e32 v80, 0, v82, vcc
	v_add_f64 v[82:83], v[68:69], -v[38:39]
	v_add_f64 v[52:53], v[52:53], -v[82:83]
	;; [unrolled: 1-line block ×4, first 2 shown]
	v_add_f64 v[52:53], v[52:53], v[82:83]
	v_fma_f64 v[38:39], v[64:65], v[12:13], -v[38:39]
	v_mul_f64 v[82:83], v[54:55], v[12:13]
	v_add_f64 v[86:87], v[82:83], v[38:39]
	v_add_f64 v[96:97], v[86:87], v[52:53]
	v_add_f64 v[70:71], v[96:97], -v[86:87]
	v_add_f64 v[52:53], v[52:53], -v[70:71]
	;; [unrolled: 1-line block ×4, first 2 shown]
	v_add_f64 v[52:53], v[52:53], v[70:71]
	v_add_f64 v[70:71], v[86:87], -v[82:83]
	v_add_f64 v[38:39], v[38:39], -v[70:71]
	;; [unrolled: 1-line block ×4, first 2 shown]
	v_add_f64 v[68:69], v[50:51], v[96:97]
	v_add_f64 v[38:39], v[38:39], v[70:71]
	v_add_f64 v[50:51], v[68:69], -v[50:51]
	v_add_f64 v[38:39], v[38:39], v[52:53]
	v_fma_f64 v[12:13], v[54:55], v[12:13], -v[82:83]
	v_add_f64 v[50:51], v[96:97], -v[50:51]
	v_add_f64 v[12:13], v[12:13], v[38:39]
	v_ldexp_f64 v[38:39], v[80:81], 2
	v_add_f64 v[12:13], v[50:51], v[12:13]
	v_add_f64 v[50:51], v[68:69], v[38:39]
	v_mov_b32_e32 v49, 0x40100000
	v_cmp_gt_f64_e32 vcc, 0, v[50:51]
	v_mov_b32_e32 v84, 0
	s_mov_b32 s9, 0x3ff921fb
	v_cndmask_b32_e32 v85, 0, v49, vcc
	v_add_f64 v[38:39], v[38:39], v[84:85]
	v_add_f64 v[50:51], v[68:69], v[38:39]
	v_cvt_i32_f64_e32 v49, v[50:51]
	v_cvt_f64_i32_e32 v[50:51], v49
	v_add_f64 v[38:39], v[38:39], -v[50:51]
	v_add_f64 v[50:51], v[68:69], v[38:39]
	v_add_f64 v[38:39], v[50:51], -v[38:39]
	v_add_f64 v[38:39], v[68:69], -v[38:39]
	v_add_f64 v[12:13], v[12:13], v[38:39]
	v_cmp_le_f64_e32 vcc, 0.5, v[50:51]
	v_mov_b32_e32 v38, 0x3ff00000
	s_nop 0
	v_cndmask_b32_e32 v85, 0, v38, vcc
	v_add_f64 v[38:39], v[50:51], -v[84:85]
	v_add_f64 v[50:51], v[38:39], v[12:13]
	v_addc_co_u32_e64 v49, s[0:1], 0, v49, vcc
	v_add_f64 v[38:39], v[50:51], -v[38:39]
	v_add_f64 v[12:13], v[12:13], -v[38:39]
	v_mul_f64 v[38:39], v[50:51], s[8:9]
	s_mov_b32 s0, 0x33145c07
	v_fma_f64 v[52:53], v[50:51], s[8:9], -v[38:39]
	s_mov_b32 s1, 0x3c91a626
	v_fmac_f64_e32 v[52:53], s[0:1], v[50:51]
	v_fmac_f64_e32 v[52:53], s[8:9], v[12:13]
	v_add_f64 v[12:13], v[38:39], v[52:53]
	v_add_f64 v[38:39], v[12:13], -v[38:39]
	v_add_f64 v[38:39], v[52:53], -v[38:39]
	s_andn2_saveexec_b64 s[0:1], s[10:11]
	s_cbranch_execz .LBB1_315
	s_branch .LBB1_314
.LBB1_313:
	s_andn2_saveexec_b64 s[0:1], s[10:11]
	s_cbranch_execz .LBB1_315
.LBB1_314:
	s_mov_b32 s8, 0x6dc9c883
	s_mov_b32 s9, 0x3fe45f30
	v_mul_f64 v[12:13], |v[2:3]|, s[8:9]
	s_mov_b32 s8, 0x54442d18
	v_rndne_f64_e32 v[50:51], v[12:13]
	s_mov_b32 s9, 0xbff921fb
	v_fma_f64 v[12:13], v[50:51], s[8:9], |v[2:3]|
	s_mov_b32 s9, 0xbc91a626
	s_mov_b32 s8, 0x33145c00
	v_mul_f64 v[52:53], v[50:51], s[8:9]
	v_add_f64 v[70:71], v[12:13], v[52:53]
	v_fma_f64 v[38:39], s[8:9], v[50:51], v[12:13]
	s_mov_b32 s9, 0x3c91a626
	v_add_f64 v[12:13], v[12:13], -v[70:71]
	v_fma_f64 v[68:69], s[8:9], v[50:51], v[52:53]
	v_add_f64 v[12:13], v[12:13], v[52:53]
	v_add_f64 v[52:53], v[70:71], -v[38:39]
	v_add_f64 v[12:13], v[52:53], v[12:13]
	s_mov_b32 s8, 0x252049c0
	v_add_f64 v[52:53], v[12:13], -v[68:69]
	s_mov_b32 s9, 0xb97b839a
	v_fmac_f64_e32 v[52:53], s[8:9], v[50:51]
	v_add_f64 v[12:13], v[38:39], v[52:53]
	v_add_f64 v[38:39], v[12:13], -v[38:39]
	v_add_f64 v[38:39], v[52:53], -v[38:39]
	v_cvt_i32_f64_e32 v49, v[50:51]
.LBB1_315:
	s_or_b64 exec, exec, s[0:1]
                                        ; implicit-def: $vgpr68
                                        ; implicit-def: $vgpr50_vgpr51
                                        ; implicit-def: $vgpr52_vgpr53
	s_and_saveexec_b64 s[0:1], s[6:7]
	s_xor_b64 s[6:7], exec, s[0:1]
	s_cbranch_execz .LBB1_317
; %bb.316:
	s_mov_b32 s0, 0
	s_mov_b32 s1, 0x7b000000
	s_movk_i32 s8, 0xff80
	v_and_b32_e32 v52, 0x7fffffff, v3
	v_ldexp_f64 v[50:51], |v[2:3]|, s8
	v_cmp_ge_f64_e64 vcc, |v[2:3]|, s[0:1]
	s_mov_b32 s0, 0
	s_mov_b32 s1, 0x7ff00000
	v_cndmask_b32_e32 v51, v52, v51, vcc
	v_cndmask_b32_e32 v50, v2, v50, vcc
	v_mul_f64 v[68:69], v[66:67], v[50:51]
	v_mul_f64 v[52:53], v[64:65], v[50:51]
	v_fma_f64 v[66:67], v[66:67], v[50:51], -v[68:69]
	v_add_f64 v[70:71], v[52:53], v[66:67]
	v_add_f64 v[80:81], v[68:69], v[70:71]
	v_ldexp_f64 v[82:83], v[80:81], -2
	v_fract_f64_e32 v[84:85], v[82:83]
	v_cmp_neq_f64_e64 vcc, |v[82:83]|, s[0:1]
	v_add_f64 v[68:69], v[80:81], -v[68:69]
	v_add_f64 v[68:69], v[70:71], -v[68:69]
	v_cndmask_b32_e32 v83, 0, v85, vcc
	v_cndmask_b32_e32 v82, 0, v84, vcc
	v_add_f64 v[84:85], v[70:71], -v[52:53]
	v_add_f64 v[66:67], v[66:67], -v[84:85]
	;; [unrolled: 1-line block ×4, first 2 shown]
	v_fma_f64 v[52:53], v[64:65], v[50:51], -v[52:53]
	v_mul_f64 v[64:65], v[54:55], v[50:51]
	v_add_f64 v[66:67], v[66:67], v[84:85]
	v_add_f64 v[84:85], v[64:65], v[52:53]
	;; [unrolled: 1-line block ×3, first 2 shown]
	v_add_f64 v[80:81], v[96:97], -v[84:85]
	v_add_f64 v[66:67], v[66:67], -v[80:81]
	;; [unrolled: 1-line block ×4, first 2 shown]
	v_add_f64 v[66:67], v[66:67], v[80:81]
	v_add_f64 v[80:81], v[84:85], -v[64:65]
	v_add_f64 v[52:53], v[52:53], -v[80:81]
	;; [unrolled: 1-line block ×4, first 2 shown]
	v_add_f64 v[52:53], v[52:53], v[80:81]
	v_add_f64 v[52:53], v[52:53], v[66:67]
	v_fma_f64 v[50:51], v[54:55], v[50:51], -v[64:65]
	v_add_f64 v[70:71], v[68:69], v[96:97]
	v_add_f64 v[50:51], v[50:51], v[52:53]
	v_ldexp_f64 v[52:53], v[82:83], 2
	v_add_f64 v[54:55], v[70:71], v[52:53]
	v_mov_b32_e32 v64, 0x40100000
	v_cmp_gt_f64_e32 vcc, 0, v[54:55]
	v_mov_b32_e32 v86, 0
	v_add_f64 v[68:69], v[70:71], -v[68:69]
	v_cndmask_b32_e32 v87, 0, v64, vcc
	v_add_f64 v[52:53], v[52:53], v[86:87]
	v_add_f64 v[54:55], v[70:71], v[52:53]
	v_cvt_i32_f64_e32 v64, v[54:55]
	v_cvt_f64_i32_e32 v[54:55], v64
	v_add_f64 v[52:53], v[52:53], -v[54:55]
	v_add_f64 v[54:55], v[70:71], v[52:53]
	v_add_f64 v[68:69], v[96:97], -v[68:69]
	v_add_f64 v[52:53], v[54:55], -v[52:53]
	v_add_f64 v[50:51], v[68:69], v[50:51]
	v_add_f64 v[52:53], v[70:71], -v[52:53]
	v_add_f64 v[50:51], v[50:51], v[52:53]
	v_cmp_le_f64_e32 vcc, 0.5, v[54:55]
	v_mov_b32_e32 v52, 0x3ff00000
	s_mov_b32 s8, 0x33145c07
	v_cndmask_b32_e32 v87, 0, v52, vcc
	v_addc_co_u32_e64 v68, s[0:1], 0, v64, vcc
	v_add_f64 v[52:53], v[54:55], -v[86:87]
	v_add_f64 v[54:55], v[52:53], v[50:51]
	s_mov_b32 s0, 0x54442d18
	v_add_f64 v[52:53], v[54:55], -v[52:53]
	s_mov_b32 s1, 0x3ff921fb
	v_add_f64 v[50:51], v[50:51], -v[52:53]
	v_mul_f64 v[52:53], v[54:55], s[0:1]
	v_fma_f64 v[64:65], v[54:55], s[0:1], -v[52:53]
	s_mov_b32 s9, 0x3c91a626
	v_fmac_f64_e32 v[64:65], s[8:9], v[54:55]
	v_fmac_f64_e32 v[64:65], s[0:1], v[50:51]
	v_add_f64 v[50:51], v[52:53], v[64:65]
	v_add_f64 v[52:53], v[50:51], -v[52:53]
	v_add_f64 v[52:53], v[64:65], -v[52:53]
	s_andn2_saveexec_b64 s[0:1], s[6:7]
	s_cbranch_execnz .LBB1_318
	s_branch .LBB1_319
.LBB1_317:
	s_andn2_saveexec_b64 s[0:1], s[6:7]
	s_cbranch_execz .LBB1_319
.LBB1_318:
	s_mov_b32 s6, 0x6dc9c883
	s_mov_b32 s7, 0x3fe45f30
	v_mul_f64 v[50:51], |v[2:3]|, s[6:7]
	s_mov_b32 s6, 0x54442d18
	v_rndne_f64_e32 v[54:55], v[50:51]
	s_mov_b32 s7, 0xbff921fb
	v_fma_f64 v[50:51], v[54:55], s[6:7], |v[2:3]|
	s_mov_b32 s7, 0xbc91a626
	s_mov_b32 s6, 0x33145c00
	v_mul_f64 v[64:65], v[54:55], s[6:7]
	v_add_f64 v[68:69], v[50:51], v[64:65]
	v_fma_f64 v[52:53], s[6:7], v[54:55], v[50:51]
	s_mov_b32 s7, 0x3c91a626
	v_add_f64 v[50:51], v[50:51], -v[68:69]
	v_fma_f64 v[66:67], s[6:7], v[54:55], v[64:65]
	v_add_f64 v[50:51], v[50:51], v[64:65]
	v_add_f64 v[64:65], v[68:69], -v[52:53]
	v_add_f64 v[50:51], v[64:65], v[50:51]
	s_mov_b32 s6, 0x252049c0
	v_add_f64 v[64:65], v[50:51], -v[66:67]
	s_mov_b32 s7, 0xb97b839a
	v_fmac_f64_e32 v[64:65], s[6:7], v[54:55]
	v_add_f64 v[50:51], v[52:53], v[64:65]
	v_add_f64 v[52:53], v[50:51], -v[52:53]
	v_add_f64 v[52:53], v[64:65], -v[52:53]
	v_cvt_i32_f64_e32 v68, v[54:55]
.LBB1_319:
	s_or_b64 exec, exec, s[0:1]
	s_mov_b32 s0, 0
	v_mul_f64 v[54:55], v[4:5], v[4:5]
	s_mov_b32 s1, 0x40390000
	v_div_scale_f64 v[64:65], s[6:7], v[54:55], v[54:55], s[0:1]
	v_rcp_f64_e32 v[66:67], v[64:65]
	v_mov_b32_e32 v82, 0xb1759c7f
	v_mov_b32_e32 v83, 0x408ac370
	;; [unrolled: 1-line block ×3, first 2 shown]
	v_fma_f64 v[70:71], -v[64:65], v[66:67], 1.0
	v_fmac_f64_e32 v[66:67], v[66:67], v[70:71]
	v_fma_f64 v[70:71], -v[64:65], v[66:67], 1.0
	v_fmac_f64_e32 v[66:67], v[66:67], v[70:71]
	v_div_scale_f64 v[70:71], vcc, s[0:1], v[54:55], s[0:1]
	v_mul_f64 v[80:81], v[70:71], v[66:67]
	v_fma_f64 v[64:65], -v[64:65], v[80:81], v[70:71]
	v_mov_b32_e32 v70, 0xab5454e3
	s_nop 0
	v_div_fmas_f64 v[64:65], v[64:65], v[66:67], v[80:81]
	v_div_fixup_f64 v[54:55], v[64:65], v[54:55], s[0:1]
	v_mov_b32_e32 v64, 0x983b6b27
	v_mov_b32_e32 v65, 0x3f4a1d30
	v_fmac_f64_e32 v[64:65], 0, v[54:55]
	v_mov_b32_e32 v66, 0xb35dd1cf
	v_mov_b32_e32 v67, 0x3fb534b0
	v_fmac_f64_e32 v[66:67], v[54:55], v[64:65]
	;; [unrolled: 3-line block ×7, first 2 shown]
	v_mov_b32_e32 v71, 0x3fb5ebc5
	v_fmac_f64_e32 v[70:71], v[54:55], v[64:65]
	v_mov_b32_e32 v64, 0xc9b3069f
	v_mov_b32_e32 v65, 0x3ff40e72
	v_fmac_f64_e32 v[64:65], v[54:55], v[70:71]
	v_mov_b32_e32 v70, 0xe68162bb
	;; [unrolled: 3-line block ×4, first 2 shown]
	v_mov_b32_e32 v71, 0x40153965
	v_fmac_f64_e32 v[70:71], v[54:55], v[64:65]
	v_fma_f64 v[64:65], v[54:55], v[70:71], 1.0
	v_mov_b32_e32 v70, 0x38a5384a
	v_mov_b32_e32 v71, 0xbf874742
	v_fmac_f64_e32 v[70:71], 0, v[54:55]
	v_mov_b32_e32 v80, 0x3a321174
	v_mov_b32_e32 v81, 0xbff4853b
	v_fmac_f64_e32 v[80:81], v[54:55], v[70:71]
	;; [unrolled: 3-line block ×9, first 2 shown]
	v_fmac_f64_e32 v[82:83], v[54:55], v[70:71]
	v_mov_b32_e32 v70, 0xbd748cb5
	v_mov_b32_e32 v71, 0x40ae54cd
	v_fmac_f64_e32 v[70:71], v[54:55], v[82:83]
	v_mov_b32_e32 v82, 0xbdefd63e
	v_mov_b32_e32 v83, 0x40bc4877
	;; [unrolled: 3-line block ×4, first 2 shown]
	v_fma_f64 v[66:67], v[54:55], v[66:67], 1.0
	v_fmac_f64_e32 v[82:83], v[54:55], v[70:71]
	v_div_scale_f64 v[70:71], s[0:1], v[64:65], v[64:65], v[66:67]
	v_rcp_f64_e32 v[84:85], v[70:71]
	v_mov_b32_e32 v87, 0x406e402f
	v_fmac_f64_e32 v[86:87], v[54:55], v[82:83]
	s_mov_b32 s0, 0x9037ab78
	v_fma_f64 v[54:55], -v[70:71], v[84:85], 1.0
	v_fmac_f64_e32 v[84:85], v[84:85], v[54:55]
	v_fma_f64 v[54:55], -v[70:71], v[84:85], 1.0
	v_fmac_f64_e32 v[84:85], v[84:85], v[54:55]
	v_div_scale_f64 v[54:55], vcc, v[66:67], v[64:65], v[66:67]
	v_mul_f64 v[82:83], v[54:55], v[84:85]
	v_fma_f64 v[54:55], -v[70:71], v[82:83], v[54:55]
	s_mov_b32 s1, 0x3e21eeb6
	s_nop 0
	v_div_fmas_f64 v[54:55], v[54:55], v[84:85], v[82:83]
	s_mov_b32 s6, 0x46cc5e42
	v_div_fixup_f64 v[54:55], v[54:55], v[64:65], v[66:67]
	v_mul_f64 v[64:65], v[12:13], v[12:13]
	s_mov_b32 s7, 0xbda907db
	v_mov_b64_e32 v[84:85], s[0:1]
	s_mov_b32 s8, 0xa17f65f6
	v_mul_f64 v[66:67], v[64:65], 0.5
	v_fma_f64 v[96:97], s[6:7], v[64:65], v[84:85]
	s_mov_b32 s9, 0xbe927e4f
	s_mov_b32 s10, 0x19f4ec90
	v_add_f64 v[70:71], -v[66:67], 1.0
	v_fma_f64 v[96:97], v[64:65], v[96:97], s[8:9]
	s_mov_b32 s11, 0x3efa01a0
	s_mov_b32 s12, 0x16c16967
	v_add_f64 v[82:83], -v[70:71], 1.0
	v_fma_f64 v[96:97], v[64:65], v[96:97], s[10:11]
	s_mov_b32 s13, 0xbf56c16c
	s_mov_b32 s14, 0x55555555
	v_add_f64 v[66:67], v[82:83], -v[66:67]
	v_fma_f64 v[96:97], v[64:65], v[96:97], s[12:13]
	s_mov_b32 s15, 0x3fa55555
	v_mul_f64 v[82:83], v[64:65], v[64:65]
	v_fma_f64 v[96:97], v[64:65], v[96:97], s[14:15]
	v_fma_f64 v[66:67], v[12:13], -v[38:39], v[66:67]
	s_mov_b32 s0, 0xb42fdfa7
	v_fmac_f64_e32 v[66:67], v[82:83], v[96:97]
	s_mov_b32 s1, 0xbe5ae600
	s_mov_b32 s16, 0xf9a43bb8
	v_add_f64 v[66:67], v[70:71], v[66:67]
	s_mov_b32 s17, 0x3de5e0b2
	v_mov_b64_e32 v[70:71], s[0:1]
	s_mov_b32 s18, 0x796cde01
	v_fma_f64 v[82:83], s[16:17], v[64:65], v[70:71]
	s_mov_b32 s19, 0x3ec71de3
	s_mov_b32 s20, 0x19e83e5c
	v_fma_f64 v[82:83], v[64:65], v[82:83], s[18:19]
	s_mov_b32 s21, 0xbf2a01a0
	;; [unrolled: 3-line block ×3, first 2 shown]
	v_fma_f64 v[82:83], v[64:65], v[82:83], s[22:23]
	v_mul_f64 v[96:97], v[12:13], -v[64:65]
	v_mul_f64 v[98:99], v[38:39], 0.5
	v_fmac_f64_e32 v[98:99], v[96:97], v[82:83]
	v_fma_f64 v[38:39], v[64:65], v[98:99], -v[38:39]
	s_mov_b32 s25, 0xbfc55555
	s_mov_b32 s24, s14
	v_fmac_f64_e32 v[38:39], s[24:25], v[96:97]
	v_add_f64 v[12:13], v[12:13], -v[38:39]
	v_and_b32_e32 v38, 1, v49
	v_cmp_eq_u32_e32 vcc, 0, v38
	s_mov_b32 s26, 0
	s_mov_b32 s27, 0x40140000
	v_cndmask_b32_e32 v64, v66, v12, vcc
	v_cndmask_b32_e32 v12, v67, v13, vcc
	v_lshlrev_b32_e32 v13, 30, v49
	v_xor_b32_e32 v13, v13, v3
	v_and_b32_e32 v13, 0x80000000, v13
	v_xor_b32_e32 v49, v12, v13
	v_div_scale_f64 v[12:13], s[0:1], v[4:5], v[4:5], s[26:27]
	v_rcp_f64_e32 v[38:39], v[12:13]
	s_movk_i32 s28, 0x1f8
	v_cmp_class_f64_e64 s[0:1], v[2:3], s28
	v_mov_b32_e32 v69, 0x7ff80000
	s_nop 0
	v_cndmask_b32_e64 v2, 0, v64, s[0:1]
	v_fma_f64 v[64:65], -v[12:13], v[38:39], 1.0
	v_fmac_f64_e32 v[38:39], v[38:39], v[64:65]
	v_fma_f64 v[64:65], -v[12:13], v[38:39], 1.0
	v_fmac_f64_e32 v[38:39], v[38:39], v[64:65]
	v_div_scale_f64 v[64:65], vcc, s[26:27], v[4:5], s[26:27]
	v_mul_f64 v[66:67], v[64:65], v[38:39]
	v_fma_f64 v[12:13], -v[12:13], v[66:67], v[64:65]
	v_div_scale_f64 v[64:65], s[28:29], v[86:87], v[86:87], v[80:81]
	v_rcp_f64_e32 v[82:83], v[64:65]
	v_div_fmas_f64 v[12:13], v[12:13], v[38:39], v[66:67]
	v_div_fixup_f64 v[12:13], v[12:13], v[4:5], s[26:27]
	v_cndmask_b32_e64 v3, v69, v49, s[0:1]
	v_fma_f64 v[38:39], -v[64:65], v[82:83], 1.0
	v_fmac_f64_e32 v[82:83], v[82:83], v[38:39]
	v_fma_f64 v[38:39], -v[64:65], v[82:83], 1.0
	v_fmac_f64_e32 v[82:83], v[82:83], v[38:39]
	v_div_scale_f64 v[38:39], vcc, v[80:81], v[86:87], v[80:81]
	v_mul_f64 v[66:67], v[38:39], v[82:83]
	v_fma_f64 v[38:39], -v[64:65], v[66:67], v[38:39]
	v_and_b32_e32 v49, 1, v68
	s_nop 0
	v_div_fmas_f64 v[38:39], v[38:39], v[82:83], v[66:67]
	v_div_fixup_f64 v[38:39], v[38:39], v[86:87], v[80:81]
	v_mul_f64 v[12:13], v[12:13], v[38:39]
	v_mul_f64 v[38:39], v[50:51], v[50:51]
	v_mul_f64 v[64:65], v[38:39], 0.5
	v_fmac_f64_e32 v[84:85], s[6:7], v[38:39]
	v_add_f64 v[66:67], -v[64:65], 1.0
	v_fma_f64 v[82:83], v[38:39], v[84:85], s[8:9]
	v_add_f64 v[80:81], -v[66:67], 1.0
	v_fma_f64 v[82:83], v[38:39], v[82:83], s[10:11]
	v_add_f64 v[64:65], v[80:81], -v[64:65]
	v_fma_f64 v[82:83], v[38:39], v[82:83], s[12:13]
	v_mul_f64 v[80:81], v[38:39], v[38:39]
	v_fma_f64 v[82:83], v[38:39], v[82:83], s[14:15]
	v_fma_f64 v[64:65], v[50:51], -v[52:53], v[64:65]
	v_fmac_f64_e32 v[64:65], v[80:81], v[82:83]
	v_fmac_f64_e32 v[70:71], s[16:17], v[38:39]
	v_add_f64 v[64:65], v[66:67], v[64:65]
	v_fma_f64 v[66:67], v[38:39], v[70:71], s[18:19]
	v_fma_f64 v[66:67], v[38:39], v[66:67], s[20:21]
	;; [unrolled: 1-line block ×3, first 2 shown]
	v_mul_f64 v[70:71], v[50:51], -v[38:39]
	v_mul_f64 v[80:81], v[52:53], 0.5
	v_fmac_f64_e32 v[80:81], v[70:71], v[66:67]
	v_fma_f64 v[38:39], v[38:39], v[80:81], -v[52:53]
	v_fmac_f64_e32 v[38:39], s[24:25], v[70:71]
	v_add_f64 v[38:39], v[50:51], -v[38:39]
	v_xor_b32_e32 v39, 0x80000000, v39
	v_cmp_eq_u32_e32 vcc, 0, v49
	v_lshlrev_b32_e32 v49, 30, v68
	v_and_b32_e32 v49, 0x80000000, v49
	v_cndmask_b32_e32 v39, v39, v65, vcc
	v_cndmask_b32_e32 v38, v38, v64, vcc
	v_xor_b32_e32 v39, v39, v49
	v_cndmask_b32_e64 v38, 0, v38, s[0:1]
	v_cndmask_b32_e64 v39, v69, v39, s[0:1]
	s_mov_b32 s0, 0
	s_brev_b32 s1, 8
	v_mul_f64 v[12:13], v[12:13], v[38:39]
	v_cmp_gt_f64_e32 vcc, s[0:1], v[4:5]
	v_fmac_f64_e32 v[12:13], v[54:55], v[2:3]
	s_mov_b32 s0, 0x33d43651
	v_cndmask_b32_e64 v2, 0, 1, vcc
	v_lshlrev_b32_e32 v2, 8, v2
	v_ldexp_f64 v[2:3], v[4:5], v2
	v_rsq_f64_e32 v[4:5], v[2:3]
	s_mov_b32 s1, 0x3fe98845
	v_mul_f64 v[12:13], v[12:13], s[0:1]
	v_mul_f64 v[38:39], v[2:3], v[4:5]
	v_mul_f64 v[4:5], v[4:5], 0.5
	v_fma_f64 v[50:51], -v[4:5], v[38:39], 0.5
	v_fmac_f64_e32 v[38:39], v[38:39], v[50:51]
	v_fma_f64 v[52:53], -v[38:39], v[38:39], v[2:3]
	v_fmac_f64_e32 v[4:5], v[4:5], v[50:51]
	v_fmac_f64_e32 v[38:39], v[52:53], v[4:5]
	v_fma_f64 v[50:51], -v[38:39], v[38:39], v[2:3]
	v_fmac_f64_e32 v[38:39], v[50:51], v[4:5]
	v_mov_b32_e32 v4, 0xffffff80
	v_cndmask_b32_e32 v4, 0, v4, vcc
	v_ldexp_f64 v[4:5], v[38:39], v4
	v_mov_b32_e32 v38, 0x260
	v_cmp_class_f64_e32 vcc, v[2:3], v38
	s_nop 1
	v_cndmask_b32_e32 v3, v5, v3, vcc
	v_cndmask_b32_e32 v2, v4, v2, vcc
	v_div_scale_f64 v[4:5], s[0:1], v[2:3], v[2:3], v[12:13]
	v_rcp_f64_e32 v[38:39], v[4:5]
	s_nop 0
	v_fma_f64 v[50:51], -v[4:5], v[38:39], 1.0
	v_fmac_f64_e32 v[38:39], v[38:39], v[50:51]
	v_fma_f64 v[50:51], -v[4:5], v[38:39], 1.0
	v_fmac_f64_e32 v[38:39], v[38:39], v[50:51]
	v_div_scale_f64 v[50:51], vcc, v[12:13], v[2:3], v[12:13]
	v_mul_f64 v[52:53], v[50:51], v[38:39]
	v_fma_f64 v[4:5], -v[4:5], v[52:53], v[50:51]
	s_nop 1
	v_div_fmas_f64 v[4:5], v[4:5], v[38:39], v[52:53]
	v_div_fixup_f64 v[12:13], v[4:5], v[2:3], v[12:13]
.LBB1_320:
	s_or_b64 exec, exec, s[4:5]
	v_lshl_add_u64 v[0:1], s[2:3], 3, v[0:1]
	v_mov_b32_e32 v49, 0
	v_lshl_add_u64 v[0:1], v[0:1], 0, v[48:49]
	s_movk_i32 s0, 0x2000
	v_add_co_u32_e32 v2, vcc, s0, v0
	s_movk_i32 s0, 0x4000
	s_nop 0
	v_addc_co_u32_e32 v3, vcc, 0, v1, vcc
	flat_store_dwordx4 v[0:1], v[6:9]
	flat_store_dwordx4 v[0:1], v[14:17] offset:16
	flat_store_dwordx4 v[2:3], v[22:25]
	flat_store_dwordx4 v[2:3], v[30:33] offset:16
	v_add_co_u32_e32 v2, vcc, s0, v0
	s_nop 1
	v_addc_co_u32_e32 v3, vcc, 0, v1, vcc
	v_add_co_u32_e32 v0, vcc, 0x6000, v0
	flat_store_dwordx4 v[2:3], v[34:37]
	flat_store_dwordx4 v[2:3], v[26:29] offset:16
	v_addc_co_u32_e32 v1, vcc, 0, v1, vcc
	flat_store_dwordx4 v[0:1], v[18:21]
	flat_store_dwordx4 v[0:1], v[10:13] offset:16
	s_waitcnt vmcnt(0) lgkmcnt(0)
	s_setpc_b64 s[30:31]
.Lfunc_end1:
	.size	_ZN2at6native25elementwise_kernel_helperILb0EZZZNS0_12_GLOBAL__N_121bessel_y0_kernel_cudaERNS_18TensorIteratorBaseEENKUlvE_clEvENKUlvE_clEvEUldE_NS0_6memory8policies10vectorizedILi4ESt5arrayIPcLm2EELi16EEEEEvT0_T1_, .Lfunc_end1-_ZN2at6native25elementwise_kernel_helperILb0EZZZNS0_12_GLOBAL__N_121bessel_y0_kernel_cudaERNS_18TensorIteratorBaseEENKUlvE_clEvENKUlvE_clEvEUldE_NS0_6memory8policies10vectorizedILi4ESt5arrayIPcLm2EELi16EEEEEvT0_T1_
                                        ; -- End function
	.section	.AMDGPU.csdata,"",@progbits
; Function info:
; codeLenInByte = 84068
; NumSgprs: 38
; NumVgprs: 100
; NumAgprs: 0
; TotalNumVgprs: 100
; ScratchSize: 0
; MemoryBound: 0
	.section	.text._ZN2at6native29vectorized_elementwise_kernelILi16EZZZNS0_12_GLOBAL__N_121bessel_y0_kernel_cudaERNS_18TensorIteratorBaseEENKUlvE_clEvENKUlvE_clEvEUldE_St5arrayIPcLm2EEEEviT0_T1_,"axG",@progbits,_ZN2at6native29vectorized_elementwise_kernelILi16EZZZNS0_12_GLOBAL__N_121bessel_y0_kernel_cudaERNS_18TensorIteratorBaseEENKUlvE_clEvENKUlvE_clEvEUldE_St5arrayIPcLm2EEEEviT0_T1_,comdat
	.globl	_ZN2at6native29vectorized_elementwise_kernelILi16EZZZNS0_12_GLOBAL__N_121bessel_y0_kernel_cudaERNS_18TensorIteratorBaseEENKUlvE_clEvENKUlvE_clEvEUldE_St5arrayIPcLm2EEEEviT0_T1_ ; -- Begin function _ZN2at6native29vectorized_elementwise_kernelILi16EZZZNS0_12_GLOBAL__N_121bessel_y0_kernel_cudaERNS_18TensorIteratorBaseEENKUlvE_clEvENKUlvE_clEvEUldE_St5arrayIPcLm2EEEEviT0_T1_
	.p2align	8
	.type	_ZN2at6native29vectorized_elementwise_kernelILi16EZZZNS0_12_GLOBAL__N_121bessel_y0_kernel_cudaERNS_18TensorIteratorBaseEENKUlvE_clEvENKUlvE_clEvEUldE_St5arrayIPcLm2EEEEviT0_T1_,@function
_ZN2at6native29vectorized_elementwise_kernelILi16EZZZNS0_12_GLOBAL__N_121bessel_y0_kernel_cudaERNS_18TensorIteratorBaseEENKUlvE_clEvENKUlvE_clEvEUldE_St5arrayIPcLm2EEEEviT0_T1_: ; @_ZN2at6native29vectorized_elementwise_kernelILi16EZZZNS0_12_GLOBAL__N_121bessel_y0_kernel_cudaERNS_18TensorIteratorBaseEENKUlvE_clEvENKUlvE_clEvEUldE_St5arrayIPcLm2EEEEviT0_T1_
; %bb.0:
	s_mov_b32 s33, s2
	s_load_dword s2, s[0:1], 0x0
	s_load_dwordx4 s[36:39], s[0:1], 0x8
	s_lshl_b32 s0, s33, 12
	v_mov_b32_e32 v40, v0
	s_mov_b32 s32, 0
	s_waitcnt lgkmcnt(0)
	s_sub_i32 s34, s2, s0
	s_cmpk_gt_i32 s34, 0xfff
	s_mov_b64 s[0:1], -1
	s_cbranch_scc1 .LBB2_3
; %bb.1:
	s_andn2_b64 vcc, exec, s[0:1]
	s_cbranch_vccz .LBB2_4
.LBB2_2:
	s_endpgm
.LBB2_3:
	s_mov_b32 s12, s33
	v_mov_b32_e32 v31, v40
	v_mov_b32_e32 v0, s36
	;; [unrolled: 1-line block ×5, first 2 shown]
	s_getpc_b64 s[0:1]
	s_add_u32 s0, s0, _ZN2at6native25elementwise_kernel_helperILb0EZZZNS0_12_GLOBAL__N_121bessel_y0_kernel_cudaERNS_18TensorIteratorBaseEENKUlvE_clEvENKUlvE_clEvEUldE_NS0_6memory8policies10vectorizedILi4ESt5arrayIPcLm2EELi16EEEEEvT0_T1_@rel32@lo+4
	s_addc_u32 s1, s1, _ZN2at6native25elementwise_kernel_helperILb0EZZZNS0_12_GLOBAL__N_121bessel_y0_kernel_cudaERNS_18TensorIteratorBaseEENKUlvE_clEvENKUlvE_clEvEUldE_NS0_6memory8policies10vectorizedILi4ESt5arrayIPcLm2EELi16EEEEEvT0_T1_@rel32@hi+12
	s_swappc_b64 s[30:31], s[0:1]
	s_cbranch_execnz .LBB2_2
.LBB2_4:
	s_mov_b32 s12, s33
	v_mov_b32_e32 v31, v40
	v_mov_b32_e32 v0, s36
	;; [unrolled: 1-line block ×6, first 2 shown]
	s_getpc_b64 s[0:1]
	s_add_u32 s0, s0, _ZN2at6native25elementwise_kernel_helperILb0EZZZNS0_12_GLOBAL__N_121bessel_y0_kernel_cudaERNS_18TensorIteratorBaseEENKUlvE_clEvENKUlvE_clEvEUldE_NS0_6memory8policies11unroll_baseILi256ESt5arrayIPcLm2EE23TrivialOffsetCalculatorILi1EjESF_NS8_15LoadWithoutCastENS8_16StoreWithoutCastELi16ELi1EEEEEvT0_T1_@rel32@lo+4
	s_addc_u32 s1, s1, _ZN2at6native25elementwise_kernel_helperILb0EZZZNS0_12_GLOBAL__N_121bessel_y0_kernel_cudaERNS_18TensorIteratorBaseEENKUlvE_clEvENKUlvE_clEvEUldE_NS0_6memory8policies11unroll_baseILi256ESt5arrayIPcLm2EE23TrivialOffsetCalculatorILi1EjESF_NS8_15LoadWithoutCastENS8_16StoreWithoutCastELi16ELi1EEEEEvT0_T1_@rel32@hi+12
	s_swappc_b64 s[30:31], s[0:1]
	s_endpgm
	.section	.rodata,"a",@progbits
	.p2align	6, 0x0
	.amdhsa_kernel _ZN2at6native29vectorized_elementwise_kernelILi16EZZZNS0_12_GLOBAL__N_121bessel_y0_kernel_cudaERNS_18TensorIteratorBaseEENKUlvE_clEvENKUlvE_clEvEUldE_St5arrayIPcLm2EEEEviT0_T1_
		.amdhsa_group_segment_fixed_size 0
		.amdhsa_private_segment_fixed_size 8
		.amdhsa_kernarg_size 24
		.amdhsa_user_sgpr_count 2
		.amdhsa_user_sgpr_dispatch_ptr 0
		.amdhsa_user_sgpr_queue_ptr 0
		.amdhsa_user_sgpr_kernarg_segment_ptr 1
		.amdhsa_user_sgpr_dispatch_id 0
		.amdhsa_user_sgpr_kernarg_preload_length 0
		.amdhsa_user_sgpr_kernarg_preload_offset 0
		.amdhsa_user_sgpr_private_segment_size 0
		.amdhsa_uses_dynamic_stack 0
		.amdhsa_enable_private_segment 1
		.amdhsa_system_sgpr_workgroup_id_x 1
		.amdhsa_system_sgpr_workgroup_id_y 0
		.amdhsa_system_sgpr_workgroup_id_z 0
		.amdhsa_system_sgpr_workgroup_info 0
		.amdhsa_system_vgpr_workitem_id 0
		.amdhsa_next_free_vgpr 102
		.amdhsa_next_free_sgpr 40
		.amdhsa_accum_offset 104
		.amdhsa_reserve_vcc 1
		.amdhsa_float_round_mode_32 0
		.amdhsa_float_round_mode_16_64 0
		.amdhsa_float_denorm_mode_32 3
		.amdhsa_float_denorm_mode_16_64 3
		.amdhsa_dx10_clamp 1
		.amdhsa_ieee_mode 1
		.amdhsa_fp16_overflow 0
		.amdhsa_tg_split 0
		.amdhsa_exception_fp_ieee_invalid_op 0
		.amdhsa_exception_fp_denorm_src 0
		.amdhsa_exception_fp_ieee_div_zero 0
		.amdhsa_exception_fp_ieee_overflow 0
		.amdhsa_exception_fp_ieee_underflow 0
		.amdhsa_exception_fp_ieee_inexact 0
		.amdhsa_exception_int_div_zero 0
	.end_amdhsa_kernel
	.section	.text._ZN2at6native29vectorized_elementwise_kernelILi16EZZZNS0_12_GLOBAL__N_121bessel_y0_kernel_cudaERNS_18TensorIteratorBaseEENKUlvE_clEvENKUlvE_clEvEUldE_St5arrayIPcLm2EEEEviT0_T1_,"axG",@progbits,_ZN2at6native29vectorized_elementwise_kernelILi16EZZZNS0_12_GLOBAL__N_121bessel_y0_kernel_cudaERNS_18TensorIteratorBaseEENKUlvE_clEvENKUlvE_clEvEUldE_St5arrayIPcLm2EEEEviT0_T1_,comdat
.Lfunc_end2:
	.size	_ZN2at6native29vectorized_elementwise_kernelILi16EZZZNS0_12_GLOBAL__N_121bessel_y0_kernel_cudaERNS_18TensorIteratorBaseEENKUlvE_clEvENKUlvE_clEvEUldE_St5arrayIPcLm2EEEEviT0_T1_, .Lfunc_end2-_ZN2at6native29vectorized_elementwise_kernelILi16EZZZNS0_12_GLOBAL__N_121bessel_y0_kernel_cudaERNS_18TensorIteratorBaseEENKUlvE_clEvENKUlvE_clEvEUldE_St5arrayIPcLm2EEEEviT0_T1_
                                        ; -- End function
	.section	.AMDGPU.csdata,"",@progbits
; Kernel info:
; codeLenInByte = 172
; NumSgprs: 46
; NumVgprs: 102
; NumAgprs: 0
; TotalNumVgprs: 102
; ScratchSize: 8
; MemoryBound: 0
; FloatMode: 240
; IeeeMode: 1
; LDSByteSize: 0 bytes/workgroup (compile time only)
; SGPRBlocks: 5
; VGPRBlocks: 12
; NumSGPRsForWavesPerEU: 46
; NumVGPRsForWavesPerEU: 102
; AccumOffset: 104
; Occupancy: 4
; WaveLimiterHint : 1
; COMPUTE_PGM_RSRC2:SCRATCH_EN: 1
; COMPUTE_PGM_RSRC2:USER_SGPR: 2
; COMPUTE_PGM_RSRC2:TRAP_HANDLER: 0
; COMPUTE_PGM_RSRC2:TGID_X_EN: 1
; COMPUTE_PGM_RSRC2:TGID_Y_EN: 0
; COMPUTE_PGM_RSRC2:TGID_Z_EN: 0
; COMPUTE_PGM_RSRC2:TIDIG_COMP_CNT: 0
; COMPUTE_PGM_RSRC3_GFX90A:ACCUM_OFFSET: 25
; COMPUTE_PGM_RSRC3_GFX90A:TG_SPLIT: 0
	.section	.text._ZN2at6native29vectorized_elementwise_kernelILi8EZZZNS0_12_GLOBAL__N_121bessel_y0_kernel_cudaERNS_18TensorIteratorBaseEENKUlvE_clEvENKUlvE_clEvEUldE_St5arrayIPcLm2EEEEviT0_T1_,"axG",@progbits,_ZN2at6native29vectorized_elementwise_kernelILi8EZZZNS0_12_GLOBAL__N_121bessel_y0_kernel_cudaERNS_18TensorIteratorBaseEENKUlvE_clEvENKUlvE_clEvEUldE_St5arrayIPcLm2EEEEviT0_T1_,comdat
	.globl	_ZN2at6native29vectorized_elementwise_kernelILi8EZZZNS0_12_GLOBAL__N_121bessel_y0_kernel_cudaERNS_18TensorIteratorBaseEENKUlvE_clEvENKUlvE_clEvEUldE_St5arrayIPcLm2EEEEviT0_T1_ ; -- Begin function _ZN2at6native29vectorized_elementwise_kernelILi8EZZZNS0_12_GLOBAL__N_121bessel_y0_kernel_cudaERNS_18TensorIteratorBaseEENKUlvE_clEvENKUlvE_clEvEUldE_St5arrayIPcLm2EEEEviT0_T1_
	.p2align	8
	.type	_ZN2at6native29vectorized_elementwise_kernelILi8EZZZNS0_12_GLOBAL__N_121bessel_y0_kernel_cudaERNS_18TensorIteratorBaseEENKUlvE_clEvENKUlvE_clEvEUldE_St5arrayIPcLm2EEEEviT0_T1_,@function
_ZN2at6native29vectorized_elementwise_kernelILi8EZZZNS0_12_GLOBAL__N_121bessel_y0_kernel_cudaERNS_18TensorIteratorBaseEENKUlvE_clEvENKUlvE_clEvEUldE_St5arrayIPcLm2EEEEviT0_T1_: ; @_ZN2at6native29vectorized_elementwise_kernelILi8EZZZNS0_12_GLOBAL__N_121bessel_y0_kernel_cudaERNS_18TensorIteratorBaseEENKUlvE_clEvENKUlvE_clEvEUldE_St5arrayIPcLm2EEEEviT0_T1_
; %bb.0:
	s_mov_b32 s33, s2
	s_load_dword s2, s[0:1], 0x0
	s_load_dwordx4 s[36:39], s[0:1], 0x8
	s_lshl_b32 s0, s33, 12
	v_mov_b32_e32 v40, v0
	s_mov_b32 s32, 0
	s_waitcnt lgkmcnt(0)
	s_sub_i32 s34, s2, s0
	s_cmpk_gt_i32 s34, 0xfff
	s_mov_b64 s[0:1], -1
	s_cbranch_scc1 .LBB3_3
; %bb.1:
	s_andn2_b64 vcc, exec, s[0:1]
	s_cbranch_vccz .LBB3_4
.LBB3_2:
	s_endpgm
.LBB3_3:
	s_mov_b32 s12, s33
	v_mov_b32_e32 v31, v40
	v_mov_b32_e32 v0, s36
	;; [unrolled: 1-line block ×5, first 2 shown]
	s_getpc_b64 s[0:1]
	s_add_u32 s0, s0, _ZN2at6native25elementwise_kernel_helperILb0EZZZNS0_12_GLOBAL__N_121bessel_y0_kernel_cudaERNS_18TensorIteratorBaseEENKUlvE_clEvENKUlvE_clEvEUldE_NS0_6memory8policies10vectorizedILi4ESt5arrayIPcLm2EELi16EEEEEvT0_T1_@rel32@lo+4
	s_addc_u32 s1, s1, _ZN2at6native25elementwise_kernel_helperILb0EZZZNS0_12_GLOBAL__N_121bessel_y0_kernel_cudaERNS_18TensorIteratorBaseEENKUlvE_clEvENKUlvE_clEvEUldE_NS0_6memory8policies10vectorizedILi4ESt5arrayIPcLm2EELi16EEEEEvT0_T1_@rel32@hi+12
	s_swappc_b64 s[30:31], s[0:1]
	s_cbranch_execnz .LBB3_2
.LBB3_4:
	s_mov_b32 s12, s33
	v_mov_b32_e32 v31, v40
	v_mov_b32_e32 v0, s36
	;; [unrolled: 1-line block ×6, first 2 shown]
	s_getpc_b64 s[0:1]
	s_add_u32 s0, s0, _ZN2at6native25elementwise_kernel_helperILb0EZZZNS0_12_GLOBAL__N_121bessel_y0_kernel_cudaERNS_18TensorIteratorBaseEENKUlvE_clEvENKUlvE_clEvEUldE_NS0_6memory8policies11unroll_baseILi256ESt5arrayIPcLm2EE23TrivialOffsetCalculatorILi1EjESF_NS8_15LoadWithoutCastENS8_16StoreWithoutCastELi16ELi1EEEEEvT0_T1_@rel32@lo+4
	s_addc_u32 s1, s1, _ZN2at6native25elementwise_kernel_helperILb0EZZZNS0_12_GLOBAL__N_121bessel_y0_kernel_cudaERNS_18TensorIteratorBaseEENKUlvE_clEvENKUlvE_clEvEUldE_NS0_6memory8policies11unroll_baseILi256ESt5arrayIPcLm2EE23TrivialOffsetCalculatorILi1EjESF_NS8_15LoadWithoutCastENS8_16StoreWithoutCastELi16ELi1EEEEEvT0_T1_@rel32@hi+12
	s_swappc_b64 s[30:31], s[0:1]
	s_endpgm
	.section	.rodata,"a",@progbits
	.p2align	6, 0x0
	.amdhsa_kernel _ZN2at6native29vectorized_elementwise_kernelILi8EZZZNS0_12_GLOBAL__N_121bessel_y0_kernel_cudaERNS_18TensorIteratorBaseEENKUlvE_clEvENKUlvE_clEvEUldE_St5arrayIPcLm2EEEEviT0_T1_
		.amdhsa_group_segment_fixed_size 0
		.amdhsa_private_segment_fixed_size 8
		.amdhsa_kernarg_size 24
		.amdhsa_user_sgpr_count 2
		.amdhsa_user_sgpr_dispatch_ptr 0
		.amdhsa_user_sgpr_queue_ptr 0
		.amdhsa_user_sgpr_kernarg_segment_ptr 1
		.amdhsa_user_sgpr_dispatch_id 0
		.amdhsa_user_sgpr_kernarg_preload_length 0
		.amdhsa_user_sgpr_kernarg_preload_offset 0
		.amdhsa_user_sgpr_private_segment_size 0
		.amdhsa_uses_dynamic_stack 0
		.amdhsa_enable_private_segment 1
		.amdhsa_system_sgpr_workgroup_id_x 1
		.amdhsa_system_sgpr_workgroup_id_y 0
		.amdhsa_system_sgpr_workgroup_id_z 0
		.amdhsa_system_sgpr_workgroup_info 0
		.amdhsa_system_vgpr_workitem_id 0
		.amdhsa_next_free_vgpr 102
		.amdhsa_next_free_sgpr 40
		.amdhsa_accum_offset 104
		.amdhsa_reserve_vcc 1
		.amdhsa_float_round_mode_32 0
		.amdhsa_float_round_mode_16_64 0
		.amdhsa_float_denorm_mode_32 3
		.amdhsa_float_denorm_mode_16_64 3
		.amdhsa_dx10_clamp 1
		.amdhsa_ieee_mode 1
		.amdhsa_fp16_overflow 0
		.amdhsa_tg_split 0
		.amdhsa_exception_fp_ieee_invalid_op 0
		.amdhsa_exception_fp_denorm_src 0
		.amdhsa_exception_fp_ieee_div_zero 0
		.amdhsa_exception_fp_ieee_overflow 0
		.amdhsa_exception_fp_ieee_underflow 0
		.amdhsa_exception_fp_ieee_inexact 0
		.amdhsa_exception_int_div_zero 0
	.end_amdhsa_kernel
	.section	.text._ZN2at6native29vectorized_elementwise_kernelILi8EZZZNS0_12_GLOBAL__N_121bessel_y0_kernel_cudaERNS_18TensorIteratorBaseEENKUlvE_clEvENKUlvE_clEvEUldE_St5arrayIPcLm2EEEEviT0_T1_,"axG",@progbits,_ZN2at6native29vectorized_elementwise_kernelILi8EZZZNS0_12_GLOBAL__N_121bessel_y0_kernel_cudaERNS_18TensorIteratorBaseEENKUlvE_clEvENKUlvE_clEvEUldE_St5arrayIPcLm2EEEEviT0_T1_,comdat
.Lfunc_end3:
	.size	_ZN2at6native29vectorized_elementwise_kernelILi8EZZZNS0_12_GLOBAL__N_121bessel_y0_kernel_cudaERNS_18TensorIteratorBaseEENKUlvE_clEvENKUlvE_clEvEUldE_St5arrayIPcLm2EEEEviT0_T1_, .Lfunc_end3-_ZN2at6native29vectorized_elementwise_kernelILi8EZZZNS0_12_GLOBAL__N_121bessel_y0_kernel_cudaERNS_18TensorIteratorBaseEENKUlvE_clEvENKUlvE_clEvEUldE_St5arrayIPcLm2EEEEviT0_T1_
                                        ; -- End function
	.section	.AMDGPU.csdata,"",@progbits
; Kernel info:
; codeLenInByte = 172
; NumSgprs: 46
; NumVgprs: 102
; NumAgprs: 0
; TotalNumVgprs: 102
; ScratchSize: 8
; MemoryBound: 0
; FloatMode: 240
; IeeeMode: 1
; LDSByteSize: 0 bytes/workgroup (compile time only)
; SGPRBlocks: 5
; VGPRBlocks: 12
; NumSGPRsForWavesPerEU: 46
; NumVGPRsForWavesPerEU: 102
; AccumOffset: 104
; Occupancy: 4
; WaveLimiterHint : 1
; COMPUTE_PGM_RSRC2:SCRATCH_EN: 1
; COMPUTE_PGM_RSRC2:USER_SGPR: 2
; COMPUTE_PGM_RSRC2:TRAP_HANDLER: 0
; COMPUTE_PGM_RSRC2:TGID_X_EN: 1
; COMPUTE_PGM_RSRC2:TGID_Y_EN: 0
; COMPUTE_PGM_RSRC2:TGID_Z_EN: 0
; COMPUTE_PGM_RSRC2:TIDIG_COMP_CNT: 0
; COMPUTE_PGM_RSRC3_GFX90A:ACCUM_OFFSET: 25
; COMPUTE_PGM_RSRC3_GFX90A:TG_SPLIT: 0
	.section	.text._ZN2at6native29vectorized_elementwise_kernelILi4EZZZNS0_12_GLOBAL__N_121bessel_y0_kernel_cudaERNS_18TensorIteratorBaseEENKUlvE_clEvENKUlvE_clEvEUldE_St5arrayIPcLm2EEEEviT0_T1_,"axG",@progbits,_ZN2at6native29vectorized_elementwise_kernelILi4EZZZNS0_12_GLOBAL__N_121bessel_y0_kernel_cudaERNS_18TensorIteratorBaseEENKUlvE_clEvENKUlvE_clEvEUldE_St5arrayIPcLm2EEEEviT0_T1_,comdat
	.globl	_ZN2at6native29vectorized_elementwise_kernelILi4EZZZNS0_12_GLOBAL__N_121bessel_y0_kernel_cudaERNS_18TensorIteratorBaseEENKUlvE_clEvENKUlvE_clEvEUldE_St5arrayIPcLm2EEEEviT0_T1_ ; -- Begin function _ZN2at6native29vectorized_elementwise_kernelILi4EZZZNS0_12_GLOBAL__N_121bessel_y0_kernel_cudaERNS_18TensorIteratorBaseEENKUlvE_clEvENKUlvE_clEvEUldE_St5arrayIPcLm2EEEEviT0_T1_
	.p2align	8
	.type	_ZN2at6native29vectorized_elementwise_kernelILi4EZZZNS0_12_GLOBAL__N_121bessel_y0_kernel_cudaERNS_18TensorIteratorBaseEENKUlvE_clEvENKUlvE_clEvEUldE_St5arrayIPcLm2EEEEviT0_T1_,@function
_ZN2at6native29vectorized_elementwise_kernelILi4EZZZNS0_12_GLOBAL__N_121bessel_y0_kernel_cudaERNS_18TensorIteratorBaseEENKUlvE_clEvENKUlvE_clEvEUldE_St5arrayIPcLm2EEEEviT0_T1_: ; @_ZN2at6native29vectorized_elementwise_kernelILi4EZZZNS0_12_GLOBAL__N_121bessel_y0_kernel_cudaERNS_18TensorIteratorBaseEENKUlvE_clEvENKUlvE_clEvEUldE_St5arrayIPcLm2EEEEviT0_T1_
; %bb.0:
	s_mov_b32 s33, s2
	s_load_dword s2, s[0:1], 0x0
	s_load_dwordx4 s[36:39], s[0:1], 0x8
	s_lshl_b32 s0, s33, 12
	v_mov_b32_e32 v40, v0
	s_mov_b32 s32, 0
	s_waitcnt lgkmcnt(0)
	s_sub_i32 s34, s2, s0
	s_cmpk_gt_i32 s34, 0xfff
	s_mov_b64 s[0:1], -1
	s_cbranch_scc1 .LBB4_3
; %bb.1:
	s_andn2_b64 vcc, exec, s[0:1]
	s_cbranch_vccz .LBB4_4
.LBB4_2:
	s_endpgm
.LBB4_3:
	s_mov_b32 s12, s33
	v_mov_b32_e32 v31, v40
	v_mov_b32_e32 v0, s36
	;; [unrolled: 1-line block ×5, first 2 shown]
	s_getpc_b64 s[0:1]
	s_add_u32 s0, s0, _ZN2at6native25elementwise_kernel_helperILb0EZZZNS0_12_GLOBAL__N_121bessel_y0_kernel_cudaERNS_18TensorIteratorBaseEENKUlvE_clEvENKUlvE_clEvEUldE_NS0_6memory8policies10vectorizedILi4ESt5arrayIPcLm2EELi16EEEEEvT0_T1_@rel32@lo+4
	s_addc_u32 s1, s1, _ZN2at6native25elementwise_kernel_helperILb0EZZZNS0_12_GLOBAL__N_121bessel_y0_kernel_cudaERNS_18TensorIteratorBaseEENKUlvE_clEvENKUlvE_clEvEUldE_NS0_6memory8policies10vectorizedILi4ESt5arrayIPcLm2EELi16EEEEEvT0_T1_@rel32@hi+12
	s_swappc_b64 s[30:31], s[0:1]
	s_cbranch_execnz .LBB4_2
.LBB4_4:
	s_mov_b32 s12, s33
	v_mov_b32_e32 v31, v40
	v_mov_b32_e32 v0, s36
	;; [unrolled: 1-line block ×6, first 2 shown]
	s_getpc_b64 s[0:1]
	s_add_u32 s0, s0, _ZN2at6native25elementwise_kernel_helperILb0EZZZNS0_12_GLOBAL__N_121bessel_y0_kernel_cudaERNS_18TensorIteratorBaseEENKUlvE_clEvENKUlvE_clEvEUldE_NS0_6memory8policies11unroll_baseILi256ESt5arrayIPcLm2EE23TrivialOffsetCalculatorILi1EjESF_NS8_15LoadWithoutCastENS8_16StoreWithoutCastELi16ELi1EEEEEvT0_T1_@rel32@lo+4
	s_addc_u32 s1, s1, _ZN2at6native25elementwise_kernel_helperILb0EZZZNS0_12_GLOBAL__N_121bessel_y0_kernel_cudaERNS_18TensorIteratorBaseEENKUlvE_clEvENKUlvE_clEvEUldE_NS0_6memory8policies11unroll_baseILi256ESt5arrayIPcLm2EE23TrivialOffsetCalculatorILi1EjESF_NS8_15LoadWithoutCastENS8_16StoreWithoutCastELi16ELi1EEEEEvT0_T1_@rel32@hi+12
	s_swappc_b64 s[30:31], s[0:1]
	s_endpgm
	.section	.rodata,"a",@progbits
	.p2align	6, 0x0
	.amdhsa_kernel _ZN2at6native29vectorized_elementwise_kernelILi4EZZZNS0_12_GLOBAL__N_121bessel_y0_kernel_cudaERNS_18TensorIteratorBaseEENKUlvE_clEvENKUlvE_clEvEUldE_St5arrayIPcLm2EEEEviT0_T1_
		.amdhsa_group_segment_fixed_size 0
		.amdhsa_private_segment_fixed_size 8
		.amdhsa_kernarg_size 24
		.amdhsa_user_sgpr_count 2
		.amdhsa_user_sgpr_dispatch_ptr 0
		.amdhsa_user_sgpr_queue_ptr 0
		.amdhsa_user_sgpr_kernarg_segment_ptr 1
		.amdhsa_user_sgpr_dispatch_id 0
		.amdhsa_user_sgpr_kernarg_preload_length 0
		.amdhsa_user_sgpr_kernarg_preload_offset 0
		.amdhsa_user_sgpr_private_segment_size 0
		.amdhsa_uses_dynamic_stack 0
		.amdhsa_enable_private_segment 1
		.amdhsa_system_sgpr_workgroup_id_x 1
		.amdhsa_system_sgpr_workgroup_id_y 0
		.amdhsa_system_sgpr_workgroup_id_z 0
		.amdhsa_system_sgpr_workgroup_info 0
		.amdhsa_system_vgpr_workitem_id 0
		.amdhsa_next_free_vgpr 102
		.amdhsa_next_free_sgpr 40
		.amdhsa_accum_offset 104
		.amdhsa_reserve_vcc 1
		.amdhsa_float_round_mode_32 0
		.amdhsa_float_round_mode_16_64 0
		.amdhsa_float_denorm_mode_32 3
		.amdhsa_float_denorm_mode_16_64 3
		.amdhsa_dx10_clamp 1
		.amdhsa_ieee_mode 1
		.amdhsa_fp16_overflow 0
		.amdhsa_tg_split 0
		.amdhsa_exception_fp_ieee_invalid_op 0
		.amdhsa_exception_fp_denorm_src 0
		.amdhsa_exception_fp_ieee_div_zero 0
		.amdhsa_exception_fp_ieee_overflow 0
		.amdhsa_exception_fp_ieee_underflow 0
		.amdhsa_exception_fp_ieee_inexact 0
		.amdhsa_exception_int_div_zero 0
	.end_amdhsa_kernel
	.section	.text._ZN2at6native29vectorized_elementwise_kernelILi4EZZZNS0_12_GLOBAL__N_121bessel_y0_kernel_cudaERNS_18TensorIteratorBaseEENKUlvE_clEvENKUlvE_clEvEUldE_St5arrayIPcLm2EEEEviT0_T1_,"axG",@progbits,_ZN2at6native29vectorized_elementwise_kernelILi4EZZZNS0_12_GLOBAL__N_121bessel_y0_kernel_cudaERNS_18TensorIteratorBaseEENKUlvE_clEvENKUlvE_clEvEUldE_St5arrayIPcLm2EEEEviT0_T1_,comdat
.Lfunc_end4:
	.size	_ZN2at6native29vectorized_elementwise_kernelILi4EZZZNS0_12_GLOBAL__N_121bessel_y0_kernel_cudaERNS_18TensorIteratorBaseEENKUlvE_clEvENKUlvE_clEvEUldE_St5arrayIPcLm2EEEEviT0_T1_, .Lfunc_end4-_ZN2at6native29vectorized_elementwise_kernelILi4EZZZNS0_12_GLOBAL__N_121bessel_y0_kernel_cudaERNS_18TensorIteratorBaseEENKUlvE_clEvENKUlvE_clEvEUldE_St5arrayIPcLm2EEEEviT0_T1_
                                        ; -- End function
	.section	.AMDGPU.csdata,"",@progbits
; Kernel info:
; codeLenInByte = 172
; NumSgprs: 46
; NumVgprs: 102
; NumAgprs: 0
; TotalNumVgprs: 102
; ScratchSize: 8
; MemoryBound: 0
; FloatMode: 240
; IeeeMode: 1
; LDSByteSize: 0 bytes/workgroup (compile time only)
; SGPRBlocks: 5
; VGPRBlocks: 12
; NumSGPRsForWavesPerEU: 46
; NumVGPRsForWavesPerEU: 102
; AccumOffset: 104
; Occupancy: 4
; WaveLimiterHint : 1
; COMPUTE_PGM_RSRC2:SCRATCH_EN: 1
; COMPUTE_PGM_RSRC2:USER_SGPR: 2
; COMPUTE_PGM_RSRC2:TRAP_HANDLER: 0
; COMPUTE_PGM_RSRC2:TGID_X_EN: 1
; COMPUTE_PGM_RSRC2:TGID_Y_EN: 0
; COMPUTE_PGM_RSRC2:TGID_Z_EN: 0
; COMPUTE_PGM_RSRC2:TIDIG_COMP_CNT: 0
; COMPUTE_PGM_RSRC3_GFX90A:ACCUM_OFFSET: 25
; COMPUTE_PGM_RSRC3_GFX90A:TG_SPLIT: 0
	.text
	.p2align	2                               ; -- Begin function _ZN2at6native25elementwise_kernel_helperILb0EZZZNS0_12_GLOBAL__N_121bessel_y0_kernel_cudaERNS_18TensorIteratorBaseEENKUlvE_clEvENKUlvE_clEvEUldE_NS0_6memory8policies10vectorizedILi2ESt5arrayIPcLm2EELi16EEEEEvT0_T1_
	.type	_ZN2at6native25elementwise_kernel_helperILb0EZZZNS0_12_GLOBAL__N_121bessel_y0_kernel_cudaERNS_18TensorIteratorBaseEENKUlvE_clEvENKUlvE_clEvEUldE_NS0_6memory8policies10vectorizedILi2ESt5arrayIPcLm2EELi16EEEEEvT0_T1_,@function
_ZN2at6native25elementwise_kernel_helperILb0EZZZNS0_12_GLOBAL__N_121bessel_y0_kernel_cudaERNS_18TensorIteratorBaseEENKUlvE_clEvENKUlvE_clEvEUldE_NS0_6memory8policies10vectorizedILi2ESt5arrayIPcLm2EELi16EEEEEvT0_T1_: ; @_ZN2at6native25elementwise_kernel_helperILb0EZZZNS0_12_GLOBAL__N_121bessel_y0_kernel_cudaERNS_18TensorIteratorBaseEENKUlvE_clEvENKUlvE_clEvEUldE_NS0_6memory8policies10vectorizedILi2ESt5arrayIPcLm2EELi16EEEEEvT0_T1_
; %bb.0:
	s_waitcnt vmcnt(0) expcnt(0) lgkmcnt(0)
	s_lshl_b32 s2, s12, 12
	s_ashr_i32 s3, s2, 31
	v_and_b32_e32 v10, 0x3ff, v31
	v_lshl_add_u64 v[2:3], s[2:3], 3, v[2:3]
	v_mov_b32_e32 v49, 0
	v_lshlrev_b32_e32 v48, 4, v10
	v_lshl_add_u64 v[4:5], v[2:3], 0, v[48:49]
	s_movk_i32 s0, 0x1000
	v_add_co_u32_e32 v6, vcc, s0, v4
	s_movk_i32 s0, 0x2000
	s_nop 0
	v_addc_co_u32_e32 v7, vcc, 0, v5, vcc
	flat_load_dwordx4 v[14:17], v[4:5] nt
	flat_load_dwordx4 v[22:25], v[6:7] nt
	v_add_co_u32_e32 v6, vcc, s0, v4
	s_movk_i32 s0, 0x3000
	s_nop 0
	v_addc_co_u32_e32 v7, vcc, 0, v5, vcc
	v_add_co_u32_e32 v8, vcc, s0, v4
	s_movk_i32 s0, 0x5000
	s_nop 0
	v_addc_co_u32_e32 v9, vcc, 0, v5, vcc
	flat_load_dwordx4 v[36:39], v[6:7] nt
	flat_load_dwordx4 v[32:35], v[8:9] nt
	v_or_b32_e32 v6, 0x400, v10
	v_lshlrev_b32_e32 v50, 4, v6
	v_mov_b32_e32 v51, v49
	v_add_co_u32_e32 v6, vcc, s0, v4
	v_lshl_add_u64 v[2:3], v[2:3], 0, v[50:51]
	s_nop 0
	v_addc_co_u32_e32 v7, vcc, 0, v5, vcc
	flat_load_dwordx4 v[26:29], v[2:3] nt
	flat_load_dwordx4 v[18:21], v[6:7] nt
	v_add_co_u32_e32 v6, vcc, 0x6000, v4
	s_mov_b32 s0, 0
	s_nop 0
	v_addc_co_u32_e32 v7, vcc, 0, v5, vcc
	v_add_co_u32_e32 v8, vcc, 0x7000, v4
	s_mov_b32 s1, 0x40140000
	s_nop 0
	v_addc_co_u32_e32 v9, vcc, 0, v5, vcc
	flat_load_dwordx4 v[10:13], v[6:7] nt
	flat_load_dwordx4 v[2:5], v[8:9] nt
                                        ; implicit-def: $vgpr6_vgpr7
	s_waitcnt vmcnt(0) lgkmcnt(0)
	v_cmp_ge_f64_e32 vcc, s[0:1], v[14:15]
	s_and_saveexec_b64 s[0:1], vcc
	s_xor_b64 s[0:1], exec, s[0:1]
	s_cbranch_execz .LBB5_10
; %bb.1:
	v_mov_b32_e32 v6, 0
	v_cmp_neq_f64_e32 vcc, 0, v[14:15]
	v_mov_b32_e32 v7, 0xfff00000
	s_and_saveexec_b64 s[4:5], vcc
	s_cbranch_execz .LBB5_9
; %bb.2:
	v_mov_b32_e32 v6, 0
	v_cmp_ngt_f64_e32 vcc, 0, v[14:15]
	v_mov_b32_e32 v7, 0x7ff80000
	s_and_saveexec_b64 s[6:7], vcc
	s_cbranch_execz .LBB5_8
; %bb.3:
	s_mov_b32 s8, 0x88e368f1
	v_mul_f64 v[6:7], v[14:15], v[14:15]
	s_mov_b32 s9, 0x3ee4f8b5
	v_mul_f64 v[30:31], v[6:7], 0
	v_cmp_ngt_f64_e32 vcc, s[8:9], v[14:15]
                                        ; implicit-def: $vgpr8_vgpr9
	s_and_saveexec_b64 s[8:9], vcc
	s_xor_b64 s[8:9], exec, s[8:9]
	s_cbranch_execz .LBB5_5
; %bb.4:
	s_mov_b32 s10, 0xad1c8325
	s_mov_b32 s11, 0xc1f1dc53
	v_add_f64 v[8:9], v[30:31], s[10:11]
	v_mov_b32_e32 v52, 0xc772990d
	v_mov_b32_e32 v53, 0x427c7751
	s_mov_b32 s10, 0xa696b78c
	v_fmac_f64_e32 v[52:53], v[6:7], v[8:9]
	v_mov_b32_e32 v8, 0xe0d900f7
	v_mov_b32_e32 v9, 0xc2ec5614
	s_mov_b32 s11, 0x407f3902
	v_fmac_f64_e32 v[8:9], v[6:7], v[52:53]
	v_add_f64 v[52:53], v[30:31], s[10:11]
	v_mov_b32_e32 v54, 0x36a21a67
	v_mov_b32_e32 v55, 0x410536cb
	v_fmac_f64_e32 v[54:55], v[6:7], v[52:53]
	v_mov_b32_e32 v52, 0x2eac0634
	v_mov_b32_e32 v53, 0x41871934
	v_fmac_f64_e32 v[52:53], v[6:7], v[54:55]
	;; [unrolled: 3-line block ×6, first 2 shown]
	v_mov_b32_e32 v54, 0xc7b662cc
	v_mov_b32_e32 v55, 0x43b7be34
	s_mov_b32 s10, 0x80462bbb
	v_fmac_f64_e32 v[54:55], v[6:7], v[52:53]
	v_mov_b32_e32 v52, 0x69ff5fb4
	v_mov_b32_e32 v53, 0x43413ef8
	s_mov_b32 s11, 0xc01721fb
	v_fmac_f64_e32 v[52:53], v[6:7], v[8:9]
	v_add_f64 v[8:9], v[6:7], s[10:11]
	s_mov_b32 s10, 0xa621dd6f
	s_mov_b32 s11, 0xc03e78a4
	v_add_f64 v[64:65], v[6:7], s[10:11]
	v_mul_f64 v[8:9], v[8:9], v[64:65]
	v_mul_f64 v[8:9], v[8:9], v[52:53]
	v_div_scale_f64 v[52:53], s[10:11], v[54:55], v[54:55], v[8:9]
	v_rcp_f64_e32 v[64:65], v[52:53]
	s_nop 0
	v_fma_f64 v[66:67], -v[52:53], v[64:65], 1.0
	v_fmac_f64_e32 v[64:65], v[64:65], v[66:67]
	v_fma_f64 v[66:67], -v[52:53], v[64:65], 1.0
	v_fmac_f64_e32 v[64:65], v[64:65], v[66:67]
	v_div_scale_f64 v[66:67], vcc, v[8:9], v[54:55], v[8:9]
	v_mul_f64 v[68:69], v[66:67], v[64:65]
	v_fma_f64 v[52:53], -v[52:53], v[68:69], v[66:67]
	s_nop 1
	v_div_fmas_f64 v[52:53], v[52:53], v[64:65], v[68:69]
	v_div_fixup_f64 v[8:9], v[52:53], v[54:55], v[8:9]
.LBB5_5:
	s_andn2_saveexec_b64 s[8:9], s[8:9]
; %bb.6:
	s_mov_b32 s10, 0
	s_mov_b32 s11, 0xbfd00000
	v_fma_f64 v[8:9], v[6:7], s[10:11], 1.0
; %bb.7:
	s_or_b64 exec, exec, s[8:9]
	s_mov_b32 s8, 0xe896898f
	s_mov_b32 s9, 0x40ce7437
	v_add_f64 v[52:53], v[30:31], s[8:9]
	v_mov_b32_e32 v54, 0x32e48896
	v_mov_b32_e32 v55, 0xc16bf81f
	v_fmac_f64_e32 v[54:55], v[6:7], v[52:53]
	v_mov_b32_e32 v52, 0xf0284cdd
	v_mov_b32_e32 v53, 0x41f43f78
	v_fmac_f64_e32 v[52:53], v[6:7], v[54:55]
	v_mov_b32_e32 v54, 0xe1d6bd2b
	v_mov_b32_e32 v55, 0xc26c957b
	v_fmac_f64_e32 v[54:55], v[6:7], v[52:53]
	v_mov_b32_e32 v52, 0x3cc3ac2d
	v_mov_b32_e32 v53, 0x42d3ea72
	v_fmac_f64_e32 v[52:53], v[6:7], v[54:55]
	v_mov_b32_e32 v54, 0xd1d8cc02
	v_mov_b32_e32 v55, 0xc328a121
	s_mov_b32 s8, 0x576dfcb6
	v_fmac_f64_e32 v[54:55], v[6:7], v[52:53]
	v_mov_b32_e32 v52, 0x660b4003
	v_mov_b32_e32 v53, 0x4363a94b
	s_mov_b32 s9, 0x40904522
	v_fmac_f64_e32 v[52:53], v[6:7], v[54:55]
	v_add_f64 v[30:31], v[30:31], s[8:9]
	v_mov_b32_e32 v54, 0xa907bc0c
	v_mov_b32_e32 v55, 0x41231b76
	v_fmac_f64_e32 v[54:55], v[6:7], v[30:31]
	v_mov_b32_e32 v30, 0x5164d101
	v_mov_b32_e32 v31, 0x41b00763
	v_fmac_f64_e32 v[30:31], v[6:7], v[54:55]
	v_mov_b32_e32 v54, 0x2b8664bc
	v_mov_b32_e32 v55, 0x42341ddb
	v_fmac_f64_e32 v[54:55], v[6:7], v[30:31]
	v_mov_b32_e32 v30, 0xc57e828e
	v_mov_b32_e32 v31, 0x42b275fc
	v_fmac_f64_e32 v[30:31], v[6:7], v[54:55]
	v_mov_b32_e32 v54, 0xdfeb596d
	v_mov_b32_e32 v55, 0x43268910
	v_fmac_f64_e32 v[54:55], v[6:7], v[30:31]
	v_mov_b32_e32 v30, 0xbcf9b5d0
	v_mov_b32_e32 v31, 0x438bd25f
	v_fmac_f64_e32 v[30:31], v[6:7], v[54:55]
	v_mov_b32_e32 v54, 0x5906367b
	v_mov_b32_e32 v55, 0xc3506d4b
	v_fmac_f64_e32 v[54:55], v[6:7], v[52:53]
	v_div_scale_f64 v[6:7], s[8:9], v[30:31], v[30:31], v[54:55]
	v_rcp_f64_e32 v[52:53], v[6:7]
	s_mov_b32 s8, 0x55555555
	s_mov_b32 s9, 0x3fe55555
	v_mov_b32_e32 v51, 0x3ff00000
	v_fma_f64 v[64:65], -v[6:7], v[52:53], 1.0
	v_fmac_f64_e32 v[52:53], v[52:53], v[64:65]
	v_fma_f64 v[64:65], -v[6:7], v[52:53], 1.0
	v_fmac_f64_e32 v[52:53], v[52:53], v[64:65]
	v_div_scale_f64 v[64:65], vcc, v[54:55], v[30:31], v[54:55]
	v_mul_f64 v[66:67], v[64:65], v[52:53]
	v_fma_f64 v[6:7], -v[6:7], v[66:67], v[64:65]
	v_frexp_exp_i32_f64_e32 v49, v[14:15]
	s_nop 0
	v_div_fmas_f64 v[6:7], v[6:7], v[52:53], v[66:67]
	v_div_fixup_f64 v[6:7], v[6:7], v[30:31], v[54:55]
	v_frexp_mant_f64_e32 v[30:31], v[14:15]
	v_cmp_gt_f64_e32 vcc, s[8:9], v[30:31]
	v_mov_b32_e32 v52, 0
	s_mov_b32 s8, 0xbf559e2b
	v_cndmask_b32_e64 v53, v51, 2.0, vcc
	v_mul_f64 v[30:31], v[30:31], v[52:53]
	v_add_f64 v[52:53], v[30:31], 1.0
	v_rcp_f64_e32 v[54:55], v[52:53]
	v_add_f64 v[66:67], v[52:53], -1.0
	v_add_f64 v[64:65], v[30:31], -1.0
	v_add_f64 v[30:31], v[30:31], -v[66:67]
	v_fma_f64 v[66:67], -v[52:53], v[54:55], 1.0
	v_fmac_f64_e32 v[54:55], v[66:67], v[54:55]
	v_fma_f64 v[66:67], -v[52:53], v[54:55], 1.0
	v_fmac_f64_e32 v[54:55], v[66:67], v[54:55]
	v_mul_f64 v[66:67], v[64:65], v[54:55]
	v_mul_f64 v[68:69], v[52:53], v[66:67]
	v_fma_f64 v[52:53], v[66:67], v[52:53], -v[68:69]
	v_fmac_f64_e32 v[52:53], v[66:67], v[30:31]
	v_add_f64 v[30:31], v[68:69], v[52:53]
	v_add_f64 v[70:71], v[64:65], -v[30:31]
	v_add_f64 v[68:69], v[30:31], -v[68:69]
	v_add_f64 v[64:65], v[64:65], -v[70:71]
	v_add_f64 v[30:31], v[64:65], -v[30:31]
	v_add_f64 v[52:53], v[68:69], -v[52:53]
	v_add_f64 v[30:31], v[52:53], v[30:31]
	v_add_f64 v[30:31], v[70:71], v[30:31]
	v_mul_f64 v[30:31], v[54:55], v[30:31]
	v_add_f64 v[52:53], v[66:67], v[30:31]
	v_add_f64 v[54:55], v[52:53], -v[66:67]
	v_add_f64 v[30:31], v[30:31], -v[54:55]
	v_mul_f64 v[54:55], v[52:53], v[52:53]
	v_mov_b32_e32 v64, 0x6b47b09a
	v_mov_b32_e32 v65, 0x3fc38538
	s_mov_b32 s9, 0x3fc3ab76
	v_fmac_f64_e32 v[64:65], s[8:9], v[54:55]
	v_mov_b32_e32 v66, 0xd7f4df2e
	v_mov_b32_e32 v67, 0x3fc7474d
	v_fmac_f64_e32 v[66:67], v[54:55], v[64:65]
	v_mov_b32_e32 v64, 0x16291751
	v_mov_b32_e32 v65, 0x3fcc71c0
	;; [unrolled: 3-line block ×5, first 2 shown]
	v_fmac_f64_e32 v[66:67], v[54:55], v[64:65]
	v_ldexp_f64 v[64:65], v[52:53], 1
	v_mul_f64 v[52:53], v[52:53], v[54:55]
	v_mul_f64 v[52:53], v[52:53], v[66:67]
	v_add_f64 v[54:55], v[64:65], v[52:53]
	v_add_f64 v[64:65], v[54:55], -v[64:65]
	v_ldexp_f64 v[30:31], v[30:31], 1
	v_add_f64 v[52:53], v[52:53], -v[64:65]
	v_add_f64 v[30:31], v[30:31], v[52:53]
	v_add_f64 v[52:53], v[54:55], v[30:31]
	v_subbrev_co_u32_e32 v49, vcc, 0, v49, vcc
	v_add_f64 v[54:55], v[52:53], -v[54:55]
	s_mov_b32 s8, 0xfefa39ef
	v_add_f64 v[30:31], v[30:31], -v[54:55]
	v_cvt_f64_i32_e32 v[54:55], v49
	s_mov_b32 s9, 0x3fe62e42
	v_mul_f64 v[64:65], v[54:55], s[8:9]
	v_fma_f64 v[66:67], v[54:55], s[8:9], -v[64:65]
	s_mov_b32 s8, 0x3b39803f
	s_mov_b32 s9, 0x3c7abc9e
	v_fmac_f64_e32 v[66:67], s[8:9], v[54:55]
	v_add_f64 v[54:55], v[64:65], v[66:67]
	v_add_f64 v[64:65], v[54:55], -v[64:65]
	v_add_f64 v[64:65], v[66:67], -v[64:65]
	v_add_f64 v[66:67], v[54:55], v[52:53]
	v_add_f64 v[68:69], v[66:67], -v[54:55]
	v_add_f64 v[70:71], v[66:67], -v[68:69]
	;; [unrolled: 1-line block ×4, first 2 shown]
	v_add_f64 v[52:53], v[52:53], v[54:55]
	v_add_f64 v[54:55], v[64:65], v[30:31]
	v_add_f64 v[68:69], v[54:55], -v[64:65]
	v_add_f64 v[70:71], v[54:55], -v[68:69]
	v_add_f64 v[52:53], v[54:55], v[52:53]
	v_add_f64 v[64:65], v[64:65], -v[70:71]
	v_add_f64 v[30:31], v[30:31], -v[68:69]
	v_add_f64 v[54:55], v[66:67], v[52:53]
	v_add_f64 v[30:31], v[30:31], v[64:65]
	v_add_f64 v[64:65], v[54:55], -v[66:67]
	v_add_f64 v[52:53], v[52:53], -v[64:65]
	v_add_f64 v[30:31], v[30:31], v[52:53]
	s_mov_b32 s8, 0x6dc9c883
	v_add_f64 v[30:31], v[54:55], v[30:31]
	s_mov_b32 s9, 0x3fe45f30
	v_mul_f64 v[30:31], v[30:31], s[8:9]
	v_fmac_f64_e32 v[6:7], v[30:31], v[8:9]
.LBB5_8:
	s_or_b64 exec, exec, s[6:7]
.LBB5_9:
	s_or_b64 exec, exec, s[4:5]
.LBB5_10:
	s_andn2_saveexec_b64 s[4:5], s[0:1]
	s_cbranch_execz .LBB5_20
; %bb.11:
	s_mov_b32 s9, 0xbfe921fb
	s_mov_b32 s8, 0x54442d18
	;; [unrolled: 1-line block ×3, first 2 shown]
	v_add_f64 v[6:7], v[14:15], s[8:9]
	s_mov_b32 s1, 0x41d00000
	v_cmp_nlt_f64_e64 s[6:7], |v[6:7]|, s[0:1]
	v_trig_preop_f64 v[68:69], |v[6:7]|, 0
	v_trig_preop_f64 v[66:67], |v[6:7]|, 1
	;; [unrolled: 1-line block ×3, first 2 shown]
                                        ; implicit-def: $vgpr49
                                        ; implicit-def: $vgpr8_vgpr9
                                        ; implicit-def: $vgpr30_vgpr31
	s_and_saveexec_b64 s[0:1], s[6:7]
	s_xor_b64 s[10:11], exec, s[0:1]
	s_cbranch_execz .LBB5_13
; %bb.12:
	s_mov_b32 s0, 0
	s_mov_b32 s1, 0x7b000000
	s_movk_i32 s9, 0xff80
	v_and_b32_e32 v30, 0x7fffffff, v7
	v_ldexp_f64 v[8:9], |v[6:7]|, s9
	v_cmp_ge_f64_e64 vcc, |v[6:7]|, s[0:1]
	s_mov_b32 s0, 0
	s_mov_b32 s1, 0x7ff00000
	v_cndmask_b32_e32 v9, v30, v9, vcc
	v_cndmask_b32_e32 v8, v6, v8, vcc
	v_mul_f64 v[52:53], v[68:69], v[8:9]
	v_mul_f64 v[30:31], v[66:67], v[8:9]
	v_fma_f64 v[54:55], v[68:69], v[8:9], -v[52:53]
	v_add_f64 v[70:71], v[30:31], v[54:55]
	v_add_f64 v[80:81], v[52:53], v[70:71]
	v_ldexp_f64 v[82:83], v[80:81], -2
	v_fract_f64_e32 v[84:85], v[82:83]
	v_cmp_neq_f64_e64 vcc, |v[82:83]|, s[0:1]
	v_add_f64 v[52:53], v[80:81], -v[52:53]
	v_add_f64 v[52:53], v[70:71], -v[52:53]
	v_cndmask_b32_e32 v83, 0, v85, vcc
	v_cndmask_b32_e32 v82, 0, v84, vcc
	v_add_f64 v[84:85], v[70:71], -v[30:31]
	v_add_f64 v[54:55], v[54:55], -v[84:85]
	;; [unrolled: 1-line block ×4, first 2 shown]
	v_add_f64 v[54:55], v[54:55], v[84:85]
	v_fma_f64 v[30:31], v[66:67], v[8:9], -v[30:31]
	v_mul_f64 v[84:85], v[64:65], v[8:9]
	v_add_f64 v[96:97], v[84:85], v[30:31]
	v_add_f64 v[98:99], v[96:97], v[54:55]
	v_add_f64 v[80:81], v[98:99], -v[96:97]
	v_add_f64 v[54:55], v[54:55], -v[80:81]
	v_add_f64 v[80:81], v[98:99], -v[80:81]
	v_add_f64 v[80:81], v[96:97], -v[80:81]
	v_add_f64 v[54:55], v[54:55], v[80:81]
	v_add_f64 v[80:81], v[96:97], -v[84:85]
	v_add_f64 v[30:31], v[30:31], -v[80:81]
	;; [unrolled: 1-line block ×4, first 2 shown]
	v_add_f64 v[70:71], v[52:53], v[98:99]
	v_add_f64 v[30:31], v[30:31], v[80:81]
	v_add_f64 v[52:53], v[70:71], -v[52:53]
	v_add_f64 v[30:31], v[30:31], v[54:55]
	v_fma_f64 v[8:9], v[64:65], v[8:9], -v[84:85]
	v_add_f64 v[52:53], v[98:99], -v[52:53]
	v_add_f64 v[8:9], v[8:9], v[30:31]
	v_ldexp_f64 v[30:31], v[82:83], 2
	v_add_f64 v[8:9], v[52:53], v[8:9]
	v_add_f64 v[52:53], v[70:71], v[30:31]
	v_mov_b32_e32 v49, 0x40100000
	v_cmp_gt_f64_e32 vcc, 0, v[52:53]
	v_mov_b32_e32 v86, 0
	s_mov_b32 s9, 0x3ff921fb
	v_cndmask_b32_e32 v87, 0, v49, vcc
	v_add_f64 v[30:31], v[30:31], v[86:87]
	v_add_f64 v[52:53], v[70:71], v[30:31]
	v_cvt_i32_f64_e32 v49, v[52:53]
	v_cvt_f64_i32_e32 v[52:53], v49
	v_add_f64 v[30:31], v[30:31], -v[52:53]
	v_add_f64 v[52:53], v[70:71], v[30:31]
	v_add_f64 v[30:31], v[52:53], -v[30:31]
	v_add_f64 v[30:31], v[70:71], -v[30:31]
	v_add_f64 v[8:9], v[8:9], v[30:31]
	v_cmp_le_f64_e32 vcc, 0.5, v[52:53]
	v_mov_b32_e32 v30, 0x3ff00000
	s_nop 0
	v_cndmask_b32_e32 v87, 0, v30, vcc
	v_add_f64 v[30:31], v[52:53], -v[86:87]
	v_add_f64 v[52:53], v[30:31], v[8:9]
	v_addc_co_u32_e64 v49, s[0:1], 0, v49, vcc
	v_add_f64 v[30:31], v[52:53], -v[30:31]
	v_add_f64 v[8:9], v[8:9], -v[30:31]
	v_mul_f64 v[30:31], v[52:53], s[8:9]
	s_mov_b32 s0, 0x33145c07
	v_fma_f64 v[54:55], v[52:53], s[8:9], -v[30:31]
	s_mov_b32 s1, 0x3c91a626
	v_fmac_f64_e32 v[54:55], s[0:1], v[52:53]
	v_fmac_f64_e32 v[54:55], s[8:9], v[8:9]
	v_add_f64 v[8:9], v[30:31], v[54:55]
	v_add_f64 v[30:31], v[8:9], -v[30:31]
	v_add_f64 v[30:31], v[54:55], -v[30:31]
	s_andn2_saveexec_b64 s[0:1], s[10:11]
	s_cbranch_execz .LBB5_15
	s_branch .LBB5_14
.LBB5_13:
	s_andn2_saveexec_b64 s[0:1], s[10:11]
	s_cbranch_execz .LBB5_15
.LBB5_14:
	s_mov_b32 s8, 0x6dc9c883
	s_mov_b32 s9, 0x3fe45f30
	v_mul_f64 v[8:9], |v[6:7]|, s[8:9]
	s_mov_b32 s8, 0x54442d18
	v_rndne_f64_e32 v[52:53], v[8:9]
	s_mov_b32 s9, 0xbff921fb
	v_fma_f64 v[8:9], v[52:53], s[8:9], |v[6:7]|
	s_mov_b32 s9, 0xbc91a626
	s_mov_b32 s8, 0x33145c00
	v_mul_f64 v[54:55], v[52:53], s[8:9]
	v_add_f64 v[80:81], v[8:9], v[54:55]
	v_fma_f64 v[30:31], s[8:9], v[52:53], v[8:9]
	s_mov_b32 s9, 0x3c91a626
	v_add_f64 v[8:9], v[8:9], -v[80:81]
	v_fma_f64 v[70:71], s[8:9], v[52:53], v[54:55]
	v_add_f64 v[8:9], v[8:9], v[54:55]
	v_add_f64 v[54:55], v[80:81], -v[30:31]
	v_add_f64 v[8:9], v[54:55], v[8:9]
	s_mov_b32 s8, 0x252049c0
	v_add_f64 v[54:55], v[8:9], -v[70:71]
	s_mov_b32 s9, 0xb97b839a
	v_fmac_f64_e32 v[54:55], s[8:9], v[52:53]
	v_add_f64 v[8:9], v[30:31], v[54:55]
	v_add_f64 v[30:31], v[8:9], -v[30:31]
	v_add_f64 v[30:31], v[54:55], -v[30:31]
	v_cvt_i32_f64_e32 v49, v[52:53]
.LBB5_15:
	s_or_b64 exec, exec, s[0:1]
                                        ; implicit-def: $vgpr51
                                        ; implicit-def: $vgpr52_vgpr53
                                        ; implicit-def: $vgpr54_vgpr55
	s_and_saveexec_b64 s[0:1], s[6:7]
	s_xor_b64 s[6:7], exec, s[0:1]
	s_cbranch_execz .LBB5_17
; %bb.16:
	s_mov_b32 s0, 0
	s_mov_b32 s1, 0x7b000000
	s_movk_i32 s8, 0xff80
	v_and_b32_e32 v51, 0x7fffffff, v7
	v_ldexp_f64 v[52:53], |v[6:7]|, s8
	v_cmp_ge_f64_e64 vcc, |v[6:7]|, s[0:1]
	s_mov_b32 s0, 0
	s_mov_b32 s1, 0x7ff00000
	v_cndmask_b32_e32 v53, v51, v53, vcc
	v_cndmask_b32_e32 v52, v6, v52, vcc
	v_mul_f64 v[70:71], v[68:69], v[52:53]
	v_mul_f64 v[54:55], v[66:67], v[52:53]
	v_fma_f64 v[68:69], v[68:69], v[52:53], -v[70:71]
	v_add_f64 v[80:81], v[54:55], v[68:69]
	v_add_f64 v[82:83], v[70:71], v[80:81]
	v_ldexp_f64 v[84:85], v[82:83], -2
	v_fract_f64_e32 v[86:87], v[84:85]
	v_cmp_neq_f64_e64 vcc, |v[84:85]|, s[0:1]
	v_add_f64 v[70:71], v[82:83], -v[70:71]
	v_add_f64 v[70:71], v[80:81], -v[70:71]
	v_cndmask_b32_e32 v85, 0, v87, vcc
	v_cndmask_b32_e32 v84, 0, v86, vcc
	v_add_f64 v[86:87], v[80:81], -v[54:55]
	v_add_f64 v[68:69], v[68:69], -v[86:87]
	;; [unrolled: 1-line block ×4, first 2 shown]
	v_fma_f64 v[54:55], v[66:67], v[52:53], -v[54:55]
	v_mul_f64 v[66:67], v[64:65], v[52:53]
	v_add_f64 v[68:69], v[68:69], v[86:87]
	v_add_f64 v[86:87], v[66:67], v[54:55]
	;; [unrolled: 1-line block ×3, first 2 shown]
	v_add_f64 v[82:83], v[98:99], -v[86:87]
	v_add_f64 v[68:69], v[68:69], -v[82:83]
	;; [unrolled: 1-line block ×4, first 2 shown]
	v_add_f64 v[68:69], v[68:69], v[82:83]
	v_add_f64 v[82:83], v[86:87], -v[66:67]
	v_add_f64 v[54:55], v[54:55], -v[82:83]
	;; [unrolled: 1-line block ×4, first 2 shown]
	v_add_f64 v[54:55], v[54:55], v[82:83]
	v_add_f64 v[54:55], v[54:55], v[68:69]
	v_fma_f64 v[52:53], v[64:65], v[52:53], -v[66:67]
	v_add_f64 v[80:81], v[70:71], v[98:99]
	v_add_f64 v[52:53], v[52:53], v[54:55]
	v_ldexp_f64 v[54:55], v[84:85], 2
	v_add_f64 v[64:65], v[80:81], v[54:55]
	v_mov_b32_e32 v51, 0x40100000
	v_cmp_gt_f64_e32 vcc, 0, v[64:65]
	v_mov_b32_e32 v96, 0
	v_add_f64 v[70:71], v[80:81], -v[70:71]
	v_cndmask_b32_e32 v97, 0, v51, vcc
	v_add_f64 v[54:55], v[54:55], v[96:97]
	v_add_f64 v[64:65], v[80:81], v[54:55]
	v_cvt_i32_f64_e32 v51, v[64:65]
	v_cvt_f64_i32_e32 v[64:65], v51
	v_add_f64 v[54:55], v[54:55], -v[64:65]
	v_add_f64 v[64:65], v[80:81], v[54:55]
	v_add_f64 v[70:71], v[98:99], -v[70:71]
	v_add_f64 v[54:55], v[64:65], -v[54:55]
	v_add_f64 v[52:53], v[70:71], v[52:53]
	v_add_f64 v[54:55], v[80:81], -v[54:55]
	v_add_f64 v[52:53], v[52:53], v[54:55]
	v_cmp_le_f64_e32 vcc, 0.5, v[64:65]
	v_mov_b32_e32 v54, 0x3ff00000
	s_mov_b32 s8, 0x33145c07
	v_cndmask_b32_e32 v97, 0, v54, vcc
	v_addc_co_u32_e64 v51, s[0:1], 0, v51, vcc
	v_add_f64 v[54:55], v[64:65], -v[96:97]
	v_add_f64 v[64:65], v[54:55], v[52:53]
	s_mov_b32 s0, 0x54442d18
	v_add_f64 v[54:55], v[64:65], -v[54:55]
	s_mov_b32 s1, 0x3ff921fb
	v_add_f64 v[52:53], v[52:53], -v[54:55]
	v_mul_f64 v[54:55], v[64:65], s[0:1]
	v_fma_f64 v[66:67], v[64:65], s[0:1], -v[54:55]
	s_mov_b32 s9, 0x3c91a626
	v_fmac_f64_e32 v[66:67], s[8:9], v[64:65]
	v_fmac_f64_e32 v[66:67], s[0:1], v[52:53]
	v_add_f64 v[52:53], v[54:55], v[66:67]
	v_add_f64 v[54:55], v[52:53], -v[54:55]
	v_add_f64 v[54:55], v[66:67], -v[54:55]
	s_andn2_saveexec_b64 s[0:1], s[6:7]
	s_cbranch_execnz .LBB5_18
	s_branch .LBB5_19
.LBB5_17:
	s_andn2_saveexec_b64 s[0:1], s[6:7]
	s_cbranch_execz .LBB5_19
.LBB5_18:
	s_mov_b32 s6, 0x6dc9c883
	s_mov_b32 s7, 0x3fe45f30
	v_mul_f64 v[52:53], |v[6:7]|, s[6:7]
	s_mov_b32 s6, 0x54442d18
	v_rndne_f64_e32 v[64:65], v[52:53]
	s_mov_b32 s7, 0xbff921fb
	v_fma_f64 v[52:53], v[64:65], s[6:7], |v[6:7]|
	s_mov_b32 s7, 0xbc91a626
	s_mov_b32 s6, 0x33145c00
	v_mul_f64 v[66:67], v[64:65], s[6:7]
	v_add_f64 v[70:71], v[52:53], v[66:67]
	v_fma_f64 v[54:55], s[6:7], v[64:65], v[52:53]
	s_mov_b32 s7, 0x3c91a626
	v_add_f64 v[52:53], v[52:53], -v[70:71]
	v_fma_f64 v[68:69], s[6:7], v[64:65], v[66:67]
	v_add_f64 v[52:53], v[52:53], v[66:67]
	v_add_f64 v[66:67], v[70:71], -v[54:55]
	v_add_f64 v[52:53], v[66:67], v[52:53]
	s_mov_b32 s6, 0x252049c0
	v_add_f64 v[66:67], v[52:53], -v[68:69]
	s_mov_b32 s7, 0xb97b839a
	v_fmac_f64_e32 v[66:67], s[6:7], v[64:65]
	v_add_f64 v[52:53], v[54:55], v[66:67]
	v_add_f64 v[54:55], v[52:53], -v[54:55]
	v_add_f64 v[54:55], v[66:67], -v[54:55]
	v_cvt_i32_f64_e32 v51, v[64:65]
.LBB5_19:
	s_or_b64 exec, exec, s[0:1]
	s_mov_b32 s0, 0
	v_mul_f64 v[64:65], v[14:15], v[14:15]
	s_mov_b32 s1, 0x40390000
	v_div_scale_f64 v[66:67], s[6:7], v[64:65], v[64:65], s[0:1]
	v_rcp_f64_e32 v[68:69], v[66:67]
	v_mov_b32_e32 v82, 0xb1759c7f
	v_mov_b32_e32 v83, 0x408ac370
	;; [unrolled: 1-line block ×3, first 2 shown]
	v_fma_f64 v[70:71], -v[66:67], v[68:69], 1.0
	v_fmac_f64_e32 v[68:69], v[68:69], v[70:71]
	v_fma_f64 v[70:71], -v[66:67], v[68:69], 1.0
	v_fmac_f64_e32 v[68:69], v[68:69], v[70:71]
	v_div_scale_f64 v[70:71], vcc, s[0:1], v[64:65], s[0:1]
	v_mul_f64 v[80:81], v[70:71], v[68:69]
	v_fma_f64 v[66:67], -v[66:67], v[80:81], v[70:71]
	v_mov_b32_e32 v70, 0xab5454e3
	s_nop 0
	v_div_fmas_f64 v[66:67], v[66:67], v[68:69], v[80:81]
	v_div_fixup_f64 v[64:65], v[66:67], v[64:65], s[0:1]
	v_mov_b32_e32 v66, 0x983b6b27
	v_mov_b32_e32 v67, 0x3f4a1d30
	v_fmac_f64_e32 v[66:67], 0, v[64:65]
	v_mov_b32_e32 v68, 0xb35dd1cf
	v_mov_b32_e32 v69, 0x3fb534b0
	v_fmac_f64_e32 v[68:69], v[64:65], v[66:67]
	;; [unrolled: 3-line block ×7, first 2 shown]
	v_mov_b32_e32 v71, 0x3fb5ebc5
	v_fmac_f64_e32 v[70:71], v[64:65], v[66:67]
	v_mov_b32_e32 v66, 0xc9b3069f
	v_mov_b32_e32 v67, 0x3ff40e72
	v_fmac_f64_e32 v[66:67], v[64:65], v[70:71]
	v_mov_b32_e32 v70, 0xe68162bb
	;; [unrolled: 3-line block ×4, first 2 shown]
	v_mov_b32_e32 v71, 0x40153965
	v_fmac_f64_e32 v[70:71], v[64:65], v[66:67]
	v_fma_f64 v[66:67], v[64:65], v[70:71], 1.0
	v_mov_b32_e32 v70, 0x38a5384a
	v_mov_b32_e32 v71, 0xbf874742
	v_fmac_f64_e32 v[70:71], 0, v[64:65]
	v_mov_b32_e32 v80, 0x3a321174
	v_mov_b32_e32 v81, 0xbff4853b
	v_fmac_f64_e32 v[80:81], v[64:65], v[70:71]
	;; [unrolled: 3-line block ×9, first 2 shown]
	v_fmac_f64_e32 v[82:83], v[64:65], v[70:71]
	v_mov_b32_e32 v70, 0xbd748cb5
	v_mov_b32_e32 v71, 0x40ae54cd
	v_fmac_f64_e32 v[70:71], v[64:65], v[82:83]
	v_mov_b32_e32 v82, 0xbdefd63e
	v_mov_b32_e32 v83, 0x40bc4877
	;; [unrolled: 3-line block ×4, first 2 shown]
	v_fma_f64 v[68:69], v[64:65], v[68:69], 1.0
	v_fmac_f64_e32 v[82:83], v[64:65], v[70:71]
	v_div_scale_f64 v[70:71], s[0:1], v[66:67], v[66:67], v[68:69]
	v_rcp_f64_e32 v[84:85], v[70:71]
	v_mov_b32_e32 v87, 0x406e402f
	v_fmac_f64_e32 v[86:87], v[64:65], v[82:83]
	s_mov_b32 s0, 0x9037ab78
	v_fma_f64 v[64:65], -v[70:71], v[84:85], 1.0
	v_fmac_f64_e32 v[84:85], v[84:85], v[64:65]
	v_fma_f64 v[64:65], -v[70:71], v[84:85], 1.0
	v_fmac_f64_e32 v[84:85], v[84:85], v[64:65]
	v_div_scale_f64 v[64:65], vcc, v[68:69], v[66:67], v[68:69]
	v_mul_f64 v[82:83], v[64:65], v[84:85]
	v_fma_f64 v[64:65], -v[70:71], v[82:83], v[64:65]
	s_mov_b32 s1, 0x3e21eeb6
	s_nop 0
	v_div_fmas_f64 v[64:65], v[64:65], v[84:85], v[82:83]
	s_mov_b32 s6, 0x46cc5e42
	v_div_fixup_f64 v[64:65], v[64:65], v[66:67], v[68:69]
	v_mul_f64 v[66:67], v[8:9], v[8:9]
	s_mov_b32 s7, 0xbda907db
	v_mov_b64_e32 v[84:85], s[0:1]
	s_mov_b32 s8, 0xa17f65f6
	v_mul_f64 v[68:69], v[66:67], 0.5
	v_fma_f64 v[96:97], s[6:7], v[66:67], v[84:85]
	s_mov_b32 s9, 0xbe927e4f
	s_mov_b32 s10, 0x19f4ec90
	v_add_f64 v[70:71], -v[68:69], 1.0
	v_fma_f64 v[96:97], v[66:67], v[96:97], s[8:9]
	s_mov_b32 s11, 0x3efa01a0
	s_mov_b32 s12, 0x16c16967
	v_add_f64 v[82:83], -v[70:71], 1.0
	v_fma_f64 v[96:97], v[66:67], v[96:97], s[10:11]
	s_mov_b32 s13, 0xbf56c16c
	s_mov_b32 s14, 0x55555555
	v_add_f64 v[68:69], v[82:83], -v[68:69]
	v_fma_f64 v[96:97], v[66:67], v[96:97], s[12:13]
	s_mov_b32 s15, 0x3fa55555
	v_mul_f64 v[82:83], v[66:67], v[66:67]
	v_fma_f64 v[96:97], v[66:67], v[96:97], s[14:15]
	v_fma_f64 v[68:69], v[8:9], -v[30:31], v[68:69]
	s_mov_b32 s0, 0xb42fdfa7
	v_fmac_f64_e32 v[68:69], v[82:83], v[96:97]
	s_mov_b32 s1, 0xbe5ae600
	s_mov_b32 s16, 0xf9a43bb8
	v_add_f64 v[68:69], v[70:71], v[68:69]
	s_mov_b32 s17, 0x3de5e0b2
	v_mov_b64_e32 v[70:71], s[0:1]
	s_mov_b32 s18, 0x796cde01
	v_fma_f64 v[82:83], s[16:17], v[66:67], v[70:71]
	s_mov_b32 s19, 0x3ec71de3
	s_mov_b32 s20, 0x19e83e5c
	v_fma_f64 v[82:83], v[66:67], v[82:83], s[18:19]
	s_mov_b32 s21, 0xbf2a01a0
	;; [unrolled: 3-line block ×3, first 2 shown]
	v_fma_f64 v[82:83], v[66:67], v[82:83], s[22:23]
	v_mul_f64 v[96:97], v[8:9], -v[66:67]
	v_mul_f64 v[98:99], v[30:31], 0.5
	v_fmac_f64_e32 v[98:99], v[96:97], v[82:83]
	v_fma_f64 v[30:31], v[66:67], v[98:99], -v[30:31]
	s_mov_b32 s25, 0xbfc55555
	s_mov_b32 s24, s14
	v_fmac_f64_e32 v[30:31], s[24:25], v[96:97]
	v_add_f64 v[8:9], v[8:9], -v[30:31]
	v_and_b32_e32 v30, 1, v49
	v_cmp_eq_u32_e32 vcc, 0, v30
	s_mov_b32 s26, 0
	s_mov_b32 s27, 0x40140000
	v_cndmask_b32_e32 v66, v68, v8, vcc
	v_cndmask_b32_e32 v8, v69, v9, vcc
	v_lshlrev_b32_e32 v9, 30, v49
	v_xor_b32_e32 v9, v9, v7
	v_and_b32_e32 v9, 0x80000000, v9
	v_xor_b32_e32 v49, v8, v9
	v_div_scale_f64 v[8:9], s[0:1], v[14:15], v[14:15], s[26:27]
	v_rcp_f64_e32 v[30:31], v[8:9]
	s_movk_i32 s28, 0x1f8
	v_cmp_class_f64_e64 s[0:1], v[6:7], s28
	v_mov_b32_e32 v96, 0x7ff80000
	s_nop 0
	v_cndmask_b32_e64 v6, 0, v66, s[0:1]
	v_fma_f64 v[66:67], -v[8:9], v[30:31], 1.0
	v_fmac_f64_e32 v[30:31], v[30:31], v[66:67]
	v_fma_f64 v[66:67], -v[8:9], v[30:31], 1.0
	v_fmac_f64_e32 v[30:31], v[30:31], v[66:67]
	v_div_scale_f64 v[66:67], vcc, s[26:27], v[14:15], s[26:27]
	v_mul_f64 v[68:69], v[66:67], v[30:31]
	v_fma_f64 v[8:9], -v[8:9], v[68:69], v[66:67]
	v_div_scale_f64 v[66:67], s[28:29], v[86:87], v[86:87], v[80:81]
	v_rcp_f64_e32 v[82:83], v[66:67]
	v_div_fmas_f64 v[8:9], v[8:9], v[30:31], v[68:69]
	v_div_fixup_f64 v[8:9], v[8:9], v[14:15], s[26:27]
	v_cndmask_b32_e64 v7, v96, v49, s[0:1]
	v_fma_f64 v[30:31], -v[66:67], v[82:83], 1.0
	v_fmac_f64_e32 v[82:83], v[82:83], v[30:31]
	v_fma_f64 v[30:31], -v[66:67], v[82:83], 1.0
	v_fmac_f64_e32 v[82:83], v[82:83], v[30:31]
	v_div_scale_f64 v[30:31], vcc, v[80:81], v[86:87], v[80:81]
	v_mul_f64 v[68:69], v[30:31], v[82:83]
	v_fma_f64 v[30:31], -v[66:67], v[68:69], v[30:31]
	v_and_b32_e32 v49, 1, v51
	s_nop 0
	v_div_fmas_f64 v[30:31], v[30:31], v[82:83], v[68:69]
	v_div_fixup_f64 v[30:31], v[30:31], v[86:87], v[80:81]
	v_mul_f64 v[8:9], v[8:9], v[30:31]
	v_mul_f64 v[30:31], v[52:53], v[52:53]
	v_mul_f64 v[66:67], v[30:31], 0.5
	v_fmac_f64_e32 v[84:85], s[6:7], v[30:31]
	v_add_f64 v[68:69], -v[66:67], 1.0
	v_fma_f64 v[82:83], v[30:31], v[84:85], s[8:9]
	v_add_f64 v[80:81], -v[68:69], 1.0
	v_fma_f64 v[82:83], v[30:31], v[82:83], s[10:11]
	v_add_f64 v[66:67], v[80:81], -v[66:67]
	v_fma_f64 v[82:83], v[30:31], v[82:83], s[12:13]
	v_mul_f64 v[80:81], v[30:31], v[30:31]
	v_fma_f64 v[82:83], v[30:31], v[82:83], s[14:15]
	v_fma_f64 v[66:67], v[52:53], -v[54:55], v[66:67]
	v_fmac_f64_e32 v[66:67], v[80:81], v[82:83]
	v_fmac_f64_e32 v[70:71], s[16:17], v[30:31]
	v_add_f64 v[66:67], v[68:69], v[66:67]
	v_fma_f64 v[68:69], v[30:31], v[70:71], s[18:19]
	v_fma_f64 v[68:69], v[30:31], v[68:69], s[20:21]
	v_fma_f64 v[68:69], v[30:31], v[68:69], s[22:23]
	v_mul_f64 v[70:71], v[52:53], -v[30:31]
	v_mul_f64 v[80:81], v[54:55], 0.5
	v_fmac_f64_e32 v[80:81], v[70:71], v[68:69]
	v_fma_f64 v[30:31], v[30:31], v[80:81], -v[54:55]
	v_fmac_f64_e32 v[30:31], s[24:25], v[70:71]
	v_add_f64 v[30:31], v[52:53], -v[30:31]
	v_xor_b32_e32 v31, 0x80000000, v31
	v_cmp_eq_u32_e32 vcc, 0, v49
	v_lshlrev_b32_e32 v49, 30, v51
	v_and_b32_e32 v49, 0x80000000, v49
	v_cndmask_b32_e32 v31, v31, v67, vcc
	v_cndmask_b32_e32 v30, v30, v66, vcc
	v_xor_b32_e32 v31, v31, v49
	v_cndmask_b32_e64 v30, 0, v30, s[0:1]
	v_cndmask_b32_e64 v31, v96, v31, s[0:1]
	s_mov_b32 s0, 0
	s_brev_b32 s1, 8
	v_mul_f64 v[8:9], v[8:9], v[30:31]
	v_cmp_gt_f64_e32 vcc, s[0:1], v[14:15]
	v_fmac_f64_e32 v[8:9], v[64:65], v[6:7]
	s_mov_b32 s0, 0x33d43651
	v_cndmask_b32_e64 v6, 0, 1, vcc
	v_lshlrev_b32_e32 v6, 8, v6
	v_ldexp_f64 v[6:7], v[14:15], v6
	v_rsq_f64_e32 v[14:15], v[6:7]
	s_mov_b32 s1, 0x3fe98845
	v_mul_f64 v[8:9], v[8:9], s[0:1]
	v_mul_f64 v[30:31], v[6:7], v[14:15]
	v_mul_f64 v[14:15], v[14:15], 0.5
	v_fma_f64 v[52:53], -v[14:15], v[30:31], 0.5
	v_fmac_f64_e32 v[30:31], v[30:31], v[52:53]
	v_fma_f64 v[54:55], -v[30:31], v[30:31], v[6:7]
	v_fmac_f64_e32 v[14:15], v[14:15], v[52:53]
	v_fmac_f64_e32 v[30:31], v[54:55], v[14:15]
	v_fma_f64 v[52:53], -v[30:31], v[30:31], v[6:7]
	v_fmac_f64_e32 v[30:31], v[52:53], v[14:15]
	v_mov_b32_e32 v14, 0xffffff80
	v_cndmask_b32_e32 v14, 0, v14, vcc
	v_ldexp_f64 v[14:15], v[30:31], v14
	v_mov_b32_e32 v30, 0x260
	v_cmp_class_f64_e32 vcc, v[6:7], v30
	s_nop 1
	v_cndmask_b32_e32 v7, v15, v7, vcc
	v_cndmask_b32_e32 v6, v14, v6, vcc
	v_div_scale_f64 v[14:15], s[0:1], v[6:7], v[6:7], v[8:9]
	v_rcp_f64_e32 v[30:31], v[14:15]
	s_nop 0
	v_fma_f64 v[52:53], -v[14:15], v[30:31], 1.0
	v_fmac_f64_e32 v[30:31], v[30:31], v[52:53]
	v_fma_f64 v[52:53], -v[14:15], v[30:31], 1.0
	v_fmac_f64_e32 v[30:31], v[30:31], v[52:53]
	v_div_scale_f64 v[52:53], vcc, v[8:9], v[6:7], v[8:9]
	v_mul_f64 v[54:55], v[52:53], v[30:31]
	v_fma_f64 v[14:15], -v[14:15], v[54:55], v[52:53]
	s_nop 1
	v_div_fmas_f64 v[14:15], v[14:15], v[30:31], v[54:55]
	v_div_fixup_f64 v[6:7], v[14:15], v[6:7], v[8:9]
.LBB5_20:
	s_or_b64 exec, exec, s[4:5]
	s_mov_b32 s0, 0
	s_mov_b32 s1, 0x40140000
	v_cmp_ge_f64_e32 vcc, s[0:1], v[16:17]
	s_and_saveexec_b64 s[0:1], vcc
	s_xor_b64 s[0:1], exec, s[0:1]
	s_cbranch_execz .LBB5_30
; %bb.21:
	v_mov_b32_e32 v8, 0
	v_cmp_neq_f64_e32 vcc, 0, v[16:17]
	v_mov_b32_e32 v9, 0xfff00000
	s_and_saveexec_b64 s[4:5], vcc
	s_cbranch_execz .LBB5_29
; %bb.22:
	v_mov_b32_e32 v8, 0
	v_cmp_ngt_f64_e32 vcc, 0, v[16:17]
	v_mov_b32_e32 v9, 0x7ff80000
	s_and_saveexec_b64 s[6:7], vcc
	s_cbranch_execz .LBB5_28
; %bb.23:
	s_mov_b32 s8, 0x88e368f1
	v_mul_f64 v[8:9], v[16:17], v[16:17]
	s_mov_b32 s9, 0x3ee4f8b5
	v_mul_f64 v[30:31], v[8:9], 0
	v_cmp_ngt_f64_e32 vcc, s[8:9], v[16:17]
                                        ; implicit-def: $vgpr14_vgpr15
	s_and_saveexec_b64 s[8:9], vcc
	s_xor_b64 s[8:9], exec, s[8:9]
	s_cbranch_execz .LBB5_25
; %bb.24:
	s_mov_b32 s10, 0xad1c8325
	s_mov_b32 s11, 0xc1f1dc53
	v_add_f64 v[14:15], v[30:31], s[10:11]
	v_mov_b32_e32 v52, 0xc772990d
	v_mov_b32_e32 v53, 0x427c7751
	s_mov_b32 s10, 0xa696b78c
	v_fmac_f64_e32 v[52:53], v[8:9], v[14:15]
	v_mov_b32_e32 v14, 0xe0d900f7
	v_mov_b32_e32 v15, 0xc2ec5614
	s_mov_b32 s11, 0x407f3902
	v_fmac_f64_e32 v[14:15], v[8:9], v[52:53]
	v_add_f64 v[52:53], v[30:31], s[10:11]
	v_mov_b32_e32 v54, 0x36a21a67
	v_mov_b32_e32 v55, 0x410536cb
	v_fmac_f64_e32 v[54:55], v[8:9], v[52:53]
	v_mov_b32_e32 v52, 0x2eac0634
	v_mov_b32_e32 v53, 0x41871934
	v_fmac_f64_e32 v[52:53], v[8:9], v[54:55]
	;; [unrolled: 3-line block ×6, first 2 shown]
	v_mov_b32_e32 v54, 0xc7b662cc
	v_mov_b32_e32 v55, 0x43b7be34
	s_mov_b32 s10, 0x80462bbb
	v_fmac_f64_e32 v[54:55], v[8:9], v[52:53]
	v_mov_b32_e32 v52, 0x69ff5fb4
	v_mov_b32_e32 v53, 0x43413ef8
	s_mov_b32 s11, 0xc01721fb
	v_fmac_f64_e32 v[52:53], v[8:9], v[14:15]
	v_add_f64 v[14:15], v[8:9], s[10:11]
	s_mov_b32 s10, 0xa621dd6f
	s_mov_b32 s11, 0xc03e78a4
	v_add_f64 v[64:65], v[8:9], s[10:11]
	v_mul_f64 v[14:15], v[14:15], v[64:65]
	v_mul_f64 v[14:15], v[14:15], v[52:53]
	v_div_scale_f64 v[52:53], s[10:11], v[54:55], v[54:55], v[14:15]
	v_rcp_f64_e32 v[64:65], v[52:53]
	s_nop 0
	v_fma_f64 v[66:67], -v[52:53], v[64:65], 1.0
	v_fmac_f64_e32 v[64:65], v[64:65], v[66:67]
	v_fma_f64 v[66:67], -v[52:53], v[64:65], 1.0
	v_fmac_f64_e32 v[64:65], v[64:65], v[66:67]
	v_div_scale_f64 v[66:67], vcc, v[14:15], v[54:55], v[14:15]
	v_mul_f64 v[68:69], v[66:67], v[64:65]
	v_fma_f64 v[52:53], -v[52:53], v[68:69], v[66:67]
	s_nop 1
	v_div_fmas_f64 v[52:53], v[52:53], v[64:65], v[68:69]
	v_div_fixup_f64 v[14:15], v[52:53], v[54:55], v[14:15]
.LBB5_25:
	s_andn2_saveexec_b64 s[8:9], s[8:9]
; %bb.26:
	s_mov_b32 s10, 0
	s_mov_b32 s11, 0xbfd00000
	v_fma_f64 v[14:15], v[8:9], s[10:11], 1.0
; %bb.27:
	s_or_b64 exec, exec, s[8:9]
	s_mov_b32 s8, 0xe896898f
	s_mov_b32 s9, 0x40ce7437
	v_add_f64 v[52:53], v[30:31], s[8:9]
	v_mov_b32_e32 v54, 0x32e48896
	v_mov_b32_e32 v55, 0xc16bf81f
	v_fmac_f64_e32 v[54:55], v[8:9], v[52:53]
	v_mov_b32_e32 v52, 0xf0284cdd
	v_mov_b32_e32 v53, 0x41f43f78
	v_fmac_f64_e32 v[52:53], v[8:9], v[54:55]
	;; [unrolled: 3-line block ×4, first 2 shown]
	v_mov_b32_e32 v54, 0xd1d8cc02
	v_mov_b32_e32 v55, 0xc328a121
	s_mov_b32 s8, 0x576dfcb6
	v_fmac_f64_e32 v[54:55], v[8:9], v[52:53]
	v_mov_b32_e32 v52, 0x660b4003
	v_mov_b32_e32 v53, 0x4363a94b
	s_mov_b32 s9, 0x40904522
	v_fmac_f64_e32 v[52:53], v[8:9], v[54:55]
	v_add_f64 v[30:31], v[30:31], s[8:9]
	v_mov_b32_e32 v54, 0xa907bc0c
	v_mov_b32_e32 v55, 0x41231b76
	v_fmac_f64_e32 v[54:55], v[8:9], v[30:31]
	v_mov_b32_e32 v30, 0x5164d101
	v_mov_b32_e32 v31, 0x41b00763
	v_fmac_f64_e32 v[30:31], v[8:9], v[54:55]
	;; [unrolled: 3-line block ×7, first 2 shown]
	v_div_scale_f64 v[8:9], s[8:9], v[30:31], v[30:31], v[54:55]
	v_rcp_f64_e32 v[52:53], v[8:9]
	s_mov_b32 s8, 0x55555555
	v_frexp_exp_i32_f64_e32 v49, v[16:17]
	v_frexp_mant_f64_e32 v[16:17], v[16:17]
	v_fma_f64 v[64:65], -v[8:9], v[52:53], 1.0
	v_fmac_f64_e32 v[52:53], v[52:53], v[64:65]
	v_fma_f64 v[64:65], -v[8:9], v[52:53], 1.0
	v_fmac_f64_e32 v[52:53], v[52:53], v[64:65]
	v_div_scale_f64 v[64:65], vcc, v[54:55], v[30:31], v[54:55]
	v_mul_f64 v[66:67], v[64:65], v[52:53]
	v_fma_f64 v[8:9], -v[8:9], v[66:67], v[64:65]
	s_mov_b32 s9, 0x3fe55555
	s_nop 0
	v_div_fmas_f64 v[8:9], v[8:9], v[52:53], v[66:67]
	v_div_fixup_f64 v[8:9], v[8:9], v[30:31], v[54:55]
	v_mov_b32_e32 v30, 0x3ff00000
	v_cmp_gt_f64_e32 vcc, s[8:9], v[16:17]
	s_mov_b32 s8, 0xbf559e2b
	s_mov_b32 s9, 0x3fc3ab76
	v_cndmask_b32_e64 v31, v30, 2.0, vcc
	v_mov_b32_e32 v30, 0
	v_mul_f64 v[16:17], v[16:17], v[30:31]
	v_add_f64 v[30:31], v[16:17], 1.0
	v_rcp_f64_e32 v[52:53], v[30:31]
	v_add_f64 v[64:65], v[30:31], -1.0
	v_add_f64 v[54:55], v[16:17], -1.0
	v_add_f64 v[16:17], v[16:17], -v[64:65]
	v_fma_f64 v[64:65], -v[30:31], v[52:53], 1.0
	v_fmac_f64_e32 v[52:53], v[64:65], v[52:53]
	v_fma_f64 v[64:65], -v[30:31], v[52:53], 1.0
	v_fmac_f64_e32 v[52:53], v[64:65], v[52:53]
	v_mul_f64 v[64:65], v[54:55], v[52:53]
	v_mul_f64 v[66:67], v[30:31], v[64:65]
	v_fma_f64 v[30:31], v[64:65], v[30:31], -v[66:67]
	v_fmac_f64_e32 v[30:31], v[64:65], v[16:17]
	v_add_f64 v[16:17], v[66:67], v[30:31]
	v_add_f64 v[68:69], v[54:55], -v[16:17]
	v_add_f64 v[66:67], v[16:17], -v[66:67]
	;; [unrolled: 1-line block ×5, first 2 shown]
	v_add_f64 v[16:17], v[30:31], v[16:17]
	v_add_f64 v[16:17], v[68:69], v[16:17]
	v_mul_f64 v[16:17], v[52:53], v[16:17]
	v_add_f64 v[30:31], v[64:65], v[16:17]
	v_add_f64 v[52:53], v[30:31], -v[64:65]
	v_add_f64 v[16:17], v[16:17], -v[52:53]
	v_mul_f64 v[52:53], v[30:31], v[30:31]
	v_mov_b32_e32 v54, 0x6b47b09a
	v_mov_b32_e32 v55, 0x3fc38538
	v_fmac_f64_e32 v[54:55], s[8:9], v[52:53]
	v_mov_b32_e32 v64, 0xd7f4df2e
	v_mov_b32_e32 v65, 0x3fc7474d
	v_fmac_f64_e32 v[64:65], v[52:53], v[54:55]
	;; [unrolled: 3-line block ×6, first 2 shown]
	v_ldexp_f64 v[54:55], v[30:31], 1
	v_mul_f64 v[30:31], v[30:31], v[52:53]
	v_mul_f64 v[30:31], v[30:31], v[64:65]
	v_add_f64 v[52:53], v[54:55], v[30:31]
	v_add_f64 v[54:55], v[52:53], -v[54:55]
	v_ldexp_f64 v[16:17], v[16:17], 1
	v_add_f64 v[30:31], v[30:31], -v[54:55]
	v_add_f64 v[16:17], v[16:17], v[30:31]
	v_add_f64 v[30:31], v[52:53], v[16:17]
	v_subbrev_co_u32_e32 v49, vcc, 0, v49, vcc
	v_add_f64 v[52:53], v[30:31], -v[52:53]
	s_mov_b32 s8, 0xfefa39ef
	v_add_f64 v[16:17], v[16:17], -v[52:53]
	v_cvt_f64_i32_e32 v[52:53], v49
	s_mov_b32 s9, 0x3fe62e42
	v_mul_f64 v[54:55], v[52:53], s[8:9]
	v_fma_f64 v[64:65], v[52:53], s[8:9], -v[54:55]
	s_mov_b32 s8, 0x3b39803f
	s_mov_b32 s9, 0x3c7abc9e
	v_fmac_f64_e32 v[64:65], s[8:9], v[52:53]
	v_add_f64 v[52:53], v[54:55], v[64:65]
	v_add_f64 v[54:55], v[52:53], -v[54:55]
	v_add_f64 v[54:55], v[64:65], -v[54:55]
	v_add_f64 v[64:65], v[52:53], v[30:31]
	v_add_f64 v[66:67], v[64:65], -v[52:53]
	v_add_f64 v[68:69], v[64:65], -v[66:67]
	v_add_f64 v[52:53], v[52:53], -v[68:69]
	v_add_f64 v[30:31], v[30:31], -v[66:67]
	v_add_f64 v[30:31], v[30:31], v[52:53]
	v_add_f64 v[52:53], v[54:55], v[16:17]
	v_add_f64 v[66:67], v[52:53], -v[54:55]
	v_add_f64 v[68:69], v[52:53], -v[66:67]
	v_add_f64 v[30:31], v[52:53], v[30:31]
	v_add_f64 v[54:55], v[54:55], -v[68:69]
	v_add_f64 v[16:17], v[16:17], -v[66:67]
	v_add_f64 v[52:53], v[64:65], v[30:31]
	v_add_f64 v[16:17], v[16:17], v[54:55]
	v_add_f64 v[54:55], v[52:53], -v[64:65]
	v_add_f64 v[30:31], v[30:31], -v[54:55]
	v_add_f64 v[16:17], v[16:17], v[30:31]
	s_mov_b32 s8, 0x6dc9c883
	v_add_f64 v[16:17], v[52:53], v[16:17]
	s_mov_b32 s9, 0x3fe45f30
	v_mul_f64 v[16:17], v[16:17], s[8:9]
	v_fmac_f64_e32 v[8:9], v[16:17], v[14:15]
.LBB5_28:
	s_or_b64 exec, exec, s[6:7]
.LBB5_29:
	s_or_b64 exec, exec, s[4:5]
                                        ; implicit-def: $vgpr16_vgpr17
.LBB5_30:
	s_andn2_saveexec_b64 s[4:5], s[0:1]
	s_cbranch_execz .LBB5_40
; %bb.31:
	s_mov_b32 s9, 0xbfe921fb
	s_mov_b32 s8, 0x54442d18
	;; [unrolled: 1-line block ×3, first 2 shown]
	v_add_f64 v[8:9], v[16:17], s[8:9]
	s_mov_b32 s1, 0x41d00000
	v_cmp_nlt_f64_e64 s[6:7], |v[8:9]|, s[0:1]
	v_trig_preop_f64 v[68:69], |v[8:9]|, 0
	v_trig_preop_f64 v[66:67], |v[8:9]|, 1
	;; [unrolled: 1-line block ×3, first 2 shown]
                                        ; implicit-def: $vgpr49
                                        ; implicit-def: $vgpr14_vgpr15
                                        ; implicit-def: $vgpr30_vgpr31
	s_and_saveexec_b64 s[0:1], s[6:7]
	s_xor_b64 s[10:11], exec, s[0:1]
	s_cbranch_execz .LBB5_33
; %bb.32:
	s_mov_b32 s0, 0
	s_mov_b32 s1, 0x7b000000
	s_movk_i32 s9, 0xff80
	v_and_b32_e32 v30, 0x7fffffff, v9
	v_ldexp_f64 v[14:15], |v[8:9]|, s9
	v_cmp_ge_f64_e64 vcc, |v[8:9]|, s[0:1]
	s_mov_b32 s0, 0
	s_mov_b32 s1, 0x7ff00000
	v_cndmask_b32_e32 v15, v30, v15, vcc
	v_cndmask_b32_e32 v14, v8, v14, vcc
	v_mul_f64 v[52:53], v[68:69], v[14:15]
	v_mul_f64 v[30:31], v[66:67], v[14:15]
	v_fma_f64 v[54:55], v[68:69], v[14:15], -v[52:53]
	v_add_f64 v[70:71], v[30:31], v[54:55]
	v_add_f64 v[80:81], v[52:53], v[70:71]
	v_ldexp_f64 v[82:83], v[80:81], -2
	v_fract_f64_e32 v[84:85], v[82:83]
	v_cmp_neq_f64_e64 vcc, |v[82:83]|, s[0:1]
	v_add_f64 v[52:53], v[80:81], -v[52:53]
	v_add_f64 v[52:53], v[70:71], -v[52:53]
	v_cndmask_b32_e32 v83, 0, v85, vcc
	v_cndmask_b32_e32 v82, 0, v84, vcc
	v_add_f64 v[84:85], v[70:71], -v[30:31]
	v_add_f64 v[54:55], v[54:55], -v[84:85]
	;; [unrolled: 1-line block ×4, first 2 shown]
	v_add_f64 v[54:55], v[54:55], v[84:85]
	v_fma_f64 v[30:31], v[66:67], v[14:15], -v[30:31]
	v_mul_f64 v[84:85], v[64:65], v[14:15]
	v_add_f64 v[96:97], v[84:85], v[30:31]
	v_add_f64 v[98:99], v[96:97], v[54:55]
	v_add_f64 v[80:81], v[98:99], -v[96:97]
	v_add_f64 v[54:55], v[54:55], -v[80:81]
	;; [unrolled: 1-line block ×4, first 2 shown]
	v_add_f64 v[54:55], v[54:55], v[80:81]
	v_add_f64 v[80:81], v[96:97], -v[84:85]
	v_add_f64 v[30:31], v[30:31], -v[80:81]
	;; [unrolled: 1-line block ×4, first 2 shown]
	v_add_f64 v[70:71], v[52:53], v[98:99]
	v_add_f64 v[30:31], v[30:31], v[80:81]
	v_add_f64 v[52:53], v[70:71], -v[52:53]
	v_add_f64 v[30:31], v[30:31], v[54:55]
	v_fma_f64 v[14:15], v[64:65], v[14:15], -v[84:85]
	v_add_f64 v[52:53], v[98:99], -v[52:53]
	v_add_f64 v[14:15], v[14:15], v[30:31]
	v_ldexp_f64 v[30:31], v[82:83], 2
	v_add_f64 v[14:15], v[52:53], v[14:15]
	v_add_f64 v[52:53], v[70:71], v[30:31]
	v_mov_b32_e32 v49, 0x40100000
	v_cmp_gt_f64_e32 vcc, 0, v[52:53]
	v_mov_b32_e32 v86, 0
	s_mov_b32 s9, 0x3ff921fb
	v_cndmask_b32_e32 v87, 0, v49, vcc
	v_add_f64 v[30:31], v[30:31], v[86:87]
	v_add_f64 v[52:53], v[70:71], v[30:31]
	v_cvt_i32_f64_e32 v49, v[52:53]
	v_cvt_f64_i32_e32 v[52:53], v49
	v_add_f64 v[30:31], v[30:31], -v[52:53]
	v_add_f64 v[52:53], v[70:71], v[30:31]
	v_add_f64 v[30:31], v[52:53], -v[30:31]
	v_add_f64 v[30:31], v[70:71], -v[30:31]
	v_add_f64 v[14:15], v[14:15], v[30:31]
	v_cmp_le_f64_e32 vcc, 0.5, v[52:53]
	v_mov_b32_e32 v30, 0x3ff00000
	s_nop 0
	v_cndmask_b32_e32 v87, 0, v30, vcc
	v_add_f64 v[30:31], v[52:53], -v[86:87]
	v_add_f64 v[52:53], v[30:31], v[14:15]
	v_addc_co_u32_e64 v49, s[0:1], 0, v49, vcc
	v_add_f64 v[30:31], v[52:53], -v[30:31]
	v_add_f64 v[14:15], v[14:15], -v[30:31]
	v_mul_f64 v[30:31], v[52:53], s[8:9]
	s_mov_b32 s0, 0x33145c07
	v_fma_f64 v[54:55], v[52:53], s[8:9], -v[30:31]
	s_mov_b32 s1, 0x3c91a626
	v_fmac_f64_e32 v[54:55], s[0:1], v[52:53]
	v_fmac_f64_e32 v[54:55], s[8:9], v[14:15]
	v_add_f64 v[14:15], v[30:31], v[54:55]
	v_add_f64 v[30:31], v[14:15], -v[30:31]
	v_add_f64 v[30:31], v[54:55], -v[30:31]
	s_andn2_saveexec_b64 s[0:1], s[10:11]
	s_cbranch_execz .LBB5_35
	s_branch .LBB5_34
.LBB5_33:
	s_andn2_saveexec_b64 s[0:1], s[10:11]
	s_cbranch_execz .LBB5_35
.LBB5_34:
	s_mov_b32 s8, 0x6dc9c883
	s_mov_b32 s9, 0x3fe45f30
	v_mul_f64 v[14:15], |v[8:9]|, s[8:9]
	s_mov_b32 s8, 0x54442d18
	v_rndne_f64_e32 v[52:53], v[14:15]
	s_mov_b32 s9, 0xbff921fb
	v_fma_f64 v[14:15], v[52:53], s[8:9], |v[8:9]|
	s_mov_b32 s9, 0xbc91a626
	s_mov_b32 s8, 0x33145c00
	v_mul_f64 v[54:55], v[52:53], s[8:9]
	v_add_f64 v[80:81], v[14:15], v[54:55]
	v_fma_f64 v[30:31], s[8:9], v[52:53], v[14:15]
	s_mov_b32 s9, 0x3c91a626
	v_add_f64 v[14:15], v[14:15], -v[80:81]
	v_fma_f64 v[70:71], s[8:9], v[52:53], v[54:55]
	v_add_f64 v[14:15], v[14:15], v[54:55]
	v_add_f64 v[54:55], v[80:81], -v[30:31]
	v_add_f64 v[14:15], v[54:55], v[14:15]
	s_mov_b32 s8, 0x252049c0
	v_add_f64 v[54:55], v[14:15], -v[70:71]
	s_mov_b32 s9, 0xb97b839a
	v_fmac_f64_e32 v[54:55], s[8:9], v[52:53]
	v_add_f64 v[14:15], v[30:31], v[54:55]
	v_add_f64 v[30:31], v[14:15], -v[30:31]
	v_add_f64 v[30:31], v[54:55], -v[30:31]
	v_cvt_i32_f64_e32 v49, v[52:53]
.LBB5_35:
	s_or_b64 exec, exec, s[0:1]
                                        ; implicit-def: $vgpr51
                                        ; implicit-def: $vgpr52_vgpr53
                                        ; implicit-def: $vgpr54_vgpr55
	s_and_saveexec_b64 s[0:1], s[6:7]
	s_xor_b64 s[6:7], exec, s[0:1]
	s_cbranch_execz .LBB5_37
; %bb.36:
	s_mov_b32 s0, 0
	s_mov_b32 s1, 0x7b000000
	s_movk_i32 s8, 0xff80
	v_and_b32_e32 v51, 0x7fffffff, v9
	v_ldexp_f64 v[52:53], |v[8:9]|, s8
	v_cmp_ge_f64_e64 vcc, |v[8:9]|, s[0:1]
	s_mov_b32 s0, 0
	s_mov_b32 s1, 0x7ff00000
	v_cndmask_b32_e32 v53, v51, v53, vcc
	v_cndmask_b32_e32 v52, v8, v52, vcc
	v_mul_f64 v[70:71], v[68:69], v[52:53]
	v_mul_f64 v[54:55], v[66:67], v[52:53]
	v_fma_f64 v[68:69], v[68:69], v[52:53], -v[70:71]
	v_add_f64 v[80:81], v[54:55], v[68:69]
	v_add_f64 v[82:83], v[70:71], v[80:81]
	v_ldexp_f64 v[84:85], v[82:83], -2
	v_fract_f64_e32 v[86:87], v[84:85]
	v_cmp_neq_f64_e64 vcc, |v[84:85]|, s[0:1]
	v_add_f64 v[70:71], v[82:83], -v[70:71]
	v_add_f64 v[70:71], v[80:81], -v[70:71]
	v_cndmask_b32_e32 v85, 0, v87, vcc
	v_cndmask_b32_e32 v84, 0, v86, vcc
	v_add_f64 v[86:87], v[80:81], -v[54:55]
	v_add_f64 v[68:69], v[68:69], -v[86:87]
	;; [unrolled: 1-line block ×4, first 2 shown]
	v_fma_f64 v[54:55], v[66:67], v[52:53], -v[54:55]
	v_mul_f64 v[66:67], v[64:65], v[52:53]
	v_add_f64 v[68:69], v[68:69], v[86:87]
	v_add_f64 v[86:87], v[66:67], v[54:55]
	;; [unrolled: 1-line block ×3, first 2 shown]
	v_add_f64 v[82:83], v[98:99], -v[86:87]
	v_add_f64 v[68:69], v[68:69], -v[82:83]
	;; [unrolled: 1-line block ×4, first 2 shown]
	v_add_f64 v[68:69], v[68:69], v[82:83]
	v_add_f64 v[82:83], v[86:87], -v[66:67]
	v_add_f64 v[54:55], v[54:55], -v[82:83]
	;; [unrolled: 1-line block ×4, first 2 shown]
	v_add_f64 v[54:55], v[54:55], v[82:83]
	v_add_f64 v[54:55], v[54:55], v[68:69]
	v_fma_f64 v[52:53], v[64:65], v[52:53], -v[66:67]
	v_add_f64 v[80:81], v[70:71], v[98:99]
	v_add_f64 v[52:53], v[52:53], v[54:55]
	v_ldexp_f64 v[54:55], v[84:85], 2
	v_add_f64 v[64:65], v[80:81], v[54:55]
	v_mov_b32_e32 v51, 0x40100000
	v_cmp_gt_f64_e32 vcc, 0, v[64:65]
	v_mov_b32_e32 v96, 0
	v_add_f64 v[70:71], v[80:81], -v[70:71]
	v_cndmask_b32_e32 v97, 0, v51, vcc
	v_add_f64 v[54:55], v[54:55], v[96:97]
	v_add_f64 v[64:65], v[80:81], v[54:55]
	v_cvt_i32_f64_e32 v51, v[64:65]
	v_cvt_f64_i32_e32 v[64:65], v51
	v_add_f64 v[54:55], v[54:55], -v[64:65]
	v_add_f64 v[64:65], v[80:81], v[54:55]
	v_add_f64 v[70:71], v[98:99], -v[70:71]
	v_add_f64 v[54:55], v[64:65], -v[54:55]
	v_add_f64 v[52:53], v[70:71], v[52:53]
	v_add_f64 v[54:55], v[80:81], -v[54:55]
	v_add_f64 v[52:53], v[52:53], v[54:55]
	v_cmp_le_f64_e32 vcc, 0.5, v[64:65]
	v_mov_b32_e32 v54, 0x3ff00000
	s_mov_b32 s8, 0x33145c07
	v_cndmask_b32_e32 v97, 0, v54, vcc
	v_addc_co_u32_e64 v51, s[0:1], 0, v51, vcc
	v_add_f64 v[54:55], v[64:65], -v[96:97]
	v_add_f64 v[64:65], v[54:55], v[52:53]
	s_mov_b32 s0, 0x54442d18
	v_add_f64 v[54:55], v[64:65], -v[54:55]
	s_mov_b32 s1, 0x3ff921fb
	v_add_f64 v[52:53], v[52:53], -v[54:55]
	v_mul_f64 v[54:55], v[64:65], s[0:1]
	v_fma_f64 v[66:67], v[64:65], s[0:1], -v[54:55]
	s_mov_b32 s9, 0x3c91a626
	v_fmac_f64_e32 v[66:67], s[8:9], v[64:65]
	v_fmac_f64_e32 v[66:67], s[0:1], v[52:53]
	v_add_f64 v[52:53], v[54:55], v[66:67]
	v_add_f64 v[54:55], v[52:53], -v[54:55]
	v_add_f64 v[54:55], v[66:67], -v[54:55]
	s_andn2_saveexec_b64 s[0:1], s[6:7]
	s_cbranch_execnz .LBB5_38
	s_branch .LBB5_39
.LBB5_37:
	s_andn2_saveexec_b64 s[0:1], s[6:7]
	s_cbranch_execz .LBB5_39
.LBB5_38:
	s_mov_b32 s6, 0x6dc9c883
	s_mov_b32 s7, 0x3fe45f30
	v_mul_f64 v[52:53], |v[8:9]|, s[6:7]
	s_mov_b32 s6, 0x54442d18
	v_rndne_f64_e32 v[64:65], v[52:53]
	s_mov_b32 s7, 0xbff921fb
	v_fma_f64 v[52:53], v[64:65], s[6:7], |v[8:9]|
	s_mov_b32 s7, 0xbc91a626
	s_mov_b32 s6, 0x33145c00
	v_mul_f64 v[66:67], v[64:65], s[6:7]
	v_add_f64 v[70:71], v[52:53], v[66:67]
	v_fma_f64 v[54:55], s[6:7], v[64:65], v[52:53]
	s_mov_b32 s7, 0x3c91a626
	v_add_f64 v[52:53], v[52:53], -v[70:71]
	v_fma_f64 v[68:69], s[6:7], v[64:65], v[66:67]
	v_add_f64 v[52:53], v[52:53], v[66:67]
	v_add_f64 v[66:67], v[70:71], -v[54:55]
	v_add_f64 v[52:53], v[66:67], v[52:53]
	s_mov_b32 s6, 0x252049c0
	v_add_f64 v[66:67], v[52:53], -v[68:69]
	s_mov_b32 s7, 0xb97b839a
	v_fmac_f64_e32 v[66:67], s[6:7], v[64:65]
	v_add_f64 v[52:53], v[54:55], v[66:67]
	v_add_f64 v[54:55], v[52:53], -v[54:55]
	v_add_f64 v[54:55], v[66:67], -v[54:55]
	v_cvt_i32_f64_e32 v51, v[64:65]
.LBB5_39:
	s_or_b64 exec, exec, s[0:1]
	s_mov_b32 s0, 0
	v_mul_f64 v[64:65], v[16:17], v[16:17]
	s_mov_b32 s1, 0x40390000
	v_div_scale_f64 v[66:67], s[6:7], v[64:65], v[64:65], s[0:1]
	v_rcp_f64_e32 v[68:69], v[66:67]
	v_mov_b32_e32 v82, 0xb1759c7f
	v_mov_b32_e32 v83, 0x408ac370
	;; [unrolled: 1-line block ×3, first 2 shown]
	v_fma_f64 v[70:71], -v[66:67], v[68:69], 1.0
	v_fmac_f64_e32 v[68:69], v[68:69], v[70:71]
	v_fma_f64 v[70:71], -v[66:67], v[68:69], 1.0
	v_fmac_f64_e32 v[68:69], v[68:69], v[70:71]
	v_div_scale_f64 v[70:71], vcc, s[0:1], v[64:65], s[0:1]
	v_mul_f64 v[80:81], v[70:71], v[68:69]
	v_fma_f64 v[66:67], -v[66:67], v[80:81], v[70:71]
	v_mov_b32_e32 v70, 0xab5454e3
	s_nop 0
	v_div_fmas_f64 v[66:67], v[66:67], v[68:69], v[80:81]
	v_div_fixup_f64 v[64:65], v[66:67], v[64:65], s[0:1]
	v_mov_b32_e32 v66, 0x983b6b27
	v_mov_b32_e32 v67, 0x3f4a1d30
	v_fmac_f64_e32 v[66:67], 0, v[64:65]
	v_mov_b32_e32 v68, 0xb35dd1cf
	v_mov_b32_e32 v69, 0x3fb534b0
	v_fmac_f64_e32 v[68:69], v[64:65], v[66:67]
	;; [unrolled: 3-line block ×7, first 2 shown]
	v_mov_b32_e32 v71, 0x3fb5ebc5
	v_fmac_f64_e32 v[70:71], v[64:65], v[66:67]
	v_mov_b32_e32 v66, 0xc9b3069f
	v_mov_b32_e32 v67, 0x3ff40e72
	v_fmac_f64_e32 v[66:67], v[64:65], v[70:71]
	v_mov_b32_e32 v70, 0xe68162bb
	;; [unrolled: 3-line block ×4, first 2 shown]
	v_mov_b32_e32 v71, 0x40153965
	v_fmac_f64_e32 v[70:71], v[64:65], v[66:67]
	v_fma_f64 v[66:67], v[64:65], v[70:71], 1.0
	v_mov_b32_e32 v70, 0x38a5384a
	v_mov_b32_e32 v71, 0xbf874742
	v_fmac_f64_e32 v[70:71], 0, v[64:65]
	v_mov_b32_e32 v80, 0x3a321174
	v_mov_b32_e32 v81, 0xbff4853b
	v_fmac_f64_e32 v[80:81], v[64:65], v[70:71]
	;; [unrolled: 3-line block ×9, first 2 shown]
	v_fmac_f64_e32 v[82:83], v[64:65], v[70:71]
	v_mov_b32_e32 v70, 0xbd748cb5
	v_mov_b32_e32 v71, 0x40ae54cd
	v_fmac_f64_e32 v[70:71], v[64:65], v[82:83]
	v_mov_b32_e32 v82, 0xbdefd63e
	v_mov_b32_e32 v83, 0x40bc4877
	;; [unrolled: 3-line block ×4, first 2 shown]
	v_fma_f64 v[68:69], v[64:65], v[68:69], 1.0
	v_fmac_f64_e32 v[82:83], v[64:65], v[70:71]
	v_div_scale_f64 v[70:71], s[0:1], v[66:67], v[66:67], v[68:69]
	v_rcp_f64_e32 v[84:85], v[70:71]
	v_mov_b32_e32 v87, 0x406e402f
	v_fmac_f64_e32 v[86:87], v[64:65], v[82:83]
	s_mov_b32 s0, 0x9037ab78
	v_fma_f64 v[64:65], -v[70:71], v[84:85], 1.0
	v_fmac_f64_e32 v[84:85], v[84:85], v[64:65]
	v_fma_f64 v[64:65], -v[70:71], v[84:85], 1.0
	v_fmac_f64_e32 v[84:85], v[84:85], v[64:65]
	v_div_scale_f64 v[64:65], vcc, v[68:69], v[66:67], v[68:69]
	v_mul_f64 v[82:83], v[64:65], v[84:85]
	v_fma_f64 v[64:65], -v[70:71], v[82:83], v[64:65]
	s_mov_b32 s1, 0x3e21eeb6
	s_nop 0
	v_div_fmas_f64 v[64:65], v[64:65], v[84:85], v[82:83]
	s_mov_b32 s6, 0x46cc5e42
	v_div_fixup_f64 v[64:65], v[64:65], v[66:67], v[68:69]
	v_mul_f64 v[66:67], v[14:15], v[14:15]
	s_mov_b32 s7, 0xbda907db
	v_mov_b64_e32 v[84:85], s[0:1]
	s_mov_b32 s8, 0xa17f65f6
	v_mul_f64 v[68:69], v[66:67], 0.5
	v_fma_f64 v[96:97], s[6:7], v[66:67], v[84:85]
	s_mov_b32 s9, 0xbe927e4f
	s_mov_b32 s10, 0x19f4ec90
	v_add_f64 v[70:71], -v[68:69], 1.0
	v_fma_f64 v[96:97], v[66:67], v[96:97], s[8:9]
	s_mov_b32 s11, 0x3efa01a0
	s_mov_b32 s12, 0x16c16967
	v_add_f64 v[82:83], -v[70:71], 1.0
	v_fma_f64 v[96:97], v[66:67], v[96:97], s[10:11]
	s_mov_b32 s13, 0xbf56c16c
	s_mov_b32 s14, 0x55555555
	v_add_f64 v[68:69], v[82:83], -v[68:69]
	v_fma_f64 v[96:97], v[66:67], v[96:97], s[12:13]
	s_mov_b32 s15, 0x3fa55555
	v_mul_f64 v[82:83], v[66:67], v[66:67]
	v_fma_f64 v[96:97], v[66:67], v[96:97], s[14:15]
	v_fma_f64 v[68:69], v[14:15], -v[30:31], v[68:69]
	s_mov_b32 s0, 0xb42fdfa7
	v_fmac_f64_e32 v[68:69], v[82:83], v[96:97]
	s_mov_b32 s1, 0xbe5ae600
	s_mov_b32 s16, 0xf9a43bb8
	v_add_f64 v[68:69], v[70:71], v[68:69]
	s_mov_b32 s17, 0x3de5e0b2
	v_mov_b64_e32 v[70:71], s[0:1]
	s_mov_b32 s18, 0x796cde01
	v_fma_f64 v[82:83], s[16:17], v[66:67], v[70:71]
	s_mov_b32 s19, 0x3ec71de3
	s_mov_b32 s20, 0x19e83e5c
	v_fma_f64 v[82:83], v[66:67], v[82:83], s[18:19]
	s_mov_b32 s21, 0xbf2a01a0
	;; [unrolled: 3-line block ×3, first 2 shown]
	v_fma_f64 v[82:83], v[66:67], v[82:83], s[22:23]
	v_mul_f64 v[96:97], v[14:15], -v[66:67]
	v_mul_f64 v[98:99], v[30:31], 0.5
	v_fmac_f64_e32 v[98:99], v[96:97], v[82:83]
	v_fma_f64 v[30:31], v[66:67], v[98:99], -v[30:31]
	s_mov_b32 s25, 0xbfc55555
	s_mov_b32 s24, s14
	v_fmac_f64_e32 v[30:31], s[24:25], v[96:97]
	v_add_f64 v[14:15], v[14:15], -v[30:31]
	v_and_b32_e32 v30, 1, v49
	v_cmp_eq_u32_e32 vcc, 0, v30
	s_mov_b32 s26, 0
	s_mov_b32 s27, 0x40140000
	v_cndmask_b32_e32 v66, v68, v14, vcc
	v_cndmask_b32_e32 v14, v69, v15, vcc
	v_lshlrev_b32_e32 v15, 30, v49
	v_xor_b32_e32 v15, v15, v9
	v_and_b32_e32 v15, 0x80000000, v15
	v_xor_b32_e32 v49, v14, v15
	v_div_scale_f64 v[14:15], s[0:1], v[16:17], v[16:17], s[26:27]
	v_rcp_f64_e32 v[30:31], v[14:15]
	s_movk_i32 s28, 0x1f8
	v_cmp_class_f64_e64 s[0:1], v[8:9], s28
	v_mov_b32_e32 v96, 0x7ff80000
	s_nop 0
	v_cndmask_b32_e64 v8, 0, v66, s[0:1]
	v_fma_f64 v[66:67], -v[14:15], v[30:31], 1.0
	v_fmac_f64_e32 v[30:31], v[30:31], v[66:67]
	v_fma_f64 v[66:67], -v[14:15], v[30:31], 1.0
	v_fmac_f64_e32 v[30:31], v[30:31], v[66:67]
	v_div_scale_f64 v[66:67], vcc, s[26:27], v[16:17], s[26:27]
	v_mul_f64 v[68:69], v[66:67], v[30:31]
	v_fma_f64 v[14:15], -v[14:15], v[68:69], v[66:67]
	v_div_scale_f64 v[66:67], s[28:29], v[86:87], v[86:87], v[80:81]
	v_rcp_f64_e32 v[82:83], v[66:67]
	v_div_fmas_f64 v[14:15], v[14:15], v[30:31], v[68:69]
	v_div_fixup_f64 v[14:15], v[14:15], v[16:17], s[26:27]
	v_cndmask_b32_e64 v9, v96, v49, s[0:1]
	v_fma_f64 v[30:31], -v[66:67], v[82:83], 1.0
	v_fmac_f64_e32 v[82:83], v[82:83], v[30:31]
	v_fma_f64 v[30:31], -v[66:67], v[82:83], 1.0
	v_fmac_f64_e32 v[82:83], v[82:83], v[30:31]
	v_div_scale_f64 v[30:31], vcc, v[80:81], v[86:87], v[80:81]
	v_mul_f64 v[68:69], v[30:31], v[82:83]
	v_fma_f64 v[30:31], -v[66:67], v[68:69], v[30:31]
	v_and_b32_e32 v49, 1, v51
	s_nop 0
	v_div_fmas_f64 v[30:31], v[30:31], v[82:83], v[68:69]
	v_div_fixup_f64 v[30:31], v[30:31], v[86:87], v[80:81]
	v_mul_f64 v[14:15], v[14:15], v[30:31]
	v_mul_f64 v[30:31], v[52:53], v[52:53]
	v_mul_f64 v[66:67], v[30:31], 0.5
	v_fmac_f64_e32 v[84:85], s[6:7], v[30:31]
	v_add_f64 v[68:69], -v[66:67], 1.0
	v_fma_f64 v[82:83], v[30:31], v[84:85], s[8:9]
	v_add_f64 v[80:81], -v[68:69], 1.0
	v_fma_f64 v[82:83], v[30:31], v[82:83], s[10:11]
	v_add_f64 v[66:67], v[80:81], -v[66:67]
	v_fma_f64 v[82:83], v[30:31], v[82:83], s[12:13]
	v_mul_f64 v[80:81], v[30:31], v[30:31]
	v_fma_f64 v[82:83], v[30:31], v[82:83], s[14:15]
	v_fma_f64 v[66:67], v[52:53], -v[54:55], v[66:67]
	v_fmac_f64_e32 v[66:67], v[80:81], v[82:83]
	v_fmac_f64_e32 v[70:71], s[16:17], v[30:31]
	v_add_f64 v[66:67], v[68:69], v[66:67]
	v_fma_f64 v[68:69], v[30:31], v[70:71], s[18:19]
	v_fma_f64 v[68:69], v[30:31], v[68:69], s[20:21]
	;; [unrolled: 1-line block ×3, first 2 shown]
	v_mul_f64 v[70:71], v[52:53], -v[30:31]
	v_mul_f64 v[80:81], v[54:55], 0.5
	v_fmac_f64_e32 v[80:81], v[70:71], v[68:69]
	v_fma_f64 v[30:31], v[30:31], v[80:81], -v[54:55]
	v_fmac_f64_e32 v[30:31], s[24:25], v[70:71]
	v_add_f64 v[30:31], v[52:53], -v[30:31]
	v_xor_b32_e32 v31, 0x80000000, v31
	v_cmp_eq_u32_e32 vcc, 0, v49
	v_lshlrev_b32_e32 v49, 30, v51
	v_and_b32_e32 v49, 0x80000000, v49
	v_cndmask_b32_e32 v31, v31, v67, vcc
	v_cndmask_b32_e32 v30, v30, v66, vcc
	v_xor_b32_e32 v31, v31, v49
	v_cndmask_b32_e64 v30, 0, v30, s[0:1]
	v_cndmask_b32_e64 v31, v96, v31, s[0:1]
	s_mov_b32 s0, 0
	s_brev_b32 s1, 8
	v_mul_f64 v[14:15], v[14:15], v[30:31]
	v_cmp_gt_f64_e32 vcc, s[0:1], v[16:17]
	v_fmac_f64_e32 v[14:15], v[64:65], v[8:9]
	s_mov_b32 s0, 0x33d43651
	v_cndmask_b32_e64 v8, 0, 1, vcc
	v_lshlrev_b32_e32 v8, 8, v8
	v_ldexp_f64 v[8:9], v[16:17], v8
	v_rsq_f64_e32 v[16:17], v[8:9]
	s_mov_b32 s1, 0x3fe98845
	v_mul_f64 v[14:15], v[14:15], s[0:1]
	v_mul_f64 v[30:31], v[8:9], v[16:17]
	v_mul_f64 v[16:17], v[16:17], 0.5
	v_fma_f64 v[52:53], -v[16:17], v[30:31], 0.5
	v_fmac_f64_e32 v[30:31], v[30:31], v[52:53]
	v_fma_f64 v[54:55], -v[30:31], v[30:31], v[8:9]
	v_fmac_f64_e32 v[16:17], v[16:17], v[52:53]
	v_fmac_f64_e32 v[30:31], v[54:55], v[16:17]
	v_fma_f64 v[52:53], -v[30:31], v[30:31], v[8:9]
	v_fmac_f64_e32 v[30:31], v[52:53], v[16:17]
	v_mov_b32_e32 v16, 0xffffff80
	v_cndmask_b32_e32 v16, 0, v16, vcc
	v_ldexp_f64 v[16:17], v[30:31], v16
	v_mov_b32_e32 v30, 0x260
	v_cmp_class_f64_e32 vcc, v[8:9], v30
	s_nop 1
	v_cndmask_b32_e32 v9, v17, v9, vcc
	v_cndmask_b32_e32 v8, v16, v8, vcc
	v_div_scale_f64 v[16:17], s[0:1], v[8:9], v[8:9], v[14:15]
	v_rcp_f64_e32 v[30:31], v[16:17]
	s_nop 0
	v_fma_f64 v[52:53], -v[16:17], v[30:31], 1.0
	v_fmac_f64_e32 v[30:31], v[30:31], v[52:53]
	v_fma_f64 v[52:53], -v[16:17], v[30:31], 1.0
	v_fmac_f64_e32 v[30:31], v[30:31], v[52:53]
	v_div_scale_f64 v[52:53], vcc, v[14:15], v[8:9], v[14:15]
	v_mul_f64 v[54:55], v[52:53], v[30:31]
	v_fma_f64 v[16:17], -v[16:17], v[54:55], v[52:53]
	s_nop 1
	v_div_fmas_f64 v[16:17], v[16:17], v[30:31], v[54:55]
	v_div_fixup_f64 v[8:9], v[16:17], v[8:9], v[14:15]
.LBB5_40:
	s_or_b64 exec, exec, s[4:5]
	s_mov_b32 s0, 0
	s_mov_b32 s1, 0x40140000
	v_cmp_ge_f64_e32 vcc, s[0:1], v[22:23]
                                        ; implicit-def: $vgpr14_vgpr15
	s_and_saveexec_b64 s[0:1], vcc
	s_xor_b64 s[0:1], exec, s[0:1]
	s_cbranch_execz .LBB5_50
; %bb.41:
	v_mov_b32_e32 v14, 0
	v_cmp_neq_f64_e32 vcc, 0, v[22:23]
	v_mov_b32_e32 v15, 0xfff00000
	s_and_saveexec_b64 s[4:5], vcc
	s_cbranch_execz .LBB5_49
; %bb.42:
	v_mov_b32_e32 v14, 0
	v_cmp_ngt_f64_e32 vcc, 0, v[22:23]
	v_mov_b32_e32 v15, 0x7ff80000
	s_and_saveexec_b64 s[6:7], vcc
	s_cbranch_execz .LBB5_48
; %bb.43:
	s_mov_b32 s8, 0x88e368f1
	v_mul_f64 v[14:15], v[22:23], v[22:23]
	s_mov_b32 s9, 0x3ee4f8b5
	v_mul_f64 v[30:31], v[14:15], 0
	v_cmp_ngt_f64_e32 vcc, s[8:9], v[22:23]
                                        ; implicit-def: $vgpr16_vgpr17
	s_and_saveexec_b64 s[8:9], vcc
	s_xor_b64 s[8:9], exec, s[8:9]
	s_cbranch_execz .LBB5_45
; %bb.44:
	s_mov_b32 s10, 0xad1c8325
	s_mov_b32 s11, 0xc1f1dc53
	v_add_f64 v[16:17], v[30:31], s[10:11]
	v_mov_b32_e32 v52, 0xc772990d
	v_mov_b32_e32 v53, 0x427c7751
	s_mov_b32 s10, 0xa696b78c
	v_fmac_f64_e32 v[52:53], v[14:15], v[16:17]
	v_mov_b32_e32 v16, 0xe0d900f7
	v_mov_b32_e32 v17, 0xc2ec5614
	s_mov_b32 s11, 0x407f3902
	v_fmac_f64_e32 v[16:17], v[14:15], v[52:53]
	v_add_f64 v[52:53], v[30:31], s[10:11]
	v_mov_b32_e32 v54, 0x36a21a67
	v_mov_b32_e32 v55, 0x410536cb
	v_fmac_f64_e32 v[54:55], v[14:15], v[52:53]
	v_mov_b32_e32 v52, 0x2eac0634
	v_mov_b32_e32 v53, 0x41871934
	v_fmac_f64_e32 v[52:53], v[14:15], v[54:55]
	;; [unrolled: 3-line block ×6, first 2 shown]
	v_mov_b32_e32 v54, 0xc7b662cc
	v_mov_b32_e32 v55, 0x43b7be34
	s_mov_b32 s10, 0x80462bbb
	v_fmac_f64_e32 v[54:55], v[14:15], v[52:53]
	v_mov_b32_e32 v52, 0x69ff5fb4
	v_mov_b32_e32 v53, 0x43413ef8
	s_mov_b32 s11, 0xc01721fb
	v_fmac_f64_e32 v[52:53], v[14:15], v[16:17]
	v_add_f64 v[16:17], v[14:15], s[10:11]
	s_mov_b32 s10, 0xa621dd6f
	s_mov_b32 s11, 0xc03e78a4
	v_add_f64 v[64:65], v[14:15], s[10:11]
	v_mul_f64 v[16:17], v[16:17], v[64:65]
	v_mul_f64 v[16:17], v[16:17], v[52:53]
	v_div_scale_f64 v[52:53], s[10:11], v[54:55], v[54:55], v[16:17]
	v_rcp_f64_e32 v[64:65], v[52:53]
	s_nop 0
	v_fma_f64 v[66:67], -v[52:53], v[64:65], 1.0
	v_fmac_f64_e32 v[64:65], v[64:65], v[66:67]
	v_fma_f64 v[66:67], -v[52:53], v[64:65], 1.0
	v_fmac_f64_e32 v[64:65], v[64:65], v[66:67]
	v_div_scale_f64 v[66:67], vcc, v[16:17], v[54:55], v[16:17]
	v_mul_f64 v[68:69], v[66:67], v[64:65]
	v_fma_f64 v[52:53], -v[52:53], v[68:69], v[66:67]
	s_nop 1
	v_div_fmas_f64 v[52:53], v[52:53], v[64:65], v[68:69]
	v_div_fixup_f64 v[16:17], v[52:53], v[54:55], v[16:17]
.LBB5_45:
	s_andn2_saveexec_b64 s[8:9], s[8:9]
; %bb.46:
	s_mov_b32 s10, 0
	s_mov_b32 s11, 0xbfd00000
	v_fma_f64 v[16:17], v[14:15], s[10:11], 1.0
; %bb.47:
	s_or_b64 exec, exec, s[8:9]
	s_mov_b32 s8, 0xe896898f
	s_mov_b32 s9, 0x40ce7437
	v_add_f64 v[52:53], v[30:31], s[8:9]
	v_mov_b32_e32 v54, 0x32e48896
	v_mov_b32_e32 v55, 0xc16bf81f
	v_fmac_f64_e32 v[54:55], v[14:15], v[52:53]
	v_mov_b32_e32 v52, 0xf0284cdd
	v_mov_b32_e32 v53, 0x41f43f78
	v_fmac_f64_e32 v[52:53], v[14:15], v[54:55]
	;; [unrolled: 3-line block ×4, first 2 shown]
	v_mov_b32_e32 v54, 0xd1d8cc02
	v_mov_b32_e32 v55, 0xc328a121
	s_mov_b32 s8, 0x576dfcb6
	v_fmac_f64_e32 v[54:55], v[14:15], v[52:53]
	v_mov_b32_e32 v52, 0x660b4003
	v_mov_b32_e32 v53, 0x4363a94b
	s_mov_b32 s9, 0x40904522
	v_fmac_f64_e32 v[52:53], v[14:15], v[54:55]
	v_add_f64 v[30:31], v[30:31], s[8:9]
	v_mov_b32_e32 v54, 0xa907bc0c
	v_mov_b32_e32 v55, 0x41231b76
	v_fmac_f64_e32 v[54:55], v[14:15], v[30:31]
	v_mov_b32_e32 v30, 0x5164d101
	v_mov_b32_e32 v31, 0x41b00763
	v_fmac_f64_e32 v[30:31], v[14:15], v[54:55]
	;; [unrolled: 3-line block ×7, first 2 shown]
	v_div_scale_f64 v[14:15], s[8:9], v[30:31], v[30:31], v[54:55]
	v_rcp_f64_e32 v[52:53], v[14:15]
	s_mov_b32 s8, 0x55555555
	s_mov_b32 s9, 0x3fe55555
	v_mov_b32_e32 v51, 0x3ff00000
	v_fma_f64 v[64:65], -v[14:15], v[52:53], 1.0
	v_fmac_f64_e32 v[52:53], v[52:53], v[64:65]
	v_fma_f64 v[64:65], -v[14:15], v[52:53], 1.0
	v_fmac_f64_e32 v[52:53], v[52:53], v[64:65]
	v_div_scale_f64 v[64:65], vcc, v[54:55], v[30:31], v[54:55]
	v_mul_f64 v[66:67], v[64:65], v[52:53]
	v_fma_f64 v[14:15], -v[14:15], v[66:67], v[64:65]
	v_frexp_exp_i32_f64_e32 v49, v[22:23]
	s_nop 0
	v_div_fmas_f64 v[14:15], v[14:15], v[52:53], v[66:67]
	v_div_fixup_f64 v[14:15], v[14:15], v[30:31], v[54:55]
	v_frexp_mant_f64_e32 v[30:31], v[22:23]
	v_cmp_gt_f64_e32 vcc, s[8:9], v[30:31]
	v_mov_b32_e32 v52, 0
	s_mov_b32 s8, 0xbf559e2b
	v_cndmask_b32_e64 v53, v51, 2.0, vcc
	v_mul_f64 v[30:31], v[30:31], v[52:53]
	v_add_f64 v[52:53], v[30:31], 1.0
	v_rcp_f64_e32 v[54:55], v[52:53]
	v_add_f64 v[66:67], v[52:53], -1.0
	v_add_f64 v[64:65], v[30:31], -1.0
	v_add_f64 v[30:31], v[30:31], -v[66:67]
	v_fma_f64 v[66:67], -v[52:53], v[54:55], 1.0
	v_fmac_f64_e32 v[54:55], v[66:67], v[54:55]
	v_fma_f64 v[66:67], -v[52:53], v[54:55], 1.0
	v_fmac_f64_e32 v[54:55], v[66:67], v[54:55]
	v_mul_f64 v[66:67], v[64:65], v[54:55]
	v_mul_f64 v[68:69], v[52:53], v[66:67]
	v_fma_f64 v[52:53], v[66:67], v[52:53], -v[68:69]
	v_fmac_f64_e32 v[52:53], v[66:67], v[30:31]
	v_add_f64 v[30:31], v[68:69], v[52:53]
	v_add_f64 v[70:71], v[64:65], -v[30:31]
	v_add_f64 v[68:69], v[30:31], -v[68:69]
	;; [unrolled: 1-line block ×5, first 2 shown]
	v_add_f64 v[30:31], v[52:53], v[30:31]
	v_add_f64 v[30:31], v[70:71], v[30:31]
	v_mul_f64 v[30:31], v[54:55], v[30:31]
	v_add_f64 v[52:53], v[66:67], v[30:31]
	v_add_f64 v[54:55], v[52:53], -v[66:67]
	v_add_f64 v[30:31], v[30:31], -v[54:55]
	v_mul_f64 v[54:55], v[52:53], v[52:53]
	v_mov_b32_e32 v64, 0x6b47b09a
	v_mov_b32_e32 v65, 0x3fc38538
	s_mov_b32 s9, 0x3fc3ab76
	v_fmac_f64_e32 v[64:65], s[8:9], v[54:55]
	v_mov_b32_e32 v66, 0xd7f4df2e
	v_mov_b32_e32 v67, 0x3fc7474d
	v_fmac_f64_e32 v[66:67], v[54:55], v[64:65]
	v_mov_b32_e32 v64, 0x16291751
	v_mov_b32_e32 v65, 0x3fcc71c0
	;; [unrolled: 3-line block ×5, first 2 shown]
	v_fmac_f64_e32 v[66:67], v[54:55], v[64:65]
	v_ldexp_f64 v[64:65], v[52:53], 1
	v_mul_f64 v[52:53], v[52:53], v[54:55]
	v_mul_f64 v[52:53], v[52:53], v[66:67]
	v_add_f64 v[54:55], v[64:65], v[52:53]
	v_add_f64 v[64:65], v[54:55], -v[64:65]
	v_ldexp_f64 v[30:31], v[30:31], 1
	v_add_f64 v[52:53], v[52:53], -v[64:65]
	v_add_f64 v[30:31], v[30:31], v[52:53]
	v_add_f64 v[52:53], v[54:55], v[30:31]
	v_subbrev_co_u32_e32 v49, vcc, 0, v49, vcc
	v_add_f64 v[54:55], v[52:53], -v[54:55]
	s_mov_b32 s8, 0xfefa39ef
	v_add_f64 v[30:31], v[30:31], -v[54:55]
	v_cvt_f64_i32_e32 v[54:55], v49
	s_mov_b32 s9, 0x3fe62e42
	v_mul_f64 v[64:65], v[54:55], s[8:9]
	v_fma_f64 v[66:67], v[54:55], s[8:9], -v[64:65]
	s_mov_b32 s8, 0x3b39803f
	s_mov_b32 s9, 0x3c7abc9e
	v_fmac_f64_e32 v[66:67], s[8:9], v[54:55]
	v_add_f64 v[54:55], v[64:65], v[66:67]
	v_add_f64 v[64:65], v[54:55], -v[64:65]
	v_add_f64 v[64:65], v[66:67], -v[64:65]
	v_add_f64 v[66:67], v[54:55], v[52:53]
	v_add_f64 v[68:69], v[66:67], -v[54:55]
	v_add_f64 v[70:71], v[66:67], -v[68:69]
	;; [unrolled: 1-line block ×4, first 2 shown]
	v_add_f64 v[52:53], v[52:53], v[54:55]
	v_add_f64 v[54:55], v[64:65], v[30:31]
	v_add_f64 v[68:69], v[54:55], -v[64:65]
	v_add_f64 v[70:71], v[54:55], -v[68:69]
	v_add_f64 v[52:53], v[54:55], v[52:53]
	v_add_f64 v[64:65], v[64:65], -v[70:71]
	v_add_f64 v[30:31], v[30:31], -v[68:69]
	v_add_f64 v[54:55], v[66:67], v[52:53]
	v_add_f64 v[30:31], v[30:31], v[64:65]
	v_add_f64 v[64:65], v[54:55], -v[66:67]
	v_add_f64 v[52:53], v[52:53], -v[64:65]
	v_add_f64 v[30:31], v[30:31], v[52:53]
	s_mov_b32 s8, 0x6dc9c883
	v_add_f64 v[30:31], v[54:55], v[30:31]
	s_mov_b32 s9, 0x3fe45f30
	v_mul_f64 v[30:31], v[30:31], s[8:9]
	v_fmac_f64_e32 v[14:15], v[30:31], v[16:17]
.LBB5_48:
	s_or_b64 exec, exec, s[6:7]
.LBB5_49:
	s_or_b64 exec, exec, s[4:5]
.LBB5_50:
	s_andn2_saveexec_b64 s[4:5], s[0:1]
	s_cbranch_execz .LBB5_60
; %bb.51:
	s_mov_b32 s9, 0xbfe921fb
	s_mov_b32 s8, 0x54442d18
	;; [unrolled: 1-line block ×3, first 2 shown]
	v_add_f64 v[14:15], v[22:23], s[8:9]
	s_mov_b32 s1, 0x41d00000
	v_cmp_nlt_f64_e64 s[6:7], |v[14:15]|, s[0:1]
	v_trig_preop_f64 v[68:69], |v[14:15]|, 0
	v_trig_preop_f64 v[66:67], |v[14:15]|, 1
	;; [unrolled: 1-line block ×3, first 2 shown]
                                        ; implicit-def: $vgpr49
                                        ; implicit-def: $vgpr16_vgpr17
                                        ; implicit-def: $vgpr30_vgpr31
	s_and_saveexec_b64 s[0:1], s[6:7]
	s_xor_b64 s[10:11], exec, s[0:1]
	s_cbranch_execz .LBB5_53
; %bb.52:
	s_mov_b32 s0, 0
	s_mov_b32 s1, 0x7b000000
	s_movk_i32 s9, 0xff80
	v_and_b32_e32 v30, 0x7fffffff, v15
	v_ldexp_f64 v[16:17], |v[14:15]|, s9
	v_cmp_ge_f64_e64 vcc, |v[14:15]|, s[0:1]
	s_mov_b32 s0, 0
	s_mov_b32 s1, 0x7ff00000
	v_cndmask_b32_e32 v17, v30, v17, vcc
	v_cndmask_b32_e32 v16, v14, v16, vcc
	v_mul_f64 v[52:53], v[68:69], v[16:17]
	v_mul_f64 v[30:31], v[66:67], v[16:17]
	v_fma_f64 v[54:55], v[68:69], v[16:17], -v[52:53]
	v_add_f64 v[70:71], v[30:31], v[54:55]
	v_add_f64 v[80:81], v[52:53], v[70:71]
	v_ldexp_f64 v[82:83], v[80:81], -2
	v_fract_f64_e32 v[84:85], v[82:83]
	v_cmp_neq_f64_e64 vcc, |v[82:83]|, s[0:1]
	v_add_f64 v[52:53], v[80:81], -v[52:53]
	v_add_f64 v[52:53], v[70:71], -v[52:53]
	v_cndmask_b32_e32 v83, 0, v85, vcc
	v_cndmask_b32_e32 v82, 0, v84, vcc
	v_add_f64 v[84:85], v[70:71], -v[30:31]
	v_add_f64 v[54:55], v[54:55], -v[84:85]
	;; [unrolled: 1-line block ×4, first 2 shown]
	v_add_f64 v[54:55], v[54:55], v[84:85]
	v_fma_f64 v[30:31], v[66:67], v[16:17], -v[30:31]
	v_mul_f64 v[84:85], v[64:65], v[16:17]
	v_add_f64 v[96:97], v[84:85], v[30:31]
	v_add_f64 v[98:99], v[96:97], v[54:55]
	v_add_f64 v[80:81], v[98:99], -v[96:97]
	v_add_f64 v[54:55], v[54:55], -v[80:81]
	;; [unrolled: 1-line block ×4, first 2 shown]
	v_add_f64 v[54:55], v[54:55], v[80:81]
	v_add_f64 v[80:81], v[96:97], -v[84:85]
	v_add_f64 v[30:31], v[30:31], -v[80:81]
	;; [unrolled: 1-line block ×4, first 2 shown]
	v_add_f64 v[70:71], v[52:53], v[98:99]
	v_add_f64 v[30:31], v[30:31], v[80:81]
	v_add_f64 v[52:53], v[70:71], -v[52:53]
	v_add_f64 v[30:31], v[30:31], v[54:55]
	v_fma_f64 v[16:17], v[64:65], v[16:17], -v[84:85]
	v_add_f64 v[52:53], v[98:99], -v[52:53]
	v_add_f64 v[16:17], v[16:17], v[30:31]
	v_ldexp_f64 v[30:31], v[82:83], 2
	v_add_f64 v[16:17], v[52:53], v[16:17]
	v_add_f64 v[52:53], v[70:71], v[30:31]
	v_mov_b32_e32 v49, 0x40100000
	v_cmp_gt_f64_e32 vcc, 0, v[52:53]
	v_mov_b32_e32 v86, 0
	s_mov_b32 s9, 0x3ff921fb
	v_cndmask_b32_e32 v87, 0, v49, vcc
	v_add_f64 v[30:31], v[30:31], v[86:87]
	v_add_f64 v[52:53], v[70:71], v[30:31]
	v_cvt_i32_f64_e32 v49, v[52:53]
	v_cvt_f64_i32_e32 v[52:53], v49
	v_add_f64 v[30:31], v[30:31], -v[52:53]
	v_add_f64 v[52:53], v[70:71], v[30:31]
	v_add_f64 v[30:31], v[52:53], -v[30:31]
	v_add_f64 v[30:31], v[70:71], -v[30:31]
	v_add_f64 v[16:17], v[16:17], v[30:31]
	v_cmp_le_f64_e32 vcc, 0.5, v[52:53]
	v_mov_b32_e32 v30, 0x3ff00000
	s_nop 0
	v_cndmask_b32_e32 v87, 0, v30, vcc
	v_add_f64 v[30:31], v[52:53], -v[86:87]
	v_add_f64 v[52:53], v[30:31], v[16:17]
	v_addc_co_u32_e64 v49, s[0:1], 0, v49, vcc
	v_add_f64 v[30:31], v[52:53], -v[30:31]
	v_add_f64 v[16:17], v[16:17], -v[30:31]
	v_mul_f64 v[30:31], v[52:53], s[8:9]
	s_mov_b32 s0, 0x33145c07
	v_fma_f64 v[54:55], v[52:53], s[8:9], -v[30:31]
	s_mov_b32 s1, 0x3c91a626
	v_fmac_f64_e32 v[54:55], s[0:1], v[52:53]
	v_fmac_f64_e32 v[54:55], s[8:9], v[16:17]
	v_add_f64 v[16:17], v[30:31], v[54:55]
	v_add_f64 v[30:31], v[16:17], -v[30:31]
	v_add_f64 v[30:31], v[54:55], -v[30:31]
	s_andn2_saveexec_b64 s[0:1], s[10:11]
	s_cbranch_execz .LBB5_55
	s_branch .LBB5_54
.LBB5_53:
	s_andn2_saveexec_b64 s[0:1], s[10:11]
	s_cbranch_execz .LBB5_55
.LBB5_54:
	s_mov_b32 s8, 0x6dc9c883
	s_mov_b32 s9, 0x3fe45f30
	v_mul_f64 v[16:17], |v[14:15]|, s[8:9]
	s_mov_b32 s8, 0x54442d18
	v_rndne_f64_e32 v[52:53], v[16:17]
	s_mov_b32 s9, 0xbff921fb
	v_fma_f64 v[16:17], v[52:53], s[8:9], |v[14:15]|
	s_mov_b32 s9, 0xbc91a626
	s_mov_b32 s8, 0x33145c00
	v_mul_f64 v[54:55], v[52:53], s[8:9]
	v_add_f64 v[80:81], v[16:17], v[54:55]
	v_fma_f64 v[30:31], s[8:9], v[52:53], v[16:17]
	s_mov_b32 s9, 0x3c91a626
	v_add_f64 v[16:17], v[16:17], -v[80:81]
	v_fma_f64 v[70:71], s[8:9], v[52:53], v[54:55]
	v_add_f64 v[16:17], v[16:17], v[54:55]
	v_add_f64 v[54:55], v[80:81], -v[30:31]
	v_add_f64 v[16:17], v[54:55], v[16:17]
	s_mov_b32 s8, 0x252049c0
	v_add_f64 v[54:55], v[16:17], -v[70:71]
	s_mov_b32 s9, 0xb97b839a
	v_fmac_f64_e32 v[54:55], s[8:9], v[52:53]
	v_add_f64 v[16:17], v[30:31], v[54:55]
	v_add_f64 v[30:31], v[16:17], -v[30:31]
	v_add_f64 v[30:31], v[54:55], -v[30:31]
	v_cvt_i32_f64_e32 v49, v[52:53]
.LBB5_55:
	s_or_b64 exec, exec, s[0:1]
                                        ; implicit-def: $vgpr51
                                        ; implicit-def: $vgpr52_vgpr53
                                        ; implicit-def: $vgpr54_vgpr55
	s_and_saveexec_b64 s[0:1], s[6:7]
	s_xor_b64 s[6:7], exec, s[0:1]
	s_cbranch_execz .LBB5_57
; %bb.56:
	s_mov_b32 s0, 0
	s_mov_b32 s1, 0x7b000000
	s_movk_i32 s8, 0xff80
	v_and_b32_e32 v51, 0x7fffffff, v15
	v_ldexp_f64 v[52:53], |v[14:15]|, s8
	v_cmp_ge_f64_e64 vcc, |v[14:15]|, s[0:1]
	s_mov_b32 s0, 0
	s_mov_b32 s1, 0x7ff00000
	v_cndmask_b32_e32 v53, v51, v53, vcc
	v_cndmask_b32_e32 v52, v14, v52, vcc
	v_mul_f64 v[70:71], v[68:69], v[52:53]
	v_mul_f64 v[54:55], v[66:67], v[52:53]
	v_fma_f64 v[68:69], v[68:69], v[52:53], -v[70:71]
	v_add_f64 v[80:81], v[54:55], v[68:69]
	v_add_f64 v[82:83], v[70:71], v[80:81]
	v_ldexp_f64 v[84:85], v[82:83], -2
	v_fract_f64_e32 v[86:87], v[84:85]
	v_cmp_neq_f64_e64 vcc, |v[84:85]|, s[0:1]
	v_add_f64 v[70:71], v[82:83], -v[70:71]
	v_add_f64 v[70:71], v[80:81], -v[70:71]
	v_cndmask_b32_e32 v85, 0, v87, vcc
	v_cndmask_b32_e32 v84, 0, v86, vcc
	v_add_f64 v[86:87], v[80:81], -v[54:55]
	v_add_f64 v[68:69], v[68:69], -v[86:87]
	;; [unrolled: 1-line block ×4, first 2 shown]
	v_fma_f64 v[54:55], v[66:67], v[52:53], -v[54:55]
	v_mul_f64 v[66:67], v[64:65], v[52:53]
	v_add_f64 v[68:69], v[68:69], v[86:87]
	v_add_f64 v[86:87], v[66:67], v[54:55]
	;; [unrolled: 1-line block ×3, first 2 shown]
	v_add_f64 v[82:83], v[98:99], -v[86:87]
	v_add_f64 v[68:69], v[68:69], -v[82:83]
	;; [unrolled: 1-line block ×4, first 2 shown]
	v_add_f64 v[68:69], v[68:69], v[82:83]
	v_add_f64 v[82:83], v[86:87], -v[66:67]
	v_add_f64 v[54:55], v[54:55], -v[82:83]
	;; [unrolled: 1-line block ×4, first 2 shown]
	v_add_f64 v[54:55], v[54:55], v[82:83]
	v_add_f64 v[54:55], v[54:55], v[68:69]
	v_fma_f64 v[52:53], v[64:65], v[52:53], -v[66:67]
	v_add_f64 v[80:81], v[70:71], v[98:99]
	v_add_f64 v[52:53], v[52:53], v[54:55]
	v_ldexp_f64 v[54:55], v[84:85], 2
	v_add_f64 v[64:65], v[80:81], v[54:55]
	v_mov_b32_e32 v51, 0x40100000
	v_cmp_gt_f64_e32 vcc, 0, v[64:65]
	v_mov_b32_e32 v96, 0
	v_add_f64 v[70:71], v[80:81], -v[70:71]
	v_cndmask_b32_e32 v97, 0, v51, vcc
	v_add_f64 v[54:55], v[54:55], v[96:97]
	v_add_f64 v[64:65], v[80:81], v[54:55]
	v_cvt_i32_f64_e32 v51, v[64:65]
	v_cvt_f64_i32_e32 v[64:65], v51
	v_add_f64 v[54:55], v[54:55], -v[64:65]
	v_add_f64 v[64:65], v[80:81], v[54:55]
	v_add_f64 v[70:71], v[98:99], -v[70:71]
	v_add_f64 v[54:55], v[64:65], -v[54:55]
	v_add_f64 v[52:53], v[70:71], v[52:53]
	v_add_f64 v[54:55], v[80:81], -v[54:55]
	v_add_f64 v[52:53], v[52:53], v[54:55]
	v_cmp_le_f64_e32 vcc, 0.5, v[64:65]
	v_mov_b32_e32 v54, 0x3ff00000
	s_mov_b32 s8, 0x33145c07
	v_cndmask_b32_e32 v97, 0, v54, vcc
	v_addc_co_u32_e64 v51, s[0:1], 0, v51, vcc
	v_add_f64 v[54:55], v[64:65], -v[96:97]
	v_add_f64 v[64:65], v[54:55], v[52:53]
	s_mov_b32 s0, 0x54442d18
	v_add_f64 v[54:55], v[64:65], -v[54:55]
	s_mov_b32 s1, 0x3ff921fb
	v_add_f64 v[52:53], v[52:53], -v[54:55]
	v_mul_f64 v[54:55], v[64:65], s[0:1]
	v_fma_f64 v[66:67], v[64:65], s[0:1], -v[54:55]
	s_mov_b32 s9, 0x3c91a626
	v_fmac_f64_e32 v[66:67], s[8:9], v[64:65]
	v_fmac_f64_e32 v[66:67], s[0:1], v[52:53]
	v_add_f64 v[52:53], v[54:55], v[66:67]
	v_add_f64 v[54:55], v[52:53], -v[54:55]
	v_add_f64 v[54:55], v[66:67], -v[54:55]
	s_andn2_saveexec_b64 s[0:1], s[6:7]
	s_cbranch_execnz .LBB5_58
	s_branch .LBB5_59
.LBB5_57:
	s_andn2_saveexec_b64 s[0:1], s[6:7]
	s_cbranch_execz .LBB5_59
.LBB5_58:
	s_mov_b32 s6, 0x6dc9c883
	s_mov_b32 s7, 0x3fe45f30
	v_mul_f64 v[52:53], |v[14:15]|, s[6:7]
	s_mov_b32 s6, 0x54442d18
	v_rndne_f64_e32 v[64:65], v[52:53]
	s_mov_b32 s7, 0xbff921fb
	v_fma_f64 v[52:53], v[64:65], s[6:7], |v[14:15]|
	s_mov_b32 s7, 0xbc91a626
	s_mov_b32 s6, 0x33145c00
	v_mul_f64 v[66:67], v[64:65], s[6:7]
	v_add_f64 v[70:71], v[52:53], v[66:67]
	v_fma_f64 v[54:55], s[6:7], v[64:65], v[52:53]
	s_mov_b32 s7, 0x3c91a626
	v_add_f64 v[52:53], v[52:53], -v[70:71]
	v_fma_f64 v[68:69], s[6:7], v[64:65], v[66:67]
	v_add_f64 v[52:53], v[52:53], v[66:67]
	v_add_f64 v[66:67], v[70:71], -v[54:55]
	v_add_f64 v[52:53], v[66:67], v[52:53]
	s_mov_b32 s6, 0x252049c0
	v_add_f64 v[66:67], v[52:53], -v[68:69]
	s_mov_b32 s7, 0xb97b839a
	v_fmac_f64_e32 v[66:67], s[6:7], v[64:65]
	v_add_f64 v[52:53], v[54:55], v[66:67]
	v_add_f64 v[54:55], v[52:53], -v[54:55]
	v_add_f64 v[54:55], v[66:67], -v[54:55]
	v_cvt_i32_f64_e32 v51, v[64:65]
.LBB5_59:
	s_or_b64 exec, exec, s[0:1]
	s_mov_b32 s0, 0
	v_mul_f64 v[64:65], v[22:23], v[22:23]
	s_mov_b32 s1, 0x40390000
	v_div_scale_f64 v[66:67], s[6:7], v[64:65], v[64:65], s[0:1]
	v_rcp_f64_e32 v[68:69], v[66:67]
	v_mov_b32_e32 v82, 0xb1759c7f
	v_mov_b32_e32 v83, 0x408ac370
	v_mov_b32_e32 v86, 0x6280a54
	v_fma_f64 v[70:71], -v[66:67], v[68:69], 1.0
	v_fmac_f64_e32 v[68:69], v[68:69], v[70:71]
	v_fma_f64 v[70:71], -v[66:67], v[68:69], 1.0
	v_fmac_f64_e32 v[68:69], v[68:69], v[70:71]
	v_div_scale_f64 v[70:71], vcc, s[0:1], v[64:65], s[0:1]
	v_mul_f64 v[80:81], v[70:71], v[68:69]
	v_fma_f64 v[66:67], -v[66:67], v[80:81], v[70:71]
	v_mov_b32_e32 v70, 0xab5454e3
	s_nop 0
	v_div_fmas_f64 v[66:67], v[66:67], v[68:69], v[80:81]
	v_div_fixup_f64 v[64:65], v[66:67], v[64:65], s[0:1]
	v_mov_b32_e32 v66, 0x983b6b27
	v_mov_b32_e32 v67, 0x3f4a1d30
	v_fmac_f64_e32 v[66:67], 0, v[64:65]
	v_mov_b32_e32 v68, 0xb35dd1cf
	v_mov_b32_e32 v69, 0x3fb534b0
	v_fmac_f64_e32 v[68:69], v[64:65], v[66:67]
	v_mov_b32_e32 v66, 0x4e680b98
	v_mov_b32_e32 v67, 0x3ff3d521
	v_fmac_f64_e32 v[66:67], v[64:65], v[68:69]
	v_mov_b32_e32 v68, 0xe97a0956
	v_mov_b32_e32 v69, 0x4015c9fb
	v_fmac_f64_e32 v[68:69], v[64:65], v[66:67]
	v_mov_b32_e32 v66, 0x69409888
	v_mov_b32_e32 v67, 0x40217e8c
	v_fmac_f64_e32 v[66:67], v[64:65], v[68:69]
	v_mov_b32_e32 v68, 0xa59425a1
	v_mov_b32_e32 v69, 0x40153684
	v_fmac_f64_e32 v[68:69], v[64:65], v[66:67]
	v_mov_b32_e32 v66, 0xce039737
	v_mov_b32_e32 v67, 0x3f4e4a80
	v_fmac_f64_e32 v[66:67], 0, v[64:65]
	v_mov_b32_e32 v71, 0x3fb5ebc5
	v_fmac_f64_e32 v[70:71], v[64:65], v[66:67]
	v_mov_b32_e32 v66, 0xc9b3069f
	v_mov_b32_e32 v67, 0x3ff40e72
	v_fmac_f64_e32 v[66:67], v[64:65], v[70:71]
	v_mov_b32_e32 v70, 0xe68162bb
	;; [unrolled: 3-line block ×4, first 2 shown]
	v_mov_b32_e32 v71, 0x40153965
	v_fmac_f64_e32 v[70:71], v[64:65], v[66:67]
	v_fma_f64 v[66:67], v[64:65], v[70:71], 1.0
	v_mov_b32_e32 v70, 0x38a5384a
	v_mov_b32_e32 v71, 0xbf874742
	v_fmac_f64_e32 v[70:71], 0, v[64:65]
	v_mov_b32_e32 v80, 0x3a321174
	v_mov_b32_e32 v81, 0xbff4853b
	v_fmac_f64_e32 v[80:81], v[64:65], v[70:71]
	;; [unrolled: 3-line block ×9, first 2 shown]
	v_fmac_f64_e32 v[82:83], v[64:65], v[70:71]
	v_mov_b32_e32 v70, 0xbd748cb5
	v_mov_b32_e32 v71, 0x40ae54cd
	v_fmac_f64_e32 v[70:71], v[64:65], v[82:83]
	v_mov_b32_e32 v82, 0xbdefd63e
	v_mov_b32_e32 v83, 0x40bc4877
	;; [unrolled: 3-line block ×4, first 2 shown]
	v_fma_f64 v[68:69], v[64:65], v[68:69], 1.0
	v_fmac_f64_e32 v[82:83], v[64:65], v[70:71]
	v_div_scale_f64 v[70:71], s[0:1], v[66:67], v[66:67], v[68:69]
	v_rcp_f64_e32 v[84:85], v[70:71]
	v_mov_b32_e32 v87, 0x406e402f
	v_fmac_f64_e32 v[86:87], v[64:65], v[82:83]
	s_mov_b32 s0, 0x9037ab78
	v_fma_f64 v[64:65], -v[70:71], v[84:85], 1.0
	v_fmac_f64_e32 v[84:85], v[84:85], v[64:65]
	v_fma_f64 v[64:65], -v[70:71], v[84:85], 1.0
	v_fmac_f64_e32 v[84:85], v[84:85], v[64:65]
	v_div_scale_f64 v[64:65], vcc, v[68:69], v[66:67], v[68:69]
	v_mul_f64 v[82:83], v[64:65], v[84:85]
	v_fma_f64 v[64:65], -v[70:71], v[82:83], v[64:65]
	s_mov_b32 s1, 0x3e21eeb6
	s_nop 0
	v_div_fmas_f64 v[64:65], v[64:65], v[84:85], v[82:83]
	s_mov_b32 s6, 0x46cc5e42
	v_div_fixup_f64 v[64:65], v[64:65], v[66:67], v[68:69]
	v_mul_f64 v[66:67], v[16:17], v[16:17]
	s_mov_b32 s7, 0xbda907db
	v_mov_b64_e32 v[84:85], s[0:1]
	s_mov_b32 s8, 0xa17f65f6
	v_mul_f64 v[68:69], v[66:67], 0.5
	v_fma_f64 v[96:97], s[6:7], v[66:67], v[84:85]
	s_mov_b32 s9, 0xbe927e4f
	s_mov_b32 s10, 0x19f4ec90
	v_add_f64 v[70:71], -v[68:69], 1.0
	v_fma_f64 v[96:97], v[66:67], v[96:97], s[8:9]
	s_mov_b32 s11, 0x3efa01a0
	s_mov_b32 s12, 0x16c16967
	v_add_f64 v[82:83], -v[70:71], 1.0
	v_fma_f64 v[96:97], v[66:67], v[96:97], s[10:11]
	s_mov_b32 s13, 0xbf56c16c
	s_mov_b32 s14, 0x55555555
	v_add_f64 v[68:69], v[82:83], -v[68:69]
	v_fma_f64 v[96:97], v[66:67], v[96:97], s[12:13]
	s_mov_b32 s15, 0x3fa55555
	v_mul_f64 v[82:83], v[66:67], v[66:67]
	v_fma_f64 v[96:97], v[66:67], v[96:97], s[14:15]
	v_fma_f64 v[68:69], v[16:17], -v[30:31], v[68:69]
	s_mov_b32 s0, 0xb42fdfa7
	v_fmac_f64_e32 v[68:69], v[82:83], v[96:97]
	s_mov_b32 s1, 0xbe5ae600
	s_mov_b32 s16, 0xf9a43bb8
	v_add_f64 v[68:69], v[70:71], v[68:69]
	s_mov_b32 s17, 0x3de5e0b2
	v_mov_b64_e32 v[70:71], s[0:1]
	s_mov_b32 s18, 0x796cde01
	v_fma_f64 v[82:83], s[16:17], v[66:67], v[70:71]
	s_mov_b32 s19, 0x3ec71de3
	s_mov_b32 s20, 0x19e83e5c
	v_fma_f64 v[82:83], v[66:67], v[82:83], s[18:19]
	s_mov_b32 s21, 0xbf2a01a0
	;; [unrolled: 3-line block ×3, first 2 shown]
	v_fma_f64 v[82:83], v[66:67], v[82:83], s[22:23]
	v_mul_f64 v[96:97], v[16:17], -v[66:67]
	v_mul_f64 v[98:99], v[30:31], 0.5
	v_fmac_f64_e32 v[98:99], v[96:97], v[82:83]
	v_fma_f64 v[30:31], v[66:67], v[98:99], -v[30:31]
	s_mov_b32 s25, 0xbfc55555
	s_mov_b32 s24, s14
	v_fmac_f64_e32 v[30:31], s[24:25], v[96:97]
	v_add_f64 v[16:17], v[16:17], -v[30:31]
	v_and_b32_e32 v30, 1, v49
	v_cmp_eq_u32_e32 vcc, 0, v30
	s_mov_b32 s26, 0
	s_mov_b32 s27, 0x40140000
	v_cndmask_b32_e32 v66, v68, v16, vcc
	v_cndmask_b32_e32 v16, v69, v17, vcc
	v_lshlrev_b32_e32 v17, 30, v49
	v_xor_b32_e32 v17, v17, v15
	v_and_b32_e32 v17, 0x80000000, v17
	v_xor_b32_e32 v49, v16, v17
	v_div_scale_f64 v[16:17], s[0:1], v[22:23], v[22:23], s[26:27]
	v_rcp_f64_e32 v[30:31], v[16:17]
	s_movk_i32 s28, 0x1f8
	v_cmp_class_f64_e64 s[0:1], v[14:15], s28
	v_mov_b32_e32 v96, 0x7ff80000
	s_nop 0
	v_cndmask_b32_e64 v14, 0, v66, s[0:1]
	v_fma_f64 v[66:67], -v[16:17], v[30:31], 1.0
	v_fmac_f64_e32 v[30:31], v[30:31], v[66:67]
	v_fma_f64 v[66:67], -v[16:17], v[30:31], 1.0
	v_fmac_f64_e32 v[30:31], v[30:31], v[66:67]
	v_div_scale_f64 v[66:67], vcc, s[26:27], v[22:23], s[26:27]
	v_mul_f64 v[68:69], v[66:67], v[30:31]
	v_fma_f64 v[16:17], -v[16:17], v[68:69], v[66:67]
	v_div_scale_f64 v[66:67], s[28:29], v[86:87], v[86:87], v[80:81]
	v_rcp_f64_e32 v[82:83], v[66:67]
	v_div_fmas_f64 v[16:17], v[16:17], v[30:31], v[68:69]
	v_div_fixup_f64 v[16:17], v[16:17], v[22:23], s[26:27]
	v_cndmask_b32_e64 v15, v96, v49, s[0:1]
	v_fma_f64 v[30:31], -v[66:67], v[82:83], 1.0
	v_fmac_f64_e32 v[82:83], v[82:83], v[30:31]
	v_fma_f64 v[30:31], -v[66:67], v[82:83], 1.0
	v_fmac_f64_e32 v[82:83], v[82:83], v[30:31]
	v_div_scale_f64 v[30:31], vcc, v[80:81], v[86:87], v[80:81]
	v_mul_f64 v[68:69], v[30:31], v[82:83]
	v_fma_f64 v[30:31], -v[66:67], v[68:69], v[30:31]
	v_and_b32_e32 v49, 1, v51
	s_nop 0
	v_div_fmas_f64 v[30:31], v[30:31], v[82:83], v[68:69]
	v_div_fixup_f64 v[30:31], v[30:31], v[86:87], v[80:81]
	v_mul_f64 v[16:17], v[16:17], v[30:31]
	v_mul_f64 v[30:31], v[52:53], v[52:53]
	v_mul_f64 v[66:67], v[30:31], 0.5
	v_fmac_f64_e32 v[84:85], s[6:7], v[30:31]
	v_add_f64 v[68:69], -v[66:67], 1.0
	v_fma_f64 v[82:83], v[30:31], v[84:85], s[8:9]
	v_add_f64 v[80:81], -v[68:69], 1.0
	v_fma_f64 v[82:83], v[30:31], v[82:83], s[10:11]
	v_add_f64 v[66:67], v[80:81], -v[66:67]
	v_fma_f64 v[82:83], v[30:31], v[82:83], s[12:13]
	v_mul_f64 v[80:81], v[30:31], v[30:31]
	v_fma_f64 v[82:83], v[30:31], v[82:83], s[14:15]
	v_fma_f64 v[66:67], v[52:53], -v[54:55], v[66:67]
	v_fmac_f64_e32 v[66:67], v[80:81], v[82:83]
	v_fmac_f64_e32 v[70:71], s[16:17], v[30:31]
	v_add_f64 v[66:67], v[68:69], v[66:67]
	v_fma_f64 v[68:69], v[30:31], v[70:71], s[18:19]
	v_fma_f64 v[68:69], v[30:31], v[68:69], s[20:21]
	;; [unrolled: 1-line block ×3, first 2 shown]
	v_mul_f64 v[70:71], v[52:53], -v[30:31]
	v_mul_f64 v[80:81], v[54:55], 0.5
	v_fmac_f64_e32 v[80:81], v[70:71], v[68:69]
	v_fma_f64 v[30:31], v[30:31], v[80:81], -v[54:55]
	v_fmac_f64_e32 v[30:31], s[24:25], v[70:71]
	v_add_f64 v[30:31], v[52:53], -v[30:31]
	v_xor_b32_e32 v31, 0x80000000, v31
	v_cmp_eq_u32_e32 vcc, 0, v49
	v_lshlrev_b32_e32 v49, 30, v51
	v_and_b32_e32 v49, 0x80000000, v49
	v_cndmask_b32_e32 v31, v31, v67, vcc
	v_cndmask_b32_e32 v30, v30, v66, vcc
	v_xor_b32_e32 v31, v31, v49
	v_cndmask_b32_e64 v30, 0, v30, s[0:1]
	v_cndmask_b32_e64 v31, v96, v31, s[0:1]
	s_mov_b32 s0, 0
	s_brev_b32 s1, 8
	v_mul_f64 v[16:17], v[16:17], v[30:31]
	v_cmp_gt_f64_e32 vcc, s[0:1], v[22:23]
	v_fmac_f64_e32 v[16:17], v[64:65], v[14:15]
	s_mov_b32 s0, 0x33d43651
	v_cndmask_b32_e64 v14, 0, 1, vcc
	v_lshlrev_b32_e32 v14, 8, v14
	v_ldexp_f64 v[14:15], v[22:23], v14
	v_rsq_f64_e32 v[22:23], v[14:15]
	s_mov_b32 s1, 0x3fe98845
	v_mul_f64 v[16:17], v[16:17], s[0:1]
	v_mul_f64 v[30:31], v[14:15], v[22:23]
	v_mul_f64 v[22:23], v[22:23], 0.5
	v_fma_f64 v[52:53], -v[22:23], v[30:31], 0.5
	v_fmac_f64_e32 v[30:31], v[30:31], v[52:53]
	v_fma_f64 v[54:55], -v[30:31], v[30:31], v[14:15]
	v_fmac_f64_e32 v[22:23], v[22:23], v[52:53]
	v_fmac_f64_e32 v[30:31], v[54:55], v[22:23]
	v_fma_f64 v[52:53], -v[30:31], v[30:31], v[14:15]
	v_fmac_f64_e32 v[30:31], v[52:53], v[22:23]
	v_mov_b32_e32 v22, 0xffffff80
	v_cndmask_b32_e32 v22, 0, v22, vcc
	v_ldexp_f64 v[22:23], v[30:31], v22
	v_mov_b32_e32 v30, 0x260
	v_cmp_class_f64_e32 vcc, v[14:15], v30
	s_nop 1
	v_cndmask_b32_e32 v15, v23, v15, vcc
	v_cndmask_b32_e32 v14, v22, v14, vcc
	v_div_scale_f64 v[22:23], s[0:1], v[14:15], v[14:15], v[16:17]
	v_rcp_f64_e32 v[30:31], v[22:23]
	s_nop 0
	v_fma_f64 v[52:53], -v[22:23], v[30:31], 1.0
	v_fmac_f64_e32 v[30:31], v[30:31], v[52:53]
	v_fma_f64 v[52:53], -v[22:23], v[30:31], 1.0
	v_fmac_f64_e32 v[30:31], v[30:31], v[52:53]
	v_div_scale_f64 v[52:53], vcc, v[16:17], v[14:15], v[16:17]
	v_mul_f64 v[54:55], v[52:53], v[30:31]
	v_fma_f64 v[22:23], -v[22:23], v[54:55], v[52:53]
	s_nop 1
	v_div_fmas_f64 v[22:23], v[22:23], v[30:31], v[54:55]
	v_div_fixup_f64 v[14:15], v[22:23], v[14:15], v[16:17]
.LBB5_60:
	s_or_b64 exec, exec, s[4:5]
	s_mov_b32 s0, 0
	s_mov_b32 s1, 0x40140000
	v_cmp_ge_f64_e32 vcc, s[0:1], v[24:25]
	s_and_saveexec_b64 s[0:1], vcc
	s_xor_b64 s[0:1], exec, s[0:1]
	s_cbranch_execz .LBB5_70
; %bb.61:
	v_mov_b32_e32 v16, 0
	v_cmp_neq_f64_e32 vcc, 0, v[24:25]
	v_mov_b32_e32 v17, 0xfff00000
	s_and_saveexec_b64 s[4:5], vcc
	s_cbranch_execz .LBB5_69
; %bb.62:
	v_mov_b32_e32 v16, 0
	v_cmp_ngt_f64_e32 vcc, 0, v[24:25]
	v_mov_b32_e32 v17, 0x7ff80000
	s_and_saveexec_b64 s[6:7], vcc
	s_cbranch_execz .LBB5_68
; %bb.63:
	s_mov_b32 s8, 0x88e368f1
	v_mul_f64 v[16:17], v[24:25], v[24:25]
	s_mov_b32 s9, 0x3ee4f8b5
	v_mul_f64 v[30:31], v[16:17], 0
	v_cmp_ngt_f64_e32 vcc, s[8:9], v[24:25]
                                        ; implicit-def: $vgpr22_vgpr23
	s_and_saveexec_b64 s[8:9], vcc
	s_xor_b64 s[8:9], exec, s[8:9]
	s_cbranch_execz .LBB5_65
; %bb.64:
	s_mov_b32 s10, 0xad1c8325
	s_mov_b32 s11, 0xc1f1dc53
	v_add_f64 v[22:23], v[30:31], s[10:11]
	v_mov_b32_e32 v52, 0xc772990d
	v_mov_b32_e32 v53, 0x427c7751
	s_mov_b32 s10, 0xa696b78c
	v_fmac_f64_e32 v[52:53], v[16:17], v[22:23]
	v_mov_b32_e32 v22, 0xe0d900f7
	v_mov_b32_e32 v23, 0xc2ec5614
	s_mov_b32 s11, 0x407f3902
	v_fmac_f64_e32 v[22:23], v[16:17], v[52:53]
	v_add_f64 v[52:53], v[30:31], s[10:11]
	v_mov_b32_e32 v54, 0x36a21a67
	v_mov_b32_e32 v55, 0x410536cb
	v_fmac_f64_e32 v[54:55], v[16:17], v[52:53]
	v_mov_b32_e32 v52, 0x2eac0634
	v_mov_b32_e32 v53, 0x41871934
	v_fmac_f64_e32 v[52:53], v[16:17], v[54:55]
	;; [unrolled: 3-line block ×6, first 2 shown]
	v_mov_b32_e32 v54, 0xc7b662cc
	v_mov_b32_e32 v55, 0x43b7be34
	s_mov_b32 s10, 0x80462bbb
	v_fmac_f64_e32 v[54:55], v[16:17], v[52:53]
	v_mov_b32_e32 v52, 0x69ff5fb4
	v_mov_b32_e32 v53, 0x43413ef8
	s_mov_b32 s11, 0xc01721fb
	v_fmac_f64_e32 v[52:53], v[16:17], v[22:23]
	v_add_f64 v[22:23], v[16:17], s[10:11]
	s_mov_b32 s10, 0xa621dd6f
	s_mov_b32 s11, 0xc03e78a4
	v_add_f64 v[64:65], v[16:17], s[10:11]
	v_mul_f64 v[22:23], v[22:23], v[64:65]
	v_mul_f64 v[22:23], v[22:23], v[52:53]
	v_div_scale_f64 v[52:53], s[10:11], v[54:55], v[54:55], v[22:23]
	v_rcp_f64_e32 v[64:65], v[52:53]
	s_nop 0
	v_fma_f64 v[66:67], -v[52:53], v[64:65], 1.0
	v_fmac_f64_e32 v[64:65], v[64:65], v[66:67]
	v_fma_f64 v[66:67], -v[52:53], v[64:65], 1.0
	v_fmac_f64_e32 v[64:65], v[64:65], v[66:67]
	v_div_scale_f64 v[66:67], vcc, v[22:23], v[54:55], v[22:23]
	v_mul_f64 v[68:69], v[66:67], v[64:65]
	v_fma_f64 v[52:53], -v[52:53], v[68:69], v[66:67]
	s_nop 1
	v_div_fmas_f64 v[52:53], v[52:53], v[64:65], v[68:69]
	v_div_fixup_f64 v[22:23], v[52:53], v[54:55], v[22:23]
.LBB5_65:
	s_andn2_saveexec_b64 s[8:9], s[8:9]
; %bb.66:
	s_mov_b32 s10, 0
	s_mov_b32 s11, 0xbfd00000
	v_fma_f64 v[22:23], v[16:17], s[10:11], 1.0
; %bb.67:
	s_or_b64 exec, exec, s[8:9]
	s_mov_b32 s8, 0xe896898f
	s_mov_b32 s9, 0x40ce7437
	v_add_f64 v[52:53], v[30:31], s[8:9]
	v_mov_b32_e32 v54, 0x32e48896
	v_mov_b32_e32 v55, 0xc16bf81f
	v_fmac_f64_e32 v[54:55], v[16:17], v[52:53]
	v_mov_b32_e32 v52, 0xf0284cdd
	v_mov_b32_e32 v53, 0x41f43f78
	v_fmac_f64_e32 v[52:53], v[16:17], v[54:55]
	;; [unrolled: 3-line block ×4, first 2 shown]
	v_mov_b32_e32 v54, 0xd1d8cc02
	v_mov_b32_e32 v55, 0xc328a121
	s_mov_b32 s8, 0x576dfcb6
	v_fmac_f64_e32 v[54:55], v[16:17], v[52:53]
	v_mov_b32_e32 v52, 0x660b4003
	v_mov_b32_e32 v53, 0x4363a94b
	s_mov_b32 s9, 0x40904522
	v_fmac_f64_e32 v[52:53], v[16:17], v[54:55]
	v_add_f64 v[30:31], v[30:31], s[8:9]
	v_mov_b32_e32 v54, 0xa907bc0c
	v_mov_b32_e32 v55, 0x41231b76
	v_fmac_f64_e32 v[54:55], v[16:17], v[30:31]
	v_mov_b32_e32 v30, 0x5164d101
	v_mov_b32_e32 v31, 0x41b00763
	v_fmac_f64_e32 v[30:31], v[16:17], v[54:55]
	;; [unrolled: 3-line block ×7, first 2 shown]
	v_div_scale_f64 v[16:17], s[8:9], v[30:31], v[30:31], v[54:55]
	v_rcp_f64_e32 v[52:53], v[16:17]
	s_mov_b32 s8, 0x55555555
	v_frexp_exp_i32_f64_e32 v49, v[24:25]
	v_frexp_mant_f64_e32 v[24:25], v[24:25]
	v_fma_f64 v[64:65], -v[16:17], v[52:53], 1.0
	v_fmac_f64_e32 v[52:53], v[52:53], v[64:65]
	v_fma_f64 v[64:65], -v[16:17], v[52:53], 1.0
	v_fmac_f64_e32 v[52:53], v[52:53], v[64:65]
	v_div_scale_f64 v[64:65], vcc, v[54:55], v[30:31], v[54:55]
	v_mul_f64 v[66:67], v[64:65], v[52:53]
	v_fma_f64 v[16:17], -v[16:17], v[66:67], v[64:65]
	s_mov_b32 s9, 0x3fe55555
	s_nop 0
	v_div_fmas_f64 v[16:17], v[16:17], v[52:53], v[66:67]
	v_div_fixup_f64 v[16:17], v[16:17], v[30:31], v[54:55]
	v_mov_b32_e32 v30, 0x3ff00000
	v_cmp_gt_f64_e32 vcc, s[8:9], v[24:25]
	s_mov_b32 s8, 0xbf559e2b
	s_mov_b32 s9, 0x3fc3ab76
	v_cndmask_b32_e64 v31, v30, 2.0, vcc
	v_mov_b32_e32 v30, 0
	v_mul_f64 v[24:25], v[24:25], v[30:31]
	v_add_f64 v[30:31], v[24:25], 1.0
	v_rcp_f64_e32 v[52:53], v[30:31]
	v_add_f64 v[64:65], v[30:31], -1.0
	v_add_f64 v[54:55], v[24:25], -1.0
	v_add_f64 v[24:25], v[24:25], -v[64:65]
	v_fma_f64 v[64:65], -v[30:31], v[52:53], 1.0
	v_fmac_f64_e32 v[52:53], v[64:65], v[52:53]
	v_fma_f64 v[64:65], -v[30:31], v[52:53], 1.0
	v_fmac_f64_e32 v[52:53], v[64:65], v[52:53]
	v_mul_f64 v[64:65], v[54:55], v[52:53]
	v_mul_f64 v[66:67], v[30:31], v[64:65]
	v_fma_f64 v[30:31], v[64:65], v[30:31], -v[66:67]
	v_fmac_f64_e32 v[30:31], v[64:65], v[24:25]
	v_add_f64 v[24:25], v[66:67], v[30:31]
	v_add_f64 v[68:69], v[54:55], -v[24:25]
	v_add_f64 v[66:67], v[24:25], -v[66:67]
	;; [unrolled: 1-line block ×5, first 2 shown]
	v_add_f64 v[24:25], v[30:31], v[24:25]
	v_add_f64 v[24:25], v[68:69], v[24:25]
	v_mul_f64 v[24:25], v[52:53], v[24:25]
	v_add_f64 v[30:31], v[64:65], v[24:25]
	v_add_f64 v[52:53], v[30:31], -v[64:65]
	v_add_f64 v[24:25], v[24:25], -v[52:53]
	v_mul_f64 v[52:53], v[30:31], v[30:31]
	v_mov_b32_e32 v54, 0x6b47b09a
	v_mov_b32_e32 v55, 0x3fc38538
	v_fmac_f64_e32 v[54:55], s[8:9], v[52:53]
	v_mov_b32_e32 v64, 0xd7f4df2e
	v_mov_b32_e32 v65, 0x3fc7474d
	v_fmac_f64_e32 v[64:65], v[52:53], v[54:55]
	;; [unrolled: 3-line block ×6, first 2 shown]
	v_ldexp_f64 v[54:55], v[30:31], 1
	v_mul_f64 v[30:31], v[30:31], v[52:53]
	v_mul_f64 v[30:31], v[30:31], v[64:65]
	v_add_f64 v[52:53], v[54:55], v[30:31]
	v_add_f64 v[54:55], v[52:53], -v[54:55]
	v_ldexp_f64 v[24:25], v[24:25], 1
	v_add_f64 v[30:31], v[30:31], -v[54:55]
	v_add_f64 v[24:25], v[24:25], v[30:31]
	v_add_f64 v[30:31], v[52:53], v[24:25]
	v_subbrev_co_u32_e32 v49, vcc, 0, v49, vcc
	v_add_f64 v[52:53], v[30:31], -v[52:53]
	s_mov_b32 s8, 0xfefa39ef
	v_add_f64 v[24:25], v[24:25], -v[52:53]
	v_cvt_f64_i32_e32 v[52:53], v49
	s_mov_b32 s9, 0x3fe62e42
	v_mul_f64 v[54:55], v[52:53], s[8:9]
	v_fma_f64 v[64:65], v[52:53], s[8:9], -v[54:55]
	s_mov_b32 s8, 0x3b39803f
	s_mov_b32 s9, 0x3c7abc9e
	v_fmac_f64_e32 v[64:65], s[8:9], v[52:53]
	v_add_f64 v[52:53], v[54:55], v[64:65]
	v_add_f64 v[54:55], v[52:53], -v[54:55]
	v_add_f64 v[54:55], v[64:65], -v[54:55]
	v_add_f64 v[64:65], v[52:53], v[30:31]
	v_add_f64 v[66:67], v[64:65], -v[52:53]
	v_add_f64 v[68:69], v[64:65], -v[66:67]
	;; [unrolled: 1-line block ×4, first 2 shown]
	v_add_f64 v[30:31], v[30:31], v[52:53]
	v_add_f64 v[52:53], v[54:55], v[24:25]
	v_add_f64 v[66:67], v[52:53], -v[54:55]
	v_add_f64 v[68:69], v[52:53], -v[66:67]
	v_add_f64 v[30:31], v[52:53], v[30:31]
	v_add_f64 v[54:55], v[54:55], -v[68:69]
	v_add_f64 v[24:25], v[24:25], -v[66:67]
	v_add_f64 v[52:53], v[64:65], v[30:31]
	v_add_f64 v[24:25], v[24:25], v[54:55]
	v_add_f64 v[54:55], v[52:53], -v[64:65]
	v_add_f64 v[30:31], v[30:31], -v[54:55]
	v_add_f64 v[24:25], v[24:25], v[30:31]
	s_mov_b32 s8, 0x6dc9c883
	v_add_f64 v[24:25], v[52:53], v[24:25]
	s_mov_b32 s9, 0x3fe45f30
	v_mul_f64 v[24:25], v[24:25], s[8:9]
	v_fmac_f64_e32 v[16:17], v[24:25], v[22:23]
.LBB5_68:
	s_or_b64 exec, exec, s[6:7]
.LBB5_69:
	s_or_b64 exec, exec, s[4:5]
                                        ; implicit-def: $vgpr24_vgpr25
.LBB5_70:
	s_andn2_saveexec_b64 s[4:5], s[0:1]
	s_cbranch_execz .LBB5_80
; %bb.71:
	s_mov_b32 s9, 0xbfe921fb
	s_mov_b32 s8, 0x54442d18
	;; [unrolled: 1-line block ×3, first 2 shown]
	v_add_f64 v[16:17], v[24:25], s[8:9]
	s_mov_b32 s1, 0x41d00000
	v_cmp_nlt_f64_e64 s[6:7], |v[16:17]|, s[0:1]
	v_trig_preop_f64 v[68:69], |v[16:17]|, 0
	v_trig_preop_f64 v[66:67], |v[16:17]|, 1
	;; [unrolled: 1-line block ×3, first 2 shown]
                                        ; implicit-def: $vgpr49
                                        ; implicit-def: $vgpr22_vgpr23
                                        ; implicit-def: $vgpr30_vgpr31
	s_and_saveexec_b64 s[0:1], s[6:7]
	s_xor_b64 s[10:11], exec, s[0:1]
	s_cbranch_execz .LBB5_73
; %bb.72:
	s_mov_b32 s0, 0
	s_mov_b32 s1, 0x7b000000
	s_movk_i32 s9, 0xff80
	v_and_b32_e32 v30, 0x7fffffff, v17
	v_ldexp_f64 v[22:23], |v[16:17]|, s9
	v_cmp_ge_f64_e64 vcc, |v[16:17]|, s[0:1]
	s_mov_b32 s0, 0
	s_mov_b32 s1, 0x7ff00000
	v_cndmask_b32_e32 v23, v30, v23, vcc
	v_cndmask_b32_e32 v22, v16, v22, vcc
	v_mul_f64 v[52:53], v[68:69], v[22:23]
	v_mul_f64 v[30:31], v[66:67], v[22:23]
	v_fma_f64 v[54:55], v[68:69], v[22:23], -v[52:53]
	v_add_f64 v[70:71], v[30:31], v[54:55]
	v_add_f64 v[80:81], v[52:53], v[70:71]
	v_ldexp_f64 v[82:83], v[80:81], -2
	v_fract_f64_e32 v[84:85], v[82:83]
	v_cmp_neq_f64_e64 vcc, |v[82:83]|, s[0:1]
	v_add_f64 v[52:53], v[80:81], -v[52:53]
	v_add_f64 v[52:53], v[70:71], -v[52:53]
	v_cndmask_b32_e32 v83, 0, v85, vcc
	v_cndmask_b32_e32 v82, 0, v84, vcc
	v_add_f64 v[84:85], v[70:71], -v[30:31]
	v_add_f64 v[54:55], v[54:55], -v[84:85]
	;; [unrolled: 1-line block ×4, first 2 shown]
	v_add_f64 v[54:55], v[54:55], v[84:85]
	v_fma_f64 v[30:31], v[66:67], v[22:23], -v[30:31]
	v_mul_f64 v[84:85], v[64:65], v[22:23]
	v_add_f64 v[96:97], v[84:85], v[30:31]
	v_add_f64 v[98:99], v[96:97], v[54:55]
	v_add_f64 v[80:81], v[98:99], -v[96:97]
	v_add_f64 v[54:55], v[54:55], -v[80:81]
	;; [unrolled: 1-line block ×4, first 2 shown]
	v_add_f64 v[54:55], v[54:55], v[80:81]
	v_add_f64 v[80:81], v[96:97], -v[84:85]
	v_add_f64 v[30:31], v[30:31], -v[80:81]
	;; [unrolled: 1-line block ×4, first 2 shown]
	v_add_f64 v[70:71], v[52:53], v[98:99]
	v_add_f64 v[30:31], v[30:31], v[80:81]
	v_add_f64 v[52:53], v[70:71], -v[52:53]
	v_add_f64 v[30:31], v[30:31], v[54:55]
	v_fma_f64 v[22:23], v[64:65], v[22:23], -v[84:85]
	v_add_f64 v[52:53], v[98:99], -v[52:53]
	v_add_f64 v[22:23], v[22:23], v[30:31]
	v_ldexp_f64 v[30:31], v[82:83], 2
	v_add_f64 v[22:23], v[52:53], v[22:23]
	v_add_f64 v[52:53], v[70:71], v[30:31]
	v_mov_b32_e32 v49, 0x40100000
	v_cmp_gt_f64_e32 vcc, 0, v[52:53]
	v_mov_b32_e32 v86, 0
	s_mov_b32 s9, 0x3ff921fb
	v_cndmask_b32_e32 v87, 0, v49, vcc
	v_add_f64 v[30:31], v[30:31], v[86:87]
	v_add_f64 v[52:53], v[70:71], v[30:31]
	v_cvt_i32_f64_e32 v49, v[52:53]
	v_cvt_f64_i32_e32 v[52:53], v49
	v_add_f64 v[30:31], v[30:31], -v[52:53]
	v_add_f64 v[52:53], v[70:71], v[30:31]
	v_add_f64 v[30:31], v[52:53], -v[30:31]
	v_add_f64 v[30:31], v[70:71], -v[30:31]
	v_add_f64 v[22:23], v[22:23], v[30:31]
	v_cmp_le_f64_e32 vcc, 0.5, v[52:53]
	v_mov_b32_e32 v30, 0x3ff00000
	s_nop 0
	v_cndmask_b32_e32 v87, 0, v30, vcc
	v_add_f64 v[30:31], v[52:53], -v[86:87]
	v_add_f64 v[52:53], v[30:31], v[22:23]
	v_addc_co_u32_e64 v49, s[0:1], 0, v49, vcc
	v_add_f64 v[30:31], v[52:53], -v[30:31]
	v_add_f64 v[22:23], v[22:23], -v[30:31]
	v_mul_f64 v[30:31], v[52:53], s[8:9]
	s_mov_b32 s0, 0x33145c07
	v_fma_f64 v[54:55], v[52:53], s[8:9], -v[30:31]
	s_mov_b32 s1, 0x3c91a626
	v_fmac_f64_e32 v[54:55], s[0:1], v[52:53]
	v_fmac_f64_e32 v[54:55], s[8:9], v[22:23]
	v_add_f64 v[22:23], v[30:31], v[54:55]
	v_add_f64 v[30:31], v[22:23], -v[30:31]
	v_add_f64 v[30:31], v[54:55], -v[30:31]
	s_andn2_saveexec_b64 s[0:1], s[10:11]
	s_cbranch_execz .LBB5_75
	s_branch .LBB5_74
.LBB5_73:
	s_andn2_saveexec_b64 s[0:1], s[10:11]
	s_cbranch_execz .LBB5_75
.LBB5_74:
	s_mov_b32 s8, 0x6dc9c883
	s_mov_b32 s9, 0x3fe45f30
	v_mul_f64 v[22:23], |v[16:17]|, s[8:9]
	s_mov_b32 s8, 0x54442d18
	v_rndne_f64_e32 v[52:53], v[22:23]
	s_mov_b32 s9, 0xbff921fb
	v_fma_f64 v[22:23], v[52:53], s[8:9], |v[16:17]|
	s_mov_b32 s9, 0xbc91a626
	s_mov_b32 s8, 0x33145c00
	v_mul_f64 v[54:55], v[52:53], s[8:9]
	v_add_f64 v[80:81], v[22:23], v[54:55]
	v_fma_f64 v[30:31], s[8:9], v[52:53], v[22:23]
	s_mov_b32 s9, 0x3c91a626
	v_add_f64 v[22:23], v[22:23], -v[80:81]
	v_fma_f64 v[70:71], s[8:9], v[52:53], v[54:55]
	v_add_f64 v[22:23], v[22:23], v[54:55]
	v_add_f64 v[54:55], v[80:81], -v[30:31]
	v_add_f64 v[22:23], v[54:55], v[22:23]
	s_mov_b32 s8, 0x252049c0
	v_add_f64 v[54:55], v[22:23], -v[70:71]
	s_mov_b32 s9, 0xb97b839a
	v_fmac_f64_e32 v[54:55], s[8:9], v[52:53]
	v_add_f64 v[22:23], v[30:31], v[54:55]
	v_add_f64 v[30:31], v[22:23], -v[30:31]
	v_add_f64 v[30:31], v[54:55], -v[30:31]
	v_cvt_i32_f64_e32 v49, v[52:53]
.LBB5_75:
	s_or_b64 exec, exec, s[0:1]
                                        ; implicit-def: $vgpr51
                                        ; implicit-def: $vgpr52_vgpr53
                                        ; implicit-def: $vgpr54_vgpr55
	s_and_saveexec_b64 s[0:1], s[6:7]
	s_xor_b64 s[6:7], exec, s[0:1]
	s_cbranch_execz .LBB5_77
; %bb.76:
	s_mov_b32 s0, 0
	s_mov_b32 s1, 0x7b000000
	s_movk_i32 s8, 0xff80
	v_and_b32_e32 v51, 0x7fffffff, v17
	v_ldexp_f64 v[52:53], |v[16:17]|, s8
	v_cmp_ge_f64_e64 vcc, |v[16:17]|, s[0:1]
	s_mov_b32 s0, 0
	s_mov_b32 s1, 0x7ff00000
	v_cndmask_b32_e32 v53, v51, v53, vcc
	v_cndmask_b32_e32 v52, v16, v52, vcc
	v_mul_f64 v[70:71], v[68:69], v[52:53]
	v_mul_f64 v[54:55], v[66:67], v[52:53]
	v_fma_f64 v[68:69], v[68:69], v[52:53], -v[70:71]
	v_add_f64 v[80:81], v[54:55], v[68:69]
	v_add_f64 v[82:83], v[70:71], v[80:81]
	v_ldexp_f64 v[84:85], v[82:83], -2
	v_fract_f64_e32 v[86:87], v[84:85]
	v_cmp_neq_f64_e64 vcc, |v[84:85]|, s[0:1]
	v_add_f64 v[70:71], v[82:83], -v[70:71]
	v_add_f64 v[70:71], v[80:81], -v[70:71]
	v_cndmask_b32_e32 v85, 0, v87, vcc
	v_cndmask_b32_e32 v84, 0, v86, vcc
	v_add_f64 v[86:87], v[80:81], -v[54:55]
	v_add_f64 v[68:69], v[68:69], -v[86:87]
	;; [unrolled: 1-line block ×4, first 2 shown]
	v_fma_f64 v[54:55], v[66:67], v[52:53], -v[54:55]
	v_mul_f64 v[66:67], v[64:65], v[52:53]
	v_add_f64 v[68:69], v[68:69], v[86:87]
	v_add_f64 v[86:87], v[66:67], v[54:55]
	;; [unrolled: 1-line block ×3, first 2 shown]
	v_add_f64 v[82:83], v[98:99], -v[86:87]
	v_add_f64 v[68:69], v[68:69], -v[82:83]
	;; [unrolled: 1-line block ×4, first 2 shown]
	v_add_f64 v[68:69], v[68:69], v[82:83]
	v_add_f64 v[82:83], v[86:87], -v[66:67]
	v_add_f64 v[54:55], v[54:55], -v[82:83]
	;; [unrolled: 1-line block ×4, first 2 shown]
	v_add_f64 v[54:55], v[54:55], v[82:83]
	v_add_f64 v[54:55], v[54:55], v[68:69]
	v_fma_f64 v[52:53], v[64:65], v[52:53], -v[66:67]
	v_add_f64 v[80:81], v[70:71], v[98:99]
	v_add_f64 v[52:53], v[52:53], v[54:55]
	v_ldexp_f64 v[54:55], v[84:85], 2
	v_add_f64 v[64:65], v[80:81], v[54:55]
	v_mov_b32_e32 v51, 0x40100000
	v_cmp_gt_f64_e32 vcc, 0, v[64:65]
	v_mov_b32_e32 v96, 0
	v_add_f64 v[70:71], v[80:81], -v[70:71]
	v_cndmask_b32_e32 v97, 0, v51, vcc
	v_add_f64 v[54:55], v[54:55], v[96:97]
	v_add_f64 v[64:65], v[80:81], v[54:55]
	v_cvt_i32_f64_e32 v51, v[64:65]
	v_cvt_f64_i32_e32 v[64:65], v51
	v_add_f64 v[54:55], v[54:55], -v[64:65]
	v_add_f64 v[64:65], v[80:81], v[54:55]
	v_add_f64 v[70:71], v[98:99], -v[70:71]
	v_add_f64 v[54:55], v[64:65], -v[54:55]
	v_add_f64 v[52:53], v[70:71], v[52:53]
	v_add_f64 v[54:55], v[80:81], -v[54:55]
	v_add_f64 v[52:53], v[52:53], v[54:55]
	v_cmp_le_f64_e32 vcc, 0.5, v[64:65]
	v_mov_b32_e32 v54, 0x3ff00000
	s_mov_b32 s8, 0x33145c07
	v_cndmask_b32_e32 v97, 0, v54, vcc
	v_addc_co_u32_e64 v51, s[0:1], 0, v51, vcc
	v_add_f64 v[54:55], v[64:65], -v[96:97]
	v_add_f64 v[64:65], v[54:55], v[52:53]
	s_mov_b32 s0, 0x54442d18
	v_add_f64 v[54:55], v[64:65], -v[54:55]
	s_mov_b32 s1, 0x3ff921fb
	v_add_f64 v[52:53], v[52:53], -v[54:55]
	v_mul_f64 v[54:55], v[64:65], s[0:1]
	v_fma_f64 v[66:67], v[64:65], s[0:1], -v[54:55]
	s_mov_b32 s9, 0x3c91a626
	v_fmac_f64_e32 v[66:67], s[8:9], v[64:65]
	v_fmac_f64_e32 v[66:67], s[0:1], v[52:53]
	v_add_f64 v[52:53], v[54:55], v[66:67]
	v_add_f64 v[54:55], v[52:53], -v[54:55]
	v_add_f64 v[54:55], v[66:67], -v[54:55]
	s_andn2_saveexec_b64 s[0:1], s[6:7]
	s_cbranch_execnz .LBB5_78
	s_branch .LBB5_79
.LBB5_77:
	s_andn2_saveexec_b64 s[0:1], s[6:7]
	s_cbranch_execz .LBB5_79
.LBB5_78:
	s_mov_b32 s6, 0x6dc9c883
	s_mov_b32 s7, 0x3fe45f30
	v_mul_f64 v[52:53], |v[16:17]|, s[6:7]
	s_mov_b32 s6, 0x54442d18
	v_rndne_f64_e32 v[64:65], v[52:53]
	s_mov_b32 s7, 0xbff921fb
	v_fma_f64 v[52:53], v[64:65], s[6:7], |v[16:17]|
	s_mov_b32 s7, 0xbc91a626
	s_mov_b32 s6, 0x33145c00
	v_mul_f64 v[66:67], v[64:65], s[6:7]
	v_add_f64 v[70:71], v[52:53], v[66:67]
	v_fma_f64 v[54:55], s[6:7], v[64:65], v[52:53]
	s_mov_b32 s7, 0x3c91a626
	v_add_f64 v[52:53], v[52:53], -v[70:71]
	v_fma_f64 v[68:69], s[6:7], v[64:65], v[66:67]
	v_add_f64 v[52:53], v[52:53], v[66:67]
	v_add_f64 v[66:67], v[70:71], -v[54:55]
	v_add_f64 v[52:53], v[66:67], v[52:53]
	s_mov_b32 s6, 0x252049c0
	v_add_f64 v[66:67], v[52:53], -v[68:69]
	s_mov_b32 s7, 0xb97b839a
	v_fmac_f64_e32 v[66:67], s[6:7], v[64:65]
	v_add_f64 v[52:53], v[54:55], v[66:67]
	v_add_f64 v[54:55], v[52:53], -v[54:55]
	v_add_f64 v[54:55], v[66:67], -v[54:55]
	v_cvt_i32_f64_e32 v51, v[64:65]
.LBB5_79:
	s_or_b64 exec, exec, s[0:1]
	s_mov_b32 s0, 0
	v_mul_f64 v[64:65], v[24:25], v[24:25]
	s_mov_b32 s1, 0x40390000
	v_div_scale_f64 v[66:67], s[6:7], v[64:65], v[64:65], s[0:1]
	v_rcp_f64_e32 v[68:69], v[66:67]
	v_mov_b32_e32 v82, 0xb1759c7f
	v_mov_b32_e32 v83, 0x408ac370
	;; [unrolled: 1-line block ×3, first 2 shown]
	v_fma_f64 v[70:71], -v[66:67], v[68:69], 1.0
	v_fmac_f64_e32 v[68:69], v[68:69], v[70:71]
	v_fma_f64 v[70:71], -v[66:67], v[68:69], 1.0
	v_fmac_f64_e32 v[68:69], v[68:69], v[70:71]
	v_div_scale_f64 v[70:71], vcc, s[0:1], v[64:65], s[0:1]
	v_mul_f64 v[80:81], v[70:71], v[68:69]
	v_fma_f64 v[66:67], -v[66:67], v[80:81], v[70:71]
	v_mov_b32_e32 v70, 0xab5454e3
	s_nop 0
	v_div_fmas_f64 v[66:67], v[66:67], v[68:69], v[80:81]
	v_div_fixup_f64 v[64:65], v[66:67], v[64:65], s[0:1]
	v_mov_b32_e32 v66, 0x983b6b27
	v_mov_b32_e32 v67, 0x3f4a1d30
	v_fmac_f64_e32 v[66:67], 0, v[64:65]
	v_mov_b32_e32 v68, 0xb35dd1cf
	v_mov_b32_e32 v69, 0x3fb534b0
	v_fmac_f64_e32 v[68:69], v[64:65], v[66:67]
	;; [unrolled: 3-line block ×7, first 2 shown]
	v_mov_b32_e32 v71, 0x3fb5ebc5
	v_fmac_f64_e32 v[70:71], v[64:65], v[66:67]
	v_mov_b32_e32 v66, 0xc9b3069f
	v_mov_b32_e32 v67, 0x3ff40e72
	v_fmac_f64_e32 v[66:67], v[64:65], v[70:71]
	v_mov_b32_e32 v70, 0xe68162bb
	;; [unrolled: 3-line block ×4, first 2 shown]
	v_mov_b32_e32 v71, 0x40153965
	v_fmac_f64_e32 v[70:71], v[64:65], v[66:67]
	v_fma_f64 v[66:67], v[64:65], v[70:71], 1.0
	v_mov_b32_e32 v70, 0x38a5384a
	v_mov_b32_e32 v71, 0xbf874742
	v_fmac_f64_e32 v[70:71], 0, v[64:65]
	v_mov_b32_e32 v80, 0x3a321174
	v_mov_b32_e32 v81, 0xbff4853b
	v_fmac_f64_e32 v[80:81], v[64:65], v[70:71]
	;; [unrolled: 3-line block ×9, first 2 shown]
	v_fmac_f64_e32 v[82:83], v[64:65], v[70:71]
	v_mov_b32_e32 v70, 0xbd748cb5
	v_mov_b32_e32 v71, 0x40ae54cd
	v_fmac_f64_e32 v[70:71], v[64:65], v[82:83]
	v_mov_b32_e32 v82, 0xbdefd63e
	v_mov_b32_e32 v83, 0x40bc4877
	;; [unrolled: 3-line block ×4, first 2 shown]
	v_fma_f64 v[68:69], v[64:65], v[68:69], 1.0
	v_fmac_f64_e32 v[82:83], v[64:65], v[70:71]
	v_div_scale_f64 v[70:71], s[0:1], v[66:67], v[66:67], v[68:69]
	v_rcp_f64_e32 v[84:85], v[70:71]
	v_mov_b32_e32 v87, 0x406e402f
	v_fmac_f64_e32 v[86:87], v[64:65], v[82:83]
	s_mov_b32 s0, 0x9037ab78
	v_fma_f64 v[64:65], -v[70:71], v[84:85], 1.0
	v_fmac_f64_e32 v[84:85], v[84:85], v[64:65]
	v_fma_f64 v[64:65], -v[70:71], v[84:85], 1.0
	v_fmac_f64_e32 v[84:85], v[84:85], v[64:65]
	v_div_scale_f64 v[64:65], vcc, v[68:69], v[66:67], v[68:69]
	v_mul_f64 v[82:83], v[64:65], v[84:85]
	v_fma_f64 v[64:65], -v[70:71], v[82:83], v[64:65]
	s_mov_b32 s1, 0x3e21eeb6
	s_nop 0
	v_div_fmas_f64 v[64:65], v[64:65], v[84:85], v[82:83]
	s_mov_b32 s6, 0x46cc5e42
	v_div_fixup_f64 v[64:65], v[64:65], v[66:67], v[68:69]
	v_mul_f64 v[66:67], v[22:23], v[22:23]
	s_mov_b32 s7, 0xbda907db
	v_mov_b64_e32 v[84:85], s[0:1]
	s_mov_b32 s8, 0xa17f65f6
	v_mul_f64 v[68:69], v[66:67], 0.5
	v_fma_f64 v[96:97], s[6:7], v[66:67], v[84:85]
	s_mov_b32 s9, 0xbe927e4f
	s_mov_b32 s10, 0x19f4ec90
	v_add_f64 v[70:71], -v[68:69], 1.0
	v_fma_f64 v[96:97], v[66:67], v[96:97], s[8:9]
	s_mov_b32 s11, 0x3efa01a0
	s_mov_b32 s12, 0x16c16967
	v_add_f64 v[82:83], -v[70:71], 1.0
	v_fma_f64 v[96:97], v[66:67], v[96:97], s[10:11]
	s_mov_b32 s13, 0xbf56c16c
	s_mov_b32 s14, 0x55555555
	v_add_f64 v[68:69], v[82:83], -v[68:69]
	v_fma_f64 v[96:97], v[66:67], v[96:97], s[12:13]
	s_mov_b32 s15, 0x3fa55555
	v_mul_f64 v[82:83], v[66:67], v[66:67]
	v_fma_f64 v[96:97], v[66:67], v[96:97], s[14:15]
	v_fma_f64 v[68:69], v[22:23], -v[30:31], v[68:69]
	s_mov_b32 s0, 0xb42fdfa7
	v_fmac_f64_e32 v[68:69], v[82:83], v[96:97]
	s_mov_b32 s1, 0xbe5ae600
	s_mov_b32 s16, 0xf9a43bb8
	v_add_f64 v[68:69], v[70:71], v[68:69]
	s_mov_b32 s17, 0x3de5e0b2
	v_mov_b64_e32 v[70:71], s[0:1]
	s_mov_b32 s18, 0x796cde01
	v_fma_f64 v[82:83], s[16:17], v[66:67], v[70:71]
	s_mov_b32 s19, 0x3ec71de3
	s_mov_b32 s20, 0x19e83e5c
	v_fma_f64 v[82:83], v[66:67], v[82:83], s[18:19]
	s_mov_b32 s21, 0xbf2a01a0
	;; [unrolled: 3-line block ×3, first 2 shown]
	v_fma_f64 v[82:83], v[66:67], v[82:83], s[22:23]
	v_mul_f64 v[96:97], v[22:23], -v[66:67]
	v_mul_f64 v[98:99], v[30:31], 0.5
	v_fmac_f64_e32 v[98:99], v[96:97], v[82:83]
	v_fma_f64 v[30:31], v[66:67], v[98:99], -v[30:31]
	s_mov_b32 s25, 0xbfc55555
	s_mov_b32 s24, s14
	v_fmac_f64_e32 v[30:31], s[24:25], v[96:97]
	v_add_f64 v[22:23], v[22:23], -v[30:31]
	v_and_b32_e32 v30, 1, v49
	v_cmp_eq_u32_e32 vcc, 0, v30
	s_mov_b32 s26, 0
	s_mov_b32 s27, 0x40140000
	v_cndmask_b32_e32 v66, v68, v22, vcc
	v_cndmask_b32_e32 v22, v69, v23, vcc
	v_lshlrev_b32_e32 v23, 30, v49
	v_xor_b32_e32 v23, v23, v17
	v_and_b32_e32 v23, 0x80000000, v23
	v_xor_b32_e32 v49, v22, v23
	v_div_scale_f64 v[22:23], s[0:1], v[24:25], v[24:25], s[26:27]
	v_rcp_f64_e32 v[30:31], v[22:23]
	s_movk_i32 s28, 0x1f8
	v_cmp_class_f64_e64 s[0:1], v[16:17], s28
	v_mov_b32_e32 v96, 0x7ff80000
	s_nop 0
	v_cndmask_b32_e64 v16, 0, v66, s[0:1]
	v_fma_f64 v[66:67], -v[22:23], v[30:31], 1.0
	v_fmac_f64_e32 v[30:31], v[30:31], v[66:67]
	v_fma_f64 v[66:67], -v[22:23], v[30:31], 1.0
	v_fmac_f64_e32 v[30:31], v[30:31], v[66:67]
	v_div_scale_f64 v[66:67], vcc, s[26:27], v[24:25], s[26:27]
	v_mul_f64 v[68:69], v[66:67], v[30:31]
	v_fma_f64 v[22:23], -v[22:23], v[68:69], v[66:67]
	v_div_scale_f64 v[66:67], s[28:29], v[86:87], v[86:87], v[80:81]
	v_rcp_f64_e32 v[82:83], v[66:67]
	v_div_fmas_f64 v[22:23], v[22:23], v[30:31], v[68:69]
	v_div_fixup_f64 v[22:23], v[22:23], v[24:25], s[26:27]
	v_cndmask_b32_e64 v17, v96, v49, s[0:1]
	v_fma_f64 v[30:31], -v[66:67], v[82:83], 1.0
	v_fmac_f64_e32 v[82:83], v[82:83], v[30:31]
	v_fma_f64 v[30:31], -v[66:67], v[82:83], 1.0
	v_fmac_f64_e32 v[82:83], v[82:83], v[30:31]
	v_div_scale_f64 v[30:31], vcc, v[80:81], v[86:87], v[80:81]
	v_mul_f64 v[68:69], v[30:31], v[82:83]
	v_fma_f64 v[30:31], -v[66:67], v[68:69], v[30:31]
	v_and_b32_e32 v49, 1, v51
	s_nop 0
	v_div_fmas_f64 v[30:31], v[30:31], v[82:83], v[68:69]
	v_div_fixup_f64 v[30:31], v[30:31], v[86:87], v[80:81]
	v_mul_f64 v[22:23], v[22:23], v[30:31]
	v_mul_f64 v[30:31], v[52:53], v[52:53]
	v_mul_f64 v[66:67], v[30:31], 0.5
	v_fmac_f64_e32 v[84:85], s[6:7], v[30:31]
	v_add_f64 v[68:69], -v[66:67], 1.0
	v_fma_f64 v[82:83], v[30:31], v[84:85], s[8:9]
	v_add_f64 v[80:81], -v[68:69], 1.0
	v_fma_f64 v[82:83], v[30:31], v[82:83], s[10:11]
	v_add_f64 v[66:67], v[80:81], -v[66:67]
	v_fma_f64 v[82:83], v[30:31], v[82:83], s[12:13]
	v_mul_f64 v[80:81], v[30:31], v[30:31]
	v_fma_f64 v[82:83], v[30:31], v[82:83], s[14:15]
	v_fma_f64 v[66:67], v[52:53], -v[54:55], v[66:67]
	v_fmac_f64_e32 v[66:67], v[80:81], v[82:83]
	v_fmac_f64_e32 v[70:71], s[16:17], v[30:31]
	v_add_f64 v[66:67], v[68:69], v[66:67]
	v_fma_f64 v[68:69], v[30:31], v[70:71], s[18:19]
	v_fma_f64 v[68:69], v[30:31], v[68:69], s[20:21]
	v_fma_f64 v[68:69], v[30:31], v[68:69], s[22:23]
	v_mul_f64 v[70:71], v[52:53], -v[30:31]
	v_mul_f64 v[80:81], v[54:55], 0.5
	v_fmac_f64_e32 v[80:81], v[70:71], v[68:69]
	v_fma_f64 v[30:31], v[30:31], v[80:81], -v[54:55]
	v_fmac_f64_e32 v[30:31], s[24:25], v[70:71]
	v_add_f64 v[30:31], v[52:53], -v[30:31]
	v_xor_b32_e32 v31, 0x80000000, v31
	v_cmp_eq_u32_e32 vcc, 0, v49
	v_lshlrev_b32_e32 v49, 30, v51
	v_and_b32_e32 v49, 0x80000000, v49
	v_cndmask_b32_e32 v31, v31, v67, vcc
	v_cndmask_b32_e32 v30, v30, v66, vcc
	v_xor_b32_e32 v31, v31, v49
	v_cndmask_b32_e64 v30, 0, v30, s[0:1]
	v_cndmask_b32_e64 v31, v96, v31, s[0:1]
	s_mov_b32 s0, 0
	s_brev_b32 s1, 8
	v_mul_f64 v[22:23], v[22:23], v[30:31]
	v_cmp_gt_f64_e32 vcc, s[0:1], v[24:25]
	v_fmac_f64_e32 v[22:23], v[64:65], v[16:17]
	s_mov_b32 s0, 0x33d43651
	v_cndmask_b32_e64 v16, 0, 1, vcc
	v_lshlrev_b32_e32 v16, 8, v16
	v_ldexp_f64 v[16:17], v[24:25], v16
	v_rsq_f64_e32 v[24:25], v[16:17]
	s_mov_b32 s1, 0x3fe98845
	v_mul_f64 v[22:23], v[22:23], s[0:1]
	v_mul_f64 v[30:31], v[16:17], v[24:25]
	v_mul_f64 v[24:25], v[24:25], 0.5
	v_fma_f64 v[52:53], -v[24:25], v[30:31], 0.5
	v_fmac_f64_e32 v[30:31], v[30:31], v[52:53]
	v_fma_f64 v[54:55], -v[30:31], v[30:31], v[16:17]
	v_fmac_f64_e32 v[24:25], v[24:25], v[52:53]
	v_fmac_f64_e32 v[30:31], v[54:55], v[24:25]
	v_fma_f64 v[52:53], -v[30:31], v[30:31], v[16:17]
	v_fmac_f64_e32 v[30:31], v[52:53], v[24:25]
	v_mov_b32_e32 v24, 0xffffff80
	v_cndmask_b32_e32 v24, 0, v24, vcc
	v_ldexp_f64 v[24:25], v[30:31], v24
	v_mov_b32_e32 v30, 0x260
	v_cmp_class_f64_e32 vcc, v[16:17], v30
	s_nop 1
	v_cndmask_b32_e32 v17, v25, v17, vcc
	v_cndmask_b32_e32 v16, v24, v16, vcc
	v_div_scale_f64 v[24:25], s[0:1], v[16:17], v[16:17], v[22:23]
	v_rcp_f64_e32 v[30:31], v[24:25]
	s_nop 0
	v_fma_f64 v[52:53], -v[24:25], v[30:31], 1.0
	v_fmac_f64_e32 v[30:31], v[30:31], v[52:53]
	v_fma_f64 v[52:53], -v[24:25], v[30:31], 1.0
	v_fmac_f64_e32 v[30:31], v[30:31], v[52:53]
	v_div_scale_f64 v[52:53], vcc, v[22:23], v[16:17], v[22:23]
	v_mul_f64 v[54:55], v[52:53], v[30:31]
	v_fma_f64 v[24:25], -v[24:25], v[54:55], v[52:53]
	s_nop 1
	v_div_fmas_f64 v[24:25], v[24:25], v[30:31], v[54:55]
	v_div_fixup_f64 v[16:17], v[24:25], v[16:17], v[22:23]
.LBB5_80:
	s_or_b64 exec, exec, s[4:5]
	s_mov_b32 s0, 0
	s_mov_b32 s1, 0x40140000
	v_cmp_ge_f64_e32 vcc, s[0:1], v[36:37]
                                        ; implicit-def: $vgpr22_vgpr23
	s_and_saveexec_b64 s[0:1], vcc
	s_xor_b64 s[0:1], exec, s[0:1]
	s_cbranch_execz .LBB5_90
; %bb.81:
	v_mov_b32_e32 v22, 0
	v_cmp_neq_f64_e32 vcc, 0, v[36:37]
	v_mov_b32_e32 v23, 0xfff00000
	s_and_saveexec_b64 s[4:5], vcc
	s_cbranch_execz .LBB5_89
; %bb.82:
	v_mov_b32_e32 v22, 0
	v_cmp_ngt_f64_e32 vcc, 0, v[36:37]
	v_mov_b32_e32 v23, 0x7ff80000
	s_and_saveexec_b64 s[6:7], vcc
	s_cbranch_execz .LBB5_88
; %bb.83:
	s_mov_b32 s8, 0x88e368f1
	v_mul_f64 v[22:23], v[36:37], v[36:37]
	s_mov_b32 s9, 0x3ee4f8b5
	v_mul_f64 v[30:31], v[22:23], 0
	v_cmp_ngt_f64_e32 vcc, s[8:9], v[36:37]
                                        ; implicit-def: $vgpr24_vgpr25
	s_and_saveexec_b64 s[8:9], vcc
	s_xor_b64 s[8:9], exec, s[8:9]
	s_cbranch_execz .LBB5_85
; %bb.84:
	s_mov_b32 s10, 0xad1c8325
	s_mov_b32 s11, 0xc1f1dc53
	v_add_f64 v[24:25], v[30:31], s[10:11]
	v_mov_b32_e32 v52, 0xc772990d
	v_mov_b32_e32 v53, 0x427c7751
	s_mov_b32 s10, 0xa696b78c
	v_fmac_f64_e32 v[52:53], v[22:23], v[24:25]
	v_mov_b32_e32 v24, 0xe0d900f7
	v_mov_b32_e32 v25, 0xc2ec5614
	s_mov_b32 s11, 0x407f3902
	v_fmac_f64_e32 v[24:25], v[22:23], v[52:53]
	v_add_f64 v[52:53], v[30:31], s[10:11]
	v_mov_b32_e32 v54, 0x36a21a67
	v_mov_b32_e32 v55, 0x410536cb
	v_fmac_f64_e32 v[54:55], v[22:23], v[52:53]
	v_mov_b32_e32 v52, 0x2eac0634
	v_mov_b32_e32 v53, 0x41871934
	v_fmac_f64_e32 v[52:53], v[22:23], v[54:55]
	;; [unrolled: 3-line block ×6, first 2 shown]
	v_mov_b32_e32 v54, 0xc7b662cc
	v_mov_b32_e32 v55, 0x43b7be34
	s_mov_b32 s10, 0x80462bbb
	v_fmac_f64_e32 v[54:55], v[22:23], v[52:53]
	v_mov_b32_e32 v52, 0x69ff5fb4
	v_mov_b32_e32 v53, 0x43413ef8
	s_mov_b32 s11, 0xc01721fb
	v_fmac_f64_e32 v[52:53], v[22:23], v[24:25]
	v_add_f64 v[24:25], v[22:23], s[10:11]
	s_mov_b32 s10, 0xa621dd6f
	s_mov_b32 s11, 0xc03e78a4
	v_add_f64 v[64:65], v[22:23], s[10:11]
	v_mul_f64 v[24:25], v[24:25], v[64:65]
	v_mul_f64 v[24:25], v[24:25], v[52:53]
	v_div_scale_f64 v[52:53], s[10:11], v[54:55], v[54:55], v[24:25]
	v_rcp_f64_e32 v[64:65], v[52:53]
	s_nop 0
	v_fma_f64 v[66:67], -v[52:53], v[64:65], 1.0
	v_fmac_f64_e32 v[64:65], v[64:65], v[66:67]
	v_fma_f64 v[66:67], -v[52:53], v[64:65], 1.0
	v_fmac_f64_e32 v[64:65], v[64:65], v[66:67]
	v_div_scale_f64 v[66:67], vcc, v[24:25], v[54:55], v[24:25]
	v_mul_f64 v[68:69], v[66:67], v[64:65]
	v_fma_f64 v[52:53], -v[52:53], v[68:69], v[66:67]
	s_nop 1
	v_div_fmas_f64 v[52:53], v[52:53], v[64:65], v[68:69]
	v_div_fixup_f64 v[24:25], v[52:53], v[54:55], v[24:25]
.LBB5_85:
	s_andn2_saveexec_b64 s[8:9], s[8:9]
; %bb.86:
	s_mov_b32 s10, 0
	s_mov_b32 s11, 0xbfd00000
	v_fma_f64 v[24:25], v[22:23], s[10:11], 1.0
; %bb.87:
	s_or_b64 exec, exec, s[8:9]
	s_mov_b32 s8, 0xe896898f
	s_mov_b32 s9, 0x40ce7437
	v_add_f64 v[52:53], v[30:31], s[8:9]
	v_mov_b32_e32 v54, 0x32e48896
	v_mov_b32_e32 v55, 0xc16bf81f
	v_fmac_f64_e32 v[54:55], v[22:23], v[52:53]
	v_mov_b32_e32 v52, 0xf0284cdd
	v_mov_b32_e32 v53, 0x41f43f78
	v_fmac_f64_e32 v[52:53], v[22:23], v[54:55]
	;; [unrolled: 3-line block ×4, first 2 shown]
	v_mov_b32_e32 v54, 0xd1d8cc02
	v_mov_b32_e32 v55, 0xc328a121
	s_mov_b32 s8, 0x576dfcb6
	v_fmac_f64_e32 v[54:55], v[22:23], v[52:53]
	v_mov_b32_e32 v52, 0x660b4003
	v_mov_b32_e32 v53, 0x4363a94b
	s_mov_b32 s9, 0x40904522
	v_fmac_f64_e32 v[52:53], v[22:23], v[54:55]
	v_add_f64 v[30:31], v[30:31], s[8:9]
	v_mov_b32_e32 v54, 0xa907bc0c
	v_mov_b32_e32 v55, 0x41231b76
	v_fmac_f64_e32 v[54:55], v[22:23], v[30:31]
	v_mov_b32_e32 v30, 0x5164d101
	v_mov_b32_e32 v31, 0x41b00763
	v_fmac_f64_e32 v[30:31], v[22:23], v[54:55]
	v_mov_b32_e32 v54, 0x2b8664bc
	v_mov_b32_e32 v55, 0x42341ddb
	v_fmac_f64_e32 v[54:55], v[22:23], v[30:31]
	v_mov_b32_e32 v30, 0xc57e828e
	v_mov_b32_e32 v31, 0x42b275fc
	v_fmac_f64_e32 v[30:31], v[22:23], v[54:55]
	v_mov_b32_e32 v54, 0xdfeb596d
	v_mov_b32_e32 v55, 0x43268910
	v_fmac_f64_e32 v[54:55], v[22:23], v[30:31]
	v_mov_b32_e32 v30, 0xbcf9b5d0
	v_mov_b32_e32 v31, 0x438bd25f
	v_fmac_f64_e32 v[30:31], v[22:23], v[54:55]
	v_mov_b32_e32 v54, 0x5906367b
	v_mov_b32_e32 v55, 0xc3506d4b
	v_fmac_f64_e32 v[54:55], v[22:23], v[52:53]
	v_div_scale_f64 v[22:23], s[8:9], v[30:31], v[30:31], v[54:55]
	v_rcp_f64_e32 v[52:53], v[22:23]
	s_mov_b32 s8, 0x55555555
	s_mov_b32 s9, 0x3fe55555
	v_mov_b32_e32 v51, 0x3ff00000
	v_fma_f64 v[64:65], -v[22:23], v[52:53], 1.0
	v_fmac_f64_e32 v[52:53], v[52:53], v[64:65]
	v_fma_f64 v[64:65], -v[22:23], v[52:53], 1.0
	v_fmac_f64_e32 v[52:53], v[52:53], v[64:65]
	v_div_scale_f64 v[64:65], vcc, v[54:55], v[30:31], v[54:55]
	v_mul_f64 v[66:67], v[64:65], v[52:53]
	v_fma_f64 v[22:23], -v[22:23], v[66:67], v[64:65]
	v_frexp_exp_i32_f64_e32 v49, v[36:37]
	s_nop 0
	v_div_fmas_f64 v[22:23], v[22:23], v[52:53], v[66:67]
	v_div_fixup_f64 v[22:23], v[22:23], v[30:31], v[54:55]
	v_frexp_mant_f64_e32 v[30:31], v[36:37]
	v_cmp_gt_f64_e32 vcc, s[8:9], v[30:31]
	v_mov_b32_e32 v52, 0
	s_mov_b32 s8, 0xbf559e2b
	v_cndmask_b32_e64 v53, v51, 2.0, vcc
	v_mul_f64 v[30:31], v[30:31], v[52:53]
	v_add_f64 v[52:53], v[30:31], 1.0
	v_rcp_f64_e32 v[54:55], v[52:53]
	v_add_f64 v[66:67], v[52:53], -1.0
	v_add_f64 v[64:65], v[30:31], -1.0
	v_add_f64 v[30:31], v[30:31], -v[66:67]
	v_fma_f64 v[66:67], -v[52:53], v[54:55], 1.0
	v_fmac_f64_e32 v[54:55], v[66:67], v[54:55]
	v_fma_f64 v[66:67], -v[52:53], v[54:55], 1.0
	v_fmac_f64_e32 v[54:55], v[66:67], v[54:55]
	v_mul_f64 v[66:67], v[64:65], v[54:55]
	v_mul_f64 v[68:69], v[52:53], v[66:67]
	v_fma_f64 v[52:53], v[66:67], v[52:53], -v[68:69]
	v_fmac_f64_e32 v[52:53], v[66:67], v[30:31]
	v_add_f64 v[30:31], v[68:69], v[52:53]
	v_add_f64 v[70:71], v[64:65], -v[30:31]
	v_add_f64 v[68:69], v[30:31], -v[68:69]
	v_add_f64 v[64:65], v[64:65], -v[70:71]
	v_add_f64 v[30:31], v[64:65], -v[30:31]
	v_add_f64 v[52:53], v[68:69], -v[52:53]
	v_add_f64 v[30:31], v[52:53], v[30:31]
	v_add_f64 v[30:31], v[70:71], v[30:31]
	v_mul_f64 v[30:31], v[54:55], v[30:31]
	v_add_f64 v[52:53], v[66:67], v[30:31]
	v_add_f64 v[54:55], v[52:53], -v[66:67]
	v_add_f64 v[30:31], v[30:31], -v[54:55]
	v_mul_f64 v[54:55], v[52:53], v[52:53]
	v_mov_b32_e32 v64, 0x6b47b09a
	v_mov_b32_e32 v65, 0x3fc38538
	s_mov_b32 s9, 0x3fc3ab76
	v_fmac_f64_e32 v[64:65], s[8:9], v[54:55]
	v_mov_b32_e32 v66, 0xd7f4df2e
	v_mov_b32_e32 v67, 0x3fc7474d
	v_fmac_f64_e32 v[66:67], v[54:55], v[64:65]
	v_mov_b32_e32 v64, 0x16291751
	v_mov_b32_e32 v65, 0x3fcc71c0
	;; [unrolled: 3-line block ×5, first 2 shown]
	v_fmac_f64_e32 v[66:67], v[54:55], v[64:65]
	v_ldexp_f64 v[64:65], v[52:53], 1
	v_mul_f64 v[52:53], v[52:53], v[54:55]
	v_mul_f64 v[52:53], v[52:53], v[66:67]
	v_add_f64 v[54:55], v[64:65], v[52:53]
	v_add_f64 v[64:65], v[54:55], -v[64:65]
	v_ldexp_f64 v[30:31], v[30:31], 1
	v_add_f64 v[52:53], v[52:53], -v[64:65]
	v_add_f64 v[30:31], v[30:31], v[52:53]
	v_add_f64 v[52:53], v[54:55], v[30:31]
	v_subbrev_co_u32_e32 v49, vcc, 0, v49, vcc
	v_add_f64 v[54:55], v[52:53], -v[54:55]
	s_mov_b32 s8, 0xfefa39ef
	v_add_f64 v[30:31], v[30:31], -v[54:55]
	v_cvt_f64_i32_e32 v[54:55], v49
	s_mov_b32 s9, 0x3fe62e42
	v_mul_f64 v[64:65], v[54:55], s[8:9]
	v_fma_f64 v[66:67], v[54:55], s[8:9], -v[64:65]
	s_mov_b32 s8, 0x3b39803f
	s_mov_b32 s9, 0x3c7abc9e
	v_fmac_f64_e32 v[66:67], s[8:9], v[54:55]
	v_add_f64 v[54:55], v[64:65], v[66:67]
	v_add_f64 v[64:65], v[54:55], -v[64:65]
	v_add_f64 v[64:65], v[66:67], -v[64:65]
	v_add_f64 v[66:67], v[54:55], v[52:53]
	v_add_f64 v[68:69], v[66:67], -v[54:55]
	v_add_f64 v[70:71], v[66:67], -v[68:69]
	;; [unrolled: 1-line block ×4, first 2 shown]
	v_add_f64 v[52:53], v[52:53], v[54:55]
	v_add_f64 v[54:55], v[64:65], v[30:31]
	v_add_f64 v[68:69], v[54:55], -v[64:65]
	v_add_f64 v[70:71], v[54:55], -v[68:69]
	v_add_f64 v[52:53], v[54:55], v[52:53]
	v_add_f64 v[64:65], v[64:65], -v[70:71]
	v_add_f64 v[30:31], v[30:31], -v[68:69]
	v_add_f64 v[54:55], v[66:67], v[52:53]
	v_add_f64 v[30:31], v[30:31], v[64:65]
	v_add_f64 v[64:65], v[54:55], -v[66:67]
	v_add_f64 v[52:53], v[52:53], -v[64:65]
	v_add_f64 v[30:31], v[30:31], v[52:53]
	s_mov_b32 s8, 0x6dc9c883
	v_add_f64 v[30:31], v[54:55], v[30:31]
	s_mov_b32 s9, 0x3fe45f30
	v_mul_f64 v[30:31], v[30:31], s[8:9]
	v_fmac_f64_e32 v[22:23], v[30:31], v[24:25]
.LBB5_88:
	s_or_b64 exec, exec, s[6:7]
.LBB5_89:
	s_or_b64 exec, exec, s[4:5]
.LBB5_90:
	s_andn2_saveexec_b64 s[4:5], s[0:1]
	s_cbranch_execz .LBB5_100
; %bb.91:
	s_mov_b32 s9, 0xbfe921fb
	s_mov_b32 s8, 0x54442d18
	s_mov_b32 s0, 0
	v_add_f64 v[22:23], v[36:37], s[8:9]
	s_mov_b32 s1, 0x41d00000
	v_cmp_nlt_f64_e64 s[6:7], |v[22:23]|, s[0:1]
	v_trig_preop_f64 v[68:69], |v[22:23]|, 0
	v_trig_preop_f64 v[66:67], |v[22:23]|, 1
	;; [unrolled: 1-line block ×3, first 2 shown]
                                        ; implicit-def: $vgpr49
                                        ; implicit-def: $vgpr24_vgpr25
                                        ; implicit-def: $vgpr30_vgpr31
	s_and_saveexec_b64 s[0:1], s[6:7]
	s_xor_b64 s[10:11], exec, s[0:1]
	s_cbranch_execz .LBB5_93
; %bb.92:
	s_mov_b32 s0, 0
	s_mov_b32 s1, 0x7b000000
	s_movk_i32 s9, 0xff80
	v_and_b32_e32 v30, 0x7fffffff, v23
	v_ldexp_f64 v[24:25], |v[22:23]|, s9
	v_cmp_ge_f64_e64 vcc, |v[22:23]|, s[0:1]
	s_mov_b32 s0, 0
	s_mov_b32 s1, 0x7ff00000
	v_cndmask_b32_e32 v25, v30, v25, vcc
	v_cndmask_b32_e32 v24, v22, v24, vcc
	v_mul_f64 v[52:53], v[68:69], v[24:25]
	v_mul_f64 v[30:31], v[66:67], v[24:25]
	v_fma_f64 v[54:55], v[68:69], v[24:25], -v[52:53]
	v_add_f64 v[70:71], v[30:31], v[54:55]
	v_add_f64 v[80:81], v[52:53], v[70:71]
	v_ldexp_f64 v[82:83], v[80:81], -2
	v_fract_f64_e32 v[84:85], v[82:83]
	v_cmp_neq_f64_e64 vcc, |v[82:83]|, s[0:1]
	v_add_f64 v[52:53], v[80:81], -v[52:53]
	v_add_f64 v[52:53], v[70:71], -v[52:53]
	v_cndmask_b32_e32 v83, 0, v85, vcc
	v_cndmask_b32_e32 v82, 0, v84, vcc
	v_add_f64 v[84:85], v[70:71], -v[30:31]
	v_add_f64 v[54:55], v[54:55], -v[84:85]
	;; [unrolled: 1-line block ×4, first 2 shown]
	v_add_f64 v[54:55], v[54:55], v[84:85]
	v_fma_f64 v[30:31], v[66:67], v[24:25], -v[30:31]
	v_mul_f64 v[84:85], v[64:65], v[24:25]
	v_add_f64 v[96:97], v[84:85], v[30:31]
	v_add_f64 v[98:99], v[96:97], v[54:55]
	v_add_f64 v[80:81], v[98:99], -v[96:97]
	v_add_f64 v[54:55], v[54:55], -v[80:81]
	;; [unrolled: 1-line block ×4, first 2 shown]
	v_add_f64 v[54:55], v[54:55], v[80:81]
	v_add_f64 v[80:81], v[96:97], -v[84:85]
	v_add_f64 v[30:31], v[30:31], -v[80:81]
	;; [unrolled: 1-line block ×4, first 2 shown]
	v_add_f64 v[70:71], v[52:53], v[98:99]
	v_add_f64 v[30:31], v[30:31], v[80:81]
	v_add_f64 v[52:53], v[70:71], -v[52:53]
	v_add_f64 v[30:31], v[30:31], v[54:55]
	v_fma_f64 v[24:25], v[64:65], v[24:25], -v[84:85]
	v_add_f64 v[52:53], v[98:99], -v[52:53]
	v_add_f64 v[24:25], v[24:25], v[30:31]
	v_ldexp_f64 v[30:31], v[82:83], 2
	v_add_f64 v[24:25], v[52:53], v[24:25]
	v_add_f64 v[52:53], v[70:71], v[30:31]
	v_mov_b32_e32 v49, 0x40100000
	v_cmp_gt_f64_e32 vcc, 0, v[52:53]
	v_mov_b32_e32 v86, 0
	s_mov_b32 s9, 0x3ff921fb
	v_cndmask_b32_e32 v87, 0, v49, vcc
	v_add_f64 v[30:31], v[30:31], v[86:87]
	v_add_f64 v[52:53], v[70:71], v[30:31]
	v_cvt_i32_f64_e32 v49, v[52:53]
	v_cvt_f64_i32_e32 v[52:53], v49
	v_add_f64 v[30:31], v[30:31], -v[52:53]
	v_add_f64 v[52:53], v[70:71], v[30:31]
	v_add_f64 v[30:31], v[52:53], -v[30:31]
	v_add_f64 v[30:31], v[70:71], -v[30:31]
	v_add_f64 v[24:25], v[24:25], v[30:31]
	v_cmp_le_f64_e32 vcc, 0.5, v[52:53]
	v_mov_b32_e32 v30, 0x3ff00000
	s_nop 0
	v_cndmask_b32_e32 v87, 0, v30, vcc
	v_add_f64 v[30:31], v[52:53], -v[86:87]
	v_add_f64 v[52:53], v[30:31], v[24:25]
	v_addc_co_u32_e64 v49, s[0:1], 0, v49, vcc
	v_add_f64 v[30:31], v[52:53], -v[30:31]
	v_add_f64 v[24:25], v[24:25], -v[30:31]
	v_mul_f64 v[30:31], v[52:53], s[8:9]
	s_mov_b32 s0, 0x33145c07
	v_fma_f64 v[54:55], v[52:53], s[8:9], -v[30:31]
	s_mov_b32 s1, 0x3c91a626
	v_fmac_f64_e32 v[54:55], s[0:1], v[52:53]
	v_fmac_f64_e32 v[54:55], s[8:9], v[24:25]
	v_add_f64 v[24:25], v[30:31], v[54:55]
	v_add_f64 v[30:31], v[24:25], -v[30:31]
	v_add_f64 v[30:31], v[54:55], -v[30:31]
	s_andn2_saveexec_b64 s[0:1], s[10:11]
	s_cbranch_execz .LBB5_95
	s_branch .LBB5_94
.LBB5_93:
	s_andn2_saveexec_b64 s[0:1], s[10:11]
	s_cbranch_execz .LBB5_95
.LBB5_94:
	s_mov_b32 s8, 0x6dc9c883
	s_mov_b32 s9, 0x3fe45f30
	v_mul_f64 v[24:25], |v[22:23]|, s[8:9]
	s_mov_b32 s8, 0x54442d18
	v_rndne_f64_e32 v[52:53], v[24:25]
	s_mov_b32 s9, 0xbff921fb
	v_fma_f64 v[24:25], v[52:53], s[8:9], |v[22:23]|
	s_mov_b32 s9, 0xbc91a626
	s_mov_b32 s8, 0x33145c00
	v_mul_f64 v[54:55], v[52:53], s[8:9]
	v_add_f64 v[80:81], v[24:25], v[54:55]
	v_fma_f64 v[30:31], s[8:9], v[52:53], v[24:25]
	s_mov_b32 s9, 0x3c91a626
	v_add_f64 v[24:25], v[24:25], -v[80:81]
	v_fma_f64 v[70:71], s[8:9], v[52:53], v[54:55]
	v_add_f64 v[24:25], v[24:25], v[54:55]
	v_add_f64 v[54:55], v[80:81], -v[30:31]
	v_add_f64 v[24:25], v[54:55], v[24:25]
	s_mov_b32 s8, 0x252049c0
	v_add_f64 v[54:55], v[24:25], -v[70:71]
	s_mov_b32 s9, 0xb97b839a
	v_fmac_f64_e32 v[54:55], s[8:9], v[52:53]
	v_add_f64 v[24:25], v[30:31], v[54:55]
	v_add_f64 v[30:31], v[24:25], -v[30:31]
	v_add_f64 v[30:31], v[54:55], -v[30:31]
	v_cvt_i32_f64_e32 v49, v[52:53]
.LBB5_95:
	s_or_b64 exec, exec, s[0:1]
                                        ; implicit-def: $vgpr51
                                        ; implicit-def: $vgpr52_vgpr53
                                        ; implicit-def: $vgpr54_vgpr55
	s_and_saveexec_b64 s[0:1], s[6:7]
	s_xor_b64 s[6:7], exec, s[0:1]
	s_cbranch_execz .LBB5_97
; %bb.96:
	s_mov_b32 s0, 0
	s_mov_b32 s1, 0x7b000000
	s_movk_i32 s8, 0xff80
	v_and_b32_e32 v51, 0x7fffffff, v23
	v_ldexp_f64 v[52:53], |v[22:23]|, s8
	v_cmp_ge_f64_e64 vcc, |v[22:23]|, s[0:1]
	s_mov_b32 s0, 0
	s_mov_b32 s1, 0x7ff00000
	v_cndmask_b32_e32 v53, v51, v53, vcc
	v_cndmask_b32_e32 v52, v22, v52, vcc
	v_mul_f64 v[70:71], v[68:69], v[52:53]
	v_mul_f64 v[54:55], v[66:67], v[52:53]
	v_fma_f64 v[68:69], v[68:69], v[52:53], -v[70:71]
	v_add_f64 v[80:81], v[54:55], v[68:69]
	v_add_f64 v[82:83], v[70:71], v[80:81]
	v_ldexp_f64 v[84:85], v[82:83], -2
	v_fract_f64_e32 v[86:87], v[84:85]
	v_cmp_neq_f64_e64 vcc, |v[84:85]|, s[0:1]
	v_add_f64 v[70:71], v[82:83], -v[70:71]
	v_add_f64 v[70:71], v[80:81], -v[70:71]
	v_cndmask_b32_e32 v85, 0, v87, vcc
	v_cndmask_b32_e32 v84, 0, v86, vcc
	v_add_f64 v[86:87], v[80:81], -v[54:55]
	v_add_f64 v[68:69], v[68:69], -v[86:87]
	;; [unrolled: 1-line block ×4, first 2 shown]
	v_fma_f64 v[54:55], v[66:67], v[52:53], -v[54:55]
	v_mul_f64 v[66:67], v[64:65], v[52:53]
	v_add_f64 v[68:69], v[68:69], v[86:87]
	v_add_f64 v[86:87], v[66:67], v[54:55]
	;; [unrolled: 1-line block ×3, first 2 shown]
	v_add_f64 v[82:83], v[98:99], -v[86:87]
	v_add_f64 v[68:69], v[68:69], -v[82:83]
	;; [unrolled: 1-line block ×4, first 2 shown]
	v_add_f64 v[68:69], v[68:69], v[82:83]
	v_add_f64 v[82:83], v[86:87], -v[66:67]
	v_add_f64 v[54:55], v[54:55], -v[82:83]
	;; [unrolled: 1-line block ×4, first 2 shown]
	v_add_f64 v[54:55], v[54:55], v[82:83]
	v_add_f64 v[54:55], v[54:55], v[68:69]
	v_fma_f64 v[52:53], v[64:65], v[52:53], -v[66:67]
	v_add_f64 v[80:81], v[70:71], v[98:99]
	v_add_f64 v[52:53], v[52:53], v[54:55]
	v_ldexp_f64 v[54:55], v[84:85], 2
	v_add_f64 v[64:65], v[80:81], v[54:55]
	v_mov_b32_e32 v51, 0x40100000
	v_cmp_gt_f64_e32 vcc, 0, v[64:65]
	v_mov_b32_e32 v96, 0
	v_add_f64 v[70:71], v[80:81], -v[70:71]
	v_cndmask_b32_e32 v97, 0, v51, vcc
	v_add_f64 v[54:55], v[54:55], v[96:97]
	v_add_f64 v[64:65], v[80:81], v[54:55]
	v_cvt_i32_f64_e32 v51, v[64:65]
	v_cvt_f64_i32_e32 v[64:65], v51
	v_add_f64 v[54:55], v[54:55], -v[64:65]
	v_add_f64 v[64:65], v[80:81], v[54:55]
	v_add_f64 v[70:71], v[98:99], -v[70:71]
	v_add_f64 v[54:55], v[64:65], -v[54:55]
	v_add_f64 v[52:53], v[70:71], v[52:53]
	v_add_f64 v[54:55], v[80:81], -v[54:55]
	v_add_f64 v[52:53], v[52:53], v[54:55]
	v_cmp_le_f64_e32 vcc, 0.5, v[64:65]
	v_mov_b32_e32 v54, 0x3ff00000
	s_mov_b32 s8, 0x33145c07
	v_cndmask_b32_e32 v97, 0, v54, vcc
	v_addc_co_u32_e64 v51, s[0:1], 0, v51, vcc
	v_add_f64 v[54:55], v[64:65], -v[96:97]
	v_add_f64 v[64:65], v[54:55], v[52:53]
	s_mov_b32 s0, 0x54442d18
	v_add_f64 v[54:55], v[64:65], -v[54:55]
	s_mov_b32 s1, 0x3ff921fb
	v_add_f64 v[52:53], v[52:53], -v[54:55]
	v_mul_f64 v[54:55], v[64:65], s[0:1]
	v_fma_f64 v[66:67], v[64:65], s[0:1], -v[54:55]
	s_mov_b32 s9, 0x3c91a626
	v_fmac_f64_e32 v[66:67], s[8:9], v[64:65]
	v_fmac_f64_e32 v[66:67], s[0:1], v[52:53]
	v_add_f64 v[52:53], v[54:55], v[66:67]
	v_add_f64 v[54:55], v[52:53], -v[54:55]
	v_add_f64 v[54:55], v[66:67], -v[54:55]
	s_andn2_saveexec_b64 s[0:1], s[6:7]
	s_cbranch_execnz .LBB5_98
	s_branch .LBB5_99
.LBB5_97:
	s_andn2_saveexec_b64 s[0:1], s[6:7]
	s_cbranch_execz .LBB5_99
.LBB5_98:
	s_mov_b32 s6, 0x6dc9c883
	s_mov_b32 s7, 0x3fe45f30
	v_mul_f64 v[52:53], |v[22:23]|, s[6:7]
	s_mov_b32 s6, 0x54442d18
	v_rndne_f64_e32 v[64:65], v[52:53]
	s_mov_b32 s7, 0xbff921fb
	v_fma_f64 v[52:53], v[64:65], s[6:7], |v[22:23]|
	s_mov_b32 s7, 0xbc91a626
	s_mov_b32 s6, 0x33145c00
	v_mul_f64 v[66:67], v[64:65], s[6:7]
	v_add_f64 v[70:71], v[52:53], v[66:67]
	v_fma_f64 v[54:55], s[6:7], v[64:65], v[52:53]
	s_mov_b32 s7, 0x3c91a626
	v_add_f64 v[52:53], v[52:53], -v[70:71]
	v_fma_f64 v[68:69], s[6:7], v[64:65], v[66:67]
	v_add_f64 v[52:53], v[52:53], v[66:67]
	v_add_f64 v[66:67], v[70:71], -v[54:55]
	v_add_f64 v[52:53], v[66:67], v[52:53]
	s_mov_b32 s6, 0x252049c0
	v_add_f64 v[66:67], v[52:53], -v[68:69]
	s_mov_b32 s7, 0xb97b839a
	v_fmac_f64_e32 v[66:67], s[6:7], v[64:65]
	v_add_f64 v[52:53], v[54:55], v[66:67]
	v_add_f64 v[54:55], v[52:53], -v[54:55]
	v_add_f64 v[54:55], v[66:67], -v[54:55]
	v_cvt_i32_f64_e32 v51, v[64:65]
.LBB5_99:
	s_or_b64 exec, exec, s[0:1]
	s_mov_b32 s0, 0
	v_mul_f64 v[64:65], v[36:37], v[36:37]
	s_mov_b32 s1, 0x40390000
	v_div_scale_f64 v[66:67], s[6:7], v[64:65], v[64:65], s[0:1]
	v_rcp_f64_e32 v[68:69], v[66:67]
	v_mov_b32_e32 v82, 0xb1759c7f
	v_mov_b32_e32 v83, 0x408ac370
	;; [unrolled: 1-line block ×3, first 2 shown]
	v_fma_f64 v[70:71], -v[66:67], v[68:69], 1.0
	v_fmac_f64_e32 v[68:69], v[68:69], v[70:71]
	v_fma_f64 v[70:71], -v[66:67], v[68:69], 1.0
	v_fmac_f64_e32 v[68:69], v[68:69], v[70:71]
	v_div_scale_f64 v[70:71], vcc, s[0:1], v[64:65], s[0:1]
	v_mul_f64 v[80:81], v[70:71], v[68:69]
	v_fma_f64 v[66:67], -v[66:67], v[80:81], v[70:71]
	v_mov_b32_e32 v70, 0xab5454e3
	s_nop 0
	v_div_fmas_f64 v[66:67], v[66:67], v[68:69], v[80:81]
	v_div_fixup_f64 v[64:65], v[66:67], v[64:65], s[0:1]
	v_mov_b32_e32 v66, 0x983b6b27
	v_mov_b32_e32 v67, 0x3f4a1d30
	v_fmac_f64_e32 v[66:67], 0, v[64:65]
	v_mov_b32_e32 v68, 0xb35dd1cf
	v_mov_b32_e32 v69, 0x3fb534b0
	v_fmac_f64_e32 v[68:69], v[64:65], v[66:67]
	;; [unrolled: 3-line block ×7, first 2 shown]
	v_mov_b32_e32 v71, 0x3fb5ebc5
	v_fmac_f64_e32 v[70:71], v[64:65], v[66:67]
	v_mov_b32_e32 v66, 0xc9b3069f
	v_mov_b32_e32 v67, 0x3ff40e72
	v_fmac_f64_e32 v[66:67], v[64:65], v[70:71]
	v_mov_b32_e32 v70, 0xe68162bb
	;; [unrolled: 3-line block ×4, first 2 shown]
	v_mov_b32_e32 v71, 0x40153965
	v_fmac_f64_e32 v[70:71], v[64:65], v[66:67]
	v_fma_f64 v[66:67], v[64:65], v[70:71], 1.0
	v_mov_b32_e32 v70, 0x38a5384a
	v_mov_b32_e32 v71, 0xbf874742
	v_fmac_f64_e32 v[70:71], 0, v[64:65]
	v_mov_b32_e32 v80, 0x3a321174
	v_mov_b32_e32 v81, 0xbff4853b
	v_fmac_f64_e32 v[80:81], v[64:65], v[70:71]
	;; [unrolled: 3-line block ×9, first 2 shown]
	v_fmac_f64_e32 v[82:83], v[64:65], v[70:71]
	v_mov_b32_e32 v70, 0xbd748cb5
	v_mov_b32_e32 v71, 0x40ae54cd
	v_fmac_f64_e32 v[70:71], v[64:65], v[82:83]
	v_mov_b32_e32 v82, 0xbdefd63e
	v_mov_b32_e32 v83, 0x40bc4877
	;; [unrolled: 3-line block ×4, first 2 shown]
	v_fma_f64 v[68:69], v[64:65], v[68:69], 1.0
	v_fmac_f64_e32 v[82:83], v[64:65], v[70:71]
	v_div_scale_f64 v[70:71], s[0:1], v[66:67], v[66:67], v[68:69]
	v_rcp_f64_e32 v[84:85], v[70:71]
	v_mov_b32_e32 v87, 0x406e402f
	v_fmac_f64_e32 v[86:87], v[64:65], v[82:83]
	s_mov_b32 s0, 0x9037ab78
	v_fma_f64 v[64:65], -v[70:71], v[84:85], 1.0
	v_fmac_f64_e32 v[84:85], v[84:85], v[64:65]
	v_fma_f64 v[64:65], -v[70:71], v[84:85], 1.0
	v_fmac_f64_e32 v[84:85], v[84:85], v[64:65]
	v_div_scale_f64 v[64:65], vcc, v[68:69], v[66:67], v[68:69]
	v_mul_f64 v[82:83], v[64:65], v[84:85]
	v_fma_f64 v[64:65], -v[70:71], v[82:83], v[64:65]
	s_mov_b32 s1, 0x3e21eeb6
	s_nop 0
	v_div_fmas_f64 v[64:65], v[64:65], v[84:85], v[82:83]
	s_mov_b32 s6, 0x46cc5e42
	v_div_fixup_f64 v[64:65], v[64:65], v[66:67], v[68:69]
	v_mul_f64 v[66:67], v[24:25], v[24:25]
	s_mov_b32 s7, 0xbda907db
	v_mov_b64_e32 v[84:85], s[0:1]
	s_mov_b32 s8, 0xa17f65f6
	v_mul_f64 v[68:69], v[66:67], 0.5
	v_fma_f64 v[96:97], s[6:7], v[66:67], v[84:85]
	s_mov_b32 s9, 0xbe927e4f
	s_mov_b32 s10, 0x19f4ec90
	v_add_f64 v[70:71], -v[68:69], 1.0
	v_fma_f64 v[96:97], v[66:67], v[96:97], s[8:9]
	s_mov_b32 s11, 0x3efa01a0
	s_mov_b32 s12, 0x16c16967
	v_add_f64 v[82:83], -v[70:71], 1.0
	v_fma_f64 v[96:97], v[66:67], v[96:97], s[10:11]
	s_mov_b32 s13, 0xbf56c16c
	s_mov_b32 s14, 0x55555555
	v_add_f64 v[68:69], v[82:83], -v[68:69]
	v_fma_f64 v[96:97], v[66:67], v[96:97], s[12:13]
	s_mov_b32 s15, 0x3fa55555
	v_mul_f64 v[82:83], v[66:67], v[66:67]
	v_fma_f64 v[96:97], v[66:67], v[96:97], s[14:15]
	v_fma_f64 v[68:69], v[24:25], -v[30:31], v[68:69]
	s_mov_b32 s0, 0xb42fdfa7
	v_fmac_f64_e32 v[68:69], v[82:83], v[96:97]
	s_mov_b32 s1, 0xbe5ae600
	s_mov_b32 s16, 0xf9a43bb8
	v_add_f64 v[68:69], v[70:71], v[68:69]
	s_mov_b32 s17, 0x3de5e0b2
	v_mov_b64_e32 v[70:71], s[0:1]
	s_mov_b32 s18, 0x796cde01
	v_fma_f64 v[82:83], s[16:17], v[66:67], v[70:71]
	s_mov_b32 s19, 0x3ec71de3
	s_mov_b32 s20, 0x19e83e5c
	v_fma_f64 v[82:83], v[66:67], v[82:83], s[18:19]
	s_mov_b32 s21, 0xbf2a01a0
	;; [unrolled: 3-line block ×3, first 2 shown]
	v_fma_f64 v[82:83], v[66:67], v[82:83], s[22:23]
	v_mul_f64 v[96:97], v[24:25], -v[66:67]
	v_mul_f64 v[98:99], v[30:31], 0.5
	v_fmac_f64_e32 v[98:99], v[96:97], v[82:83]
	v_fma_f64 v[30:31], v[66:67], v[98:99], -v[30:31]
	s_mov_b32 s25, 0xbfc55555
	s_mov_b32 s24, s14
	v_fmac_f64_e32 v[30:31], s[24:25], v[96:97]
	v_add_f64 v[24:25], v[24:25], -v[30:31]
	v_and_b32_e32 v30, 1, v49
	v_cmp_eq_u32_e32 vcc, 0, v30
	s_mov_b32 s26, 0
	s_mov_b32 s27, 0x40140000
	v_cndmask_b32_e32 v66, v68, v24, vcc
	v_cndmask_b32_e32 v24, v69, v25, vcc
	v_lshlrev_b32_e32 v25, 30, v49
	v_xor_b32_e32 v25, v25, v23
	v_and_b32_e32 v25, 0x80000000, v25
	v_xor_b32_e32 v49, v24, v25
	v_div_scale_f64 v[24:25], s[0:1], v[36:37], v[36:37], s[26:27]
	v_rcp_f64_e32 v[30:31], v[24:25]
	s_movk_i32 s28, 0x1f8
	v_cmp_class_f64_e64 s[0:1], v[22:23], s28
	v_mov_b32_e32 v96, 0x7ff80000
	s_nop 0
	v_cndmask_b32_e64 v22, 0, v66, s[0:1]
	v_fma_f64 v[66:67], -v[24:25], v[30:31], 1.0
	v_fmac_f64_e32 v[30:31], v[30:31], v[66:67]
	v_fma_f64 v[66:67], -v[24:25], v[30:31], 1.0
	v_fmac_f64_e32 v[30:31], v[30:31], v[66:67]
	v_div_scale_f64 v[66:67], vcc, s[26:27], v[36:37], s[26:27]
	v_mul_f64 v[68:69], v[66:67], v[30:31]
	v_fma_f64 v[24:25], -v[24:25], v[68:69], v[66:67]
	v_div_scale_f64 v[66:67], s[28:29], v[86:87], v[86:87], v[80:81]
	v_rcp_f64_e32 v[82:83], v[66:67]
	v_div_fmas_f64 v[24:25], v[24:25], v[30:31], v[68:69]
	v_div_fixup_f64 v[24:25], v[24:25], v[36:37], s[26:27]
	v_cndmask_b32_e64 v23, v96, v49, s[0:1]
	v_fma_f64 v[30:31], -v[66:67], v[82:83], 1.0
	v_fmac_f64_e32 v[82:83], v[82:83], v[30:31]
	v_fma_f64 v[30:31], -v[66:67], v[82:83], 1.0
	v_fmac_f64_e32 v[82:83], v[82:83], v[30:31]
	v_div_scale_f64 v[30:31], vcc, v[80:81], v[86:87], v[80:81]
	v_mul_f64 v[68:69], v[30:31], v[82:83]
	v_fma_f64 v[30:31], -v[66:67], v[68:69], v[30:31]
	v_and_b32_e32 v49, 1, v51
	s_nop 0
	v_div_fmas_f64 v[30:31], v[30:31], v[82:83], v[68:69]
	v_div_fixup_f64 v[30:31], v[30:31], v[86:87], v[80:81]
	v_mul_f64 v[24:25], v[24:25], v[30:31]
	v_mul_f64 v[30:31], v[52:53], v[52:53]
	v_mul_f64 v[66:67], v[30:31], 0.5
	v_fmac_f64_e32 v[84:85], s[6:7], v[30:31]
	v_add_f64 v[68:69], -v[66:67], 1.0
	v_fma_f64 v[82:83], v[30:31], v[84:85], s[8:9]
	v_add_f64 v[80:81], -v[68:69], 1.0
	v_fma_f64 v[82:83], v[30:31], v[82:83], s[10:11]
	v_add_f64 v[66:67], v[80:81], -v[66:67]
	v_fma_f64 v[82:83], v[30:31], v[82:83], s[12:13]
	v_mul_f64 v[80:81], v[30:31], v[30:31]
	v_fma_f64 v[82:83], v[30:31], v[82:83], s[14:15]
	v_fma_f64 v[66:67], v[52:53], -v[54:55], v[66:67]
	v_fmac_f64_e32 v[66:67], v[80:81], v[82:83]
	v_fmac_f64_e32 v[70:71], s[16:17], v[30:31]
	v_add_f64 v[66:67], v[68:69], v[66:67]
	v_fma_f64 v[68:69], v[30:31], v[70:71], s[18:19]
	v_fma_f64 v[68:69], v[30:31], v[68:69], s[20:21]
	;; [unrolled: 1-line block ×3, first 2 shown]
	v_mul_f64 v[70:71], v[52:53], -v[30:31]
	v_mul_f64 v[80:81], v[54:55], 0.5
	v_fmac_f64_e32 v[80:81], v[70:71], v[68:69]
	v_fma_f64 v[30:31], v[30:31], v[80:81], -v[54:55]
	v_fmac_f64_e32 v[30:31], s[24:25], v[70:71]
	v_add_f64 v[30:31], v[52:53], -v[30:31]
	v_xor_b32_e32 v31, 0x80000000, v31
	v_cmp_eq_u32_e32 vcc, 0, v49
	v_lshlrev_b32_e32 v49, 30, v51
	v_and_b32_e32 v49, 0x80000000, v49
	v_cndmask_b32_e32 v31, v31, v67, vcc
	v_cndmask_b32_e32 v30, v30, v66, vcc
	v_xor_b32_e32 v31, v31, v49
	v_cndmask_b32_e64 v30, 0, v30, s[0:1]
	v_cndmask_b32_e64 v31, v96, v31, s[0:1]
	s_mov_b32 s0, 0
	s_brev_b32 s1, 8
	v_mul_f64 v[24:25], v[24:25], v[30:31]
	v_cmp_gt_f64_e32 vcc, s[0:1], v[36:37]
	v_fmac_f64_e32 v[24:25], v[64:65], v[22:23]
	s_mov_b32 s0, 0x33d43651
	v_cndmask_b32_e64 v22, 0, 1, vcc
	v_lshlrev_b32_e32 v22, 8, v22
	v_ldexp_f64 v[22:23], v[36:37], v22
	v_rsq_f64_e32 v[30:31], v[22:23]
	s_mov_b32 s1, 0x3fe98845
	v_mul_f64 v[24:25], v[24:25], s[0:1]
	v_mul_f64 v[36:37], v[22:23], v[30:31]
	v_mul_f64 v[30:31], v[30:31], 0.5
	v_fma_f64 v[52:53], -v[30:31], v[36:37], 0.5
	v_fmac_f64_e32 v[36:37], v[36:37], v[52:53]
	v_fma_f64 v[54:55], -v[36:37], v[36:37], v[22:23]
	v_fmac_f64_e32 v[30:31], v[30:31], v[52:53]
	v_fmac_f64_e32 v[36:37], v[54:55], v[30:31]
	v_fma_f64 v[52:53], -v[36:37], v[36:37], v[22:23]
	v_fmac_f64_e32 v[36:37], v[52:53], v[30:31]
	v_mov_b32_e32 v30, 0xffffff80
	v_cndmask_b32_e32 v30, 0, v30, vcc
	v_ldexp_f64 v[30:31], v[36:37], v30
	v_mov_b32_e32 v36, 0x260
	v_cmp_class_f64_e32 vcc, v[22:23], v36
	s_nop 1
	v_cndmask_b32_e32 v23, v31, v23, vcc
	v_cndmask_b32_e32 v22, v30, v22, vcc
	v_div_scale_f64 v[30:31], s[0:1], v[22:23], v[22:23], v[24:25]
	v_rcp_f64_e32 v[36:37], v[30:31]
	s_nop 0
	v_fma_f64 v[52:53], -v[30:31], v[36:37], 1.0
	v_fmac_f64_e32 v[36:37], v[36:37], v[52:53]
	v_fma_f64 v[52:53], -v[30:31], v[36:37], 1.0
	v_fmac_f64_e32 v[36:37], v[36:37], v[52:53]
	v_div_scale_f64 v[52:53], vcc, v[24:25], v[22:23], v[24:25]
	v_mul_f64 v[54:55], v[52:53], v[36:37]
	v_fma_f64 v[30:31], -v[30:31], v[54:55], v[52:53]
	s_nop 1
	v_div_fmas_f64 v[30:31], v[30:31], v[36:37], v[54:55]
	v_div_fixup_f64 v[22:23], v[30:31], v[22:23], v[24:25]
.LBB5_100:
	s_or_b64 exec, exec, s[4:5]
	s_mov_b32 s0, 0
	s_mov_b32 s1, 0x40140000
	v_cmp_ge_f64_e32 vcc, s[0:1], v[38:39]
	s_and_saveexec_b64 s[0:1], vcc
	s_xor_b64 s[0:1], exec, s[0:1]
	s_cbranch_execz .LBB5_110
; %bb.101:
	v_mov_b32_e32 v24, 0
	v_cmp_neq_f64_e32 vcc, 0, v[38:39]
	v_mov_b32_e32 v25, 0xfff00000
	s_and_saveexec_b64 s[4:5], vcc
	s_cbranch_execz .LBB5_109
; %bb.102:
	v_mov_b32_e32 v24, 0
	v_cmp_ngt_f64_e32 vcc, 0, v[38:39]
	v_mov_b32_e32 v25, 0x7ff80000
	s_and_saveexec_b64 s[6:7], vcc
	s_cbranch_execz .LBB5_108
; %bb.103:
	s_mov_b32 s8, 0x88e368f1
	v_mul_f64 v[24:25], v[38:39], v[38:39]
	s_mov_b32 s9, 0x3ee4f8b5
	v_mul_f64 v[36:37], v[24:25], 0
	v_cmp_ngt_f64_e32 vcc, s[8:9], v[38:39]
                                        ; implicit-def: $vgpr30_vgpr31
	s_and_saveexec_b64 s[8:9], vcc
	s_xor_b64 s[8:9], exec, s[8:9]
	s_cbranch_execz .LBB5_105
; %bb.104:
	s_mov_b32 s10, 0xad1c8325
	s_mov_b32 s11, 0xc1f1dc53
	v_add_f64 v[30:31], v[36:37], s[10:11]
	v_mov_b32_e32 v52, 0xc772990d
	v_mov_b32_e32 v53, 0x427c7751
	s_mov_b32 s10, 0xa696b78c
	v_fmac_f64_e32 v[52:53], v[24:25], v[30:31]
	v_mov_b32_e32 v30, 0xe0d900f7
	v_mov_b32_e32 v31, 0xc2ec5614
	s_mov_b32 s11, 0x407f3902
	v_fmac_f64_e32 v[30:31], v[24:25], v[52:53]
	v_add_f64 v[52:53], v[36:37], s[10:11]
	v_mov_b32_e32 v54, 0x36a21a67
	v_mov_b32_e32 v55, 0x410536cb
	v_fmac_f64_e32 v[54:55], v[24:25], v[52:53]
	v_mov_b32_e32 v52, 0x2eac0634
	v_mov_b32_e32 v53, 0x41871934
	v_fmac_f64_e32 v[52:53], v[24:25], v[54:55]
	;; [unrolled: 3-line block ×6, first 2 shown]
	v_mov_b32_e32 v54, 0xc7b662cc
	v_mov_b32_e32 v55, 0x43b7be34
	s_mov_b32 s10, 0x80462bbb
	v_fmac_f64_e32 v[54:55], v[24:25], v[52:53]
	v_mov_b32_e32 v52, 0x69ff5fb4
	v_mov_b32_e32 v53, 0x43413ef8
	s_mov_b32 s11, 0xc01721fb
	v_fmac_f64_e32 v[52:53], v[24:25], v[30:31]
	v_add_f64 v[30:31], v[24:25], s[10:11]
	s_mov_b32 s10, 0xa621dd6f
	s_mov_b32 s11, 0xc03e78a4
	v_add_f64 v[64:65], v[24:25], s[10:11]
	v_mul_f64 v[30:31], v[30:31], v[64:65]
	v_mul_f64 v[30:31], v[30:31], v[52:53]
	v_div_scale_f64 v[52:53], s[10:11], v[54:55], v[54:55], v[30:31]
	v_rcp_f64_e32 v[64:65], v[52:53]
	s_nop 0
	v_fma_f64 v[66:67], -v[52:53], v[64:65], 1.0
	v_fmac_f64_e32 v[64:65], v[64:65], v[66:67]
	v_fma_f64 v[66:67], -v[52:53], v[64:65], 1.0
	v_fmac_f64_e32 v[64:65], v[64:65], v[66:67]
	v_div_scale_f64 v[66:67], vcc, v[30:31], v[54:55], v[30:31]
	v_mul_f64 v[68:69], v[66:67], v[64:65]
	v_fma_f64 v[52:53], -v[52:53], v[68:69], v[66:67]
	s_nop 1
	v_div_fmas_f64 v[52:53], v[52:53], v[64:65], v[68:69]
	v_div_fixup_f64 v[30:31], v[52:53], v[54:55], v[30:31]
.LBB5_105:
	s_andn2_saveexec_b64 s[8:9], s[8:9]
; %bb.106:
	s_mov_b32 s10, 0
	s_mov_b32 s11, 0xbfd00000
	v_fma_f64 v[30:31], v[24:25], s[10:11], 1.0
; %bb.107:
	s_or_b64 exec, exec, s[8:9]
	s_mov_b32 s8, 0xe896898f
	s_mov_b32 s9, 0x40ce7437
	v_add_f64 v[52:53], v[36:37], s[8:9]
	v_mov_b32_e32 v54, 0x32e48896
	v_mov_b32_e32 v55, 0xc16bf81f
	v_fmac_f64_e32 v[54:55], v[24:25], v[52:53]
	v_mov_b32_e32 v52, 0xf0284cdd
	v_mov_b32_e32 v53, 0x41f43f78
	v_fmac_f64_e32 v[52:53], v[24:25], v[54:55]
	;; [unrolled: 3-line block ×4, first 2 shown]
	v_mov_b32_e32 v54, 0xd1d8cc02
	v_mov_b32_e32 v55, 0xc328a121
	s_mov_b32 s8, 0x576dfcb6
	v_fmac_f64_e32 v[54:55], v[24:25], v[52:53]
	v_mov_b32_e32 v52, 0x660b4003
	v_mov_b32_e32 v53, 0x4363a94b
	s_mov_b32 s9, 0x40904522
	v_fmac_f64_e32 v[52:53], v[24:25], v[54:55]
	v_add_f64 v[36:37], v[36:37], s[8:9]
	v_mov_b32_e32 v54, 0xa907bc0c
	v_mov_b32_e32 v55, 0x41231b76
	v_fmac_f64_e32 v[54:55], v[24:25], v[36:37]
	v_mov_b32_e32 v36, 0x5164d101
	v_mov_b32_e32 v37, 0x41b00763
	v_fmac_f64_e32 v[36:37], v[24:25], v[54:55]
	;; [unrolled: 3-line block ×7, first 2 shown]
	v_div_scale_f64 v[24:25], s[8:9], v[36:37], v[36:37], v[54:55]
	v_rcp_f64_e32 v[52:53], v[24:25]
	s_mov_b32 s8, 0x55555555
	s_mov_b32 s9, 0x3fe55555
	v_frexp_exp_i32_f64_e32 v49, v[38:39]
	v_fma_f64 v[64:65], -v[24:25], v[52:53], 1.0
	v_fmac_f64_e32 v[52:53], v[52:53], v[64:65]
	v_fma_f64 v[64:65], -v[24:25], v[52:53], 1.0
	v_fmac_f64_e32 v[52:53], v[52:53], v[64:65]
	v_div_scale_f64 v[64:65], vcc, v[54:55], v[36:37], v[54:55]
	v_mul_f64 v[66:67], v[64:65], v[52:53]
	v_fma_f64 v[24:25], -v[24:25], v[66:67], v[64:65]
	s_nop 1
	v_div_fmas_f64 v[24:25], v[24:25], v[52:53], v[66:67]
	v_div_fixup_f64 v[24:25], v[24:25], v[36:37], v[54:55]
	v_frexp_mant_f64_e32 v[36:37], v[38:39]
	v_mov_b32_e32 v38, 0x3ff00000
	v_cmp_gt_f64_e32 vcc, s[8:9], v[36:37]
	s_mov_b32 s8, 0xbf559e2b
	s_mov_b32 s9, 0x3fc3ab76
	v_cndmask_b32_e64 v39, v38, 2.0, vcc
	v_mov_b32_e32 v38, 0
	v_mul_f64 v[36:37], v[36:37], v[38:39]
	v_add_f64 v[38:39], v[36:37], 1.0
	v_rcp_f64_e32 v[52:53], v[38:39]
	v_add_f64 v[64:65], v[38:39], -1.0
	v_add_f64 v[54:55], v[36:37], -1.0
	v_add_f64 v[36:37], v[36:37], -v[64:65]
	v_fma_f64 v[64:65], -v[38:39], v[52:53], 1.0
	v_fmac_f64_e32 v[52:53], v[64:65], v[52:53]
	v_fma_f64 v[64:65], -v[38:39], v[52:53], 1.0
	v_fmac_f64_e32 v[52:53], v[64:65], v[52:53]
	v_mul_f64 v[64:65], v[54:55], v[52:53]
	v_mul_f64 v[66:67], v[38:39], v[64:65]
	v_fma_f64 v[38:39], v[64:65], v[38:39], -v[66:67]
	v_fmac_f64_e32 v[38:39], v[64:65], v[36:37]
	v_add_f64 v[36:37], v[66:67], v[38:39]
	v_add_f64 v[68:69], v[54:55], -v[36:37]
	v_add_f64 v[66:67], v[36:37], -v[66:67]
	;; [unrolled: 1-line block ×5, first 2 shown]
	v_add_f64 v[36:37], v[38:39], v[36:37]
	v_add_f64 v[36:37], v[68:69], v[36:37]
	v_mul_f64 v[36:37], v[52:53], v[36:37]
	v_add_f64 v[38:39], v[64:65], v[36:37]
	v_add_f64 v[52:53], v[38:39], -v[64:65]
	v_add_f64 v[36:37], v[36:37], -v[52:53]
	v_mul_f64 v[52:53], v[38:39], v[38:39]
	v_mov_b32_e32 v54, 0x6b47b09a
	v_mov_b32_e32 v55, 0x3fc38538
	v_fmac_f64_e32 v[54:55], s[8:9], v[52:53]
	v_mov_b32_e32 v64, 0xd7f4df2e
	v_mov_b32_e32 v65, 0x3fc7474d
	v_fmac_f64_e32 v[64:65], v[52:53], v[54:55]
	;; [unrolled: 3-line block ×6, first 2 shown]
	v_ldexp_f64 v[54:55], v[38:39], 1
	v_mul_f64 v[38:39], v[38:39], v[52:53]
	v_mul_f64 v[38:39], v[38:39], v[64:65]
	v_add_f64 v[52:53], v[54:55], v[38:39]
	v_add_f64 v[54:55], v[52:53], -v[54:55]
	v_ldexp_f64 v[36:37], v[36:37], 1
	v_add_f64 v[38:39], v[38:39], -v[54:55]
	v_add_f64 v[36:37], v[36:37], v[38:39]
	v_add_f64 v[38:39], v[52:53], v[36:37]
	v_subbrev_co_u32_e32 v49, vcc, 0, v49, vcc
	v_add_f64 v[52:53], v[38:39], -v[52:53]
	s_mov_b32 s8, 0xfefa39ef
	v_add_f64 v[36:37], v[36:37], -v[52:53]
	v_cvt_f64_i32_e32 v[52:53], v49
	s_mov_b32 s9, 0x3fe62e42
	v_mul_f64 v[54:55], v[52:53], s[8:9]
	v_fma_f64 v[64:65], v[52:53], s[8:9], -v[54:55]
	s_mov_b32 s8, 0x3b39803f
	s_mov_b32 s9, 0x3c7abc9e
	v_fmac_f64_e32 v[64:65], s[8:9], v[52:53]
	v_add_f64 v[52:53], v[54:55], v[64:65]
	v_add_f64 v[54:55], v[52:53], -v[54:55]
	v_add_f64 v[54:55], v[64:65], -v[54:55]
	v_add_f64 v[64:65], v[52:53], v[38:39]
	v_add_f64 v[66:67], v[64:65], -v[52:53]
	v_add_f64 v[68:69], v[64:65], -v[66:67]
	;; [unrolled: 1-line block ×4, first 2 shown]
	v_add_f64 v[38:39], v[38:39], v[52:53]
	v_add_f64 v[52:53], v[54:55], v[36:37]
	v_add_f64 v[66:67], v[52:53], -v[54:55]
	v_add_f64 v[68:69], v[52:53], -v[66:67]
	v_add_f64 v[38:39], v[52:53], v[38:39]
	v_add_f64 v[54:55], v[54:55], -v[68:69]
	v_add_f64 v[36:37], v[36:37], -v[66:67]
	v_add_f64 v[52:53], v[64:65], v[38:39]
	v_add_f64 v[36:37], v[36:37], v[54:55]
	v_add_f64 v[54:55], v[52:53], -v[64:65]
	v_add_f64 v[38:39], v[38:39], -v[54:55]
	v_add_f64 v[36:37], v[36:37], v[38:39]
	s_mov_b32 s8, 0x6dc9c883
	v_add_f64 v[36:37], v[52:53], v[36:37]
	s_mov_b32 s9, 0x3fe45f30
	v_mul_f64 v[36:37], v[36:37], s[8:9]
	v_fmac_f64_e32 v[24:25], v[36:37], v[30:31]
.LBB5_108:
	s_or_b64 exec, exec, s[6:7]
.LBB5_109:
	s_or_b64 exec, exec, s[4:5]
                                        ; implicit-def: $vgpr38_vgpr39
.LBB5_110:
	s_andn2_saveexec_b64 s[4:5], s[0:1]
	s_cbranch_execz .LBB5_120
; %bb.111:
	s_mov_b32 s9, 0xbfe921fb
	s_mov_b32 s8, 0x54442d18
	;; [unrolled: 1-line block ×3, first 2 shown]
	v_add_f64 v[24:25], v[38:39], s[8:9]
	s_mov_b32 s1, 0x41d00000
	v_cmp_nlt_f64_e64 s[6:7], |v[24:25]|, s[0:1]
	v_trig_preop_f64 v[68:69], |v[24:25]|, 0
	v_trig_preop_f64 v[66:67], |v[24:25]|, 1
	;; [unrolled: 1-line block ×3, first 2 shown]
                                        ; implicit-def: $vgpr49
                                        ; implicit-def: $vgpr30_vgpr31
                                        ; implicit-def: $vgpr36_vgpr37
	s_and_saveexec_b64 s[0:1], s[6:7]
	s_xor_b64 s[10:11], exec, s[0:1]
	s_cbranch_execz .LBB5_113
; %bb.112:
	s_mov_b32 s0, 0
	s_mov_b32 s1, 0x7b000000
	s_movk_i32 s9, 0xff80
	v_and_b32_e32 v36, 0x7fffffff, v25
	v_ldexp_f64 v[30:31], |v[24:25]|, s9
	v_cmp_ge_f64_e64 vcc, |v[24:25]|, s[0:1]
	s_mov_b32 s0, 0
	s_mov_b32 s1, 0x7ff00000
	v_cndmask_b32_e32 v31, v36, v31, vcc
	v_cndmask_b32_e32 v30, v24, v30, vcc
	v_mul_f64 v[52:53], v[68:69], v[30:31]
	v_mul_f64 v[36:37], v[66:67], v[30:31]
	v_fma_f64 v[54:55], v[68:69], v[30:31], -v[52:53]
	v_add_f64 v[70:71], v[36:37], v[54:55]
	v_add_f64 v[80:81], v[52:53], v[70:71]
	v_ldexp_f64 v[82:83], v[80:81], -2
	v_fract_f64_e32 v[84:85], v[82:83]
	v_cmp_neq_f64_e64 vcc, |v[82:83]|, s[0:1]
	v_add_f64 v[52:53], v[80:81], -v[52:53]
	v_add_f64 v[52:53], v[70:71], -v[52:53]
	v_cndmask_b32_e32 v83, 0, v85, vcc
	v_cndmask_b32_e32 v82, 0, v84, vcc
	v_add_f64 v[84:85], v[70:71], -v[36:37]
	v_add_f64 v[54:55], v[54:55], -v[84:85]
	;; [unrolled: 1-line block ×4, first 2 shown]
	v_add_f64 v[54:55], v[54:55], v[84:85]
	v_fma_f64 v[36:37], v[66:67], v[30:31], -v[36:37]
	v_mul_f64 v[84:85], v[64:65], v[30:31]
	v_add_f64 v[96:97], v[84:85], v[36:37]
	v_add_f64 v[98:99], v[96:97], v[54:55]
	v_add_f64 v[80:81], v[98:99], -v[96:97]
	v_add_f64 v[54:55], v[54:55], -v[80:81]
	;; [unrolled: 1-line block ×4, first 2 shown]
	v_add_f64 v[54:55], v[54:55], v[80:81]
	v_add_f64 v[80:81], v[96:97], -v[84:85]
	v_add_f64 v[36:37], v[36:37], -v[80:81]
	;; [unrolled: 1-line block ×4, first 2 shown]
	v_add_f64 v[70:71], v[52:53], v[98:99]
	v_add_f64 v[36:37], v[36:37], v[80:81]
	v_add_f64 v[52:53], v[70:71], -v[52:53]
	v_add_f64 v[36:37], v[36:37], v[54:55]
	v_fma_f64 v[30:31], v[64:65], v[30:31], -v[84:85]
	v_add_f64 v[52:53], v[98:99], -v[52:53]
	v_add_f64 v[30:31], v[30:31], v[36:37]
	v_ldexp_f64 v[36:37], v[82:83], 2
	v_add_f64 v[30:31], v[52:53], v[30:31]
	v_add_f64 v[52:53], v[70:71], v[36:37]
	v_mov_b32_e32 v49, 0x40100000
	v_cmp_gt_f64_e32 vcc, 0, v[52:53]
	v_mov_b32_e32 v86, 0
	s_mov_b32 s9, 0x3ff921fb
	v_cndmask_b32_e32 v87, 0, v49, vcc
	v_add_f64 v[36:37], v[36:37], v[86:87]
	v_add_f64 v[52:53], v[70:71], v[36:37]
	v_cvt_i32_f64_e32 v49, v[52:53]
	v_cvt_f64_i32_e32 v[52:53], v49
	v_add_f64 v[36:37], v[36:37], -v[52:53]
	v_add_f64 v[52:53], v[70:71], v[36:37]
	v_add_f64 v[36:37], v[52:53], -v[36:37]
	v_add_f64 v[36:37], v[70:71], -v[36:37]
	v_add_f64 v[30:31], v[30:31], v[36:37]
	v_cmp_le_f64_e32 vcc, 0.5, v[52:53]
	v_mov_b32_e32 v36, 0x3ff00000
	s_nop 0
	v_cndmask_b32_e32 v87, 0, v36, vcc
	v_add_f64 v[36:37], v[52:53], -v[86:87]
	v_add_f64 v[52:53], v[36:37], v[30:31]
	v_addc_co_u32_e64 v49, s[0:1], 0, v49, vcc
	v_add_f64 v[36:37], v[52:53], -v[36:37]
	v_add_f64 v[30:31], v[30:31], -v[36:37]
	v_mul_f64 v[36:37], v[52:53], s[8:9]
	s_mov_b32 s0, 0x33145c07
	v_fma_f64 v[54:55], v[52:53], s[8:9], -v[36:37]
	s_mov_b32 s1, 0x3c91a626
	v_fmac_f64_e32 v[54:55], s[0:1], v[52:53]
	v_fmac_f64_e32 v[54:55], s[8:9], v[30:31]
	v_add_f64 v[30:31], v[36:37], v[54:55]
	v_add_f64 v[36:37], v[30:31], -v[36:37]
	v_add_f64 v[36:37], v[54:55], -v[36:37]
	s_andn2_saveexec_b64 s[0:1], s[10:11]
	s_cbranch_execz .LBB5_115
	s_branch .LBB5_114
.LBB5_113:
	s_andn2_saveexec_b64 s[0:1], s[10:11]
	s_cbranch_execz .LBB5_115
.LBB5_114:
	s_mov_b32 s8, 0x6dc9c883
	s_mov_b32 s9, 0x3fe45f30
	v_mul_f64 v[30:31], |v[24:25]|, s[8:9]
	s_mov_b32 s8, 0x54442d18
	v_rndne_f64_e32 v[52:53], v[30:31]
	s_mov_b32 s9, 0xbff921fb
	v_fma_f64 v[30:31], v[52:53], s[8:9], |v[24:25]|
	s_mov_b32 s9, 0xbc91a626
	s_mov_b32 s8, 0x33145c00
	v_mul_f64 v[54:55], v[52:53], s[8:9]
	v_add_f64 v[80:81], v[30:31], v[54:55]
	v_fma_f64 v[36:37], s[8:9], v[52:53], v[30:31]
	s_mov_b32 s9, 0x3c91a626
	v_add_f64 v[30:31], v[30:31], -v[80:81]
	v_fma_f64 v[70:71], s[8:9], v[52:53], v[54:55]
	v_add_f64 v[30:31], v[30:31], v[54:55]
	v_add_f64 v[54:55], v[80:81], -v[36:37]
	v_add_f64 v[30:31], v[54:55], v[30:31]
	s_mov_b32 s8, 0x252049c0
	v_add_f64 v[54:55], v[30:31], -v[70:71]
	s_mov_b32 s9, 0xb97b839a
	v_fmac_f64_e32 v[54:55], s[8:9], v[52:53]
	v_add_f64 v[30:31], v[36:37], v[54:55]
	v_add_f64 v[36:37], v[30:31], -v[36:37]
	v_add_f64 v[36:37], v[54:55], -v[36:37]
	v_cvt_i32_f64_e32 v49, v[52:53]
.LBB5_115:
	s_or_b64 exec, exec, s[0:1]
                                        ; implicit-def: $vgpr51
                                        ; implicit-def: $vgpr52_vgpr53
                                        ; implicit-def: $vgpr54_vgpr55
	s_and_saveexec_b64 s[0:1], s[6:7]
	s_xor_b64 s[6:7], exec, s[0:1]
	s_cbranch_execz .LBB5_117
; %bb.116:
	s_mov_b32 s0, 0
	s_mov_b32 s1, 0x7b000000
	s_movk_i32 s8, 0xff80
	v_and_b32_e32 v51, 0x7fffffff, v25
	v_ldexp_f64 v[52:53], |v[24:25]|, s8
	v_cmp_ge_f64_e64 vcc, |v[24:25]|, s[0:1]
	s_mov_b32 s0, 0
	s_mov_b32 s1, 0x7ff00000
	v_cndmask_b32_e32 v53, v51, v53, vcc
	v_cndmask_b32_e32 v52, v24, v52, vcc
	v_mul_f64 v[70:71], v[68:69], v[52:53]
	v_mul_f64 v[54:55], v[66:67], v[52:53]
	v_fma_f64 v[68:69], v[68:69], v[52:53], -v[70:71]
	v_add_f64 v[80:81], v[54:55], v[68:69]
	v_add_f64 v[82:83], v[70:71], v[80:81]
	v_ldexp_f64 v[84:85], v[82:83], -2
	v_fract_f64_e32 v[86:87], v[84:85]
	v_cmp_neq_f64_e64 vcc, |v[84:85]|, s[0:1]
	v_add_f64 v[70:71], v[82:83], -v[70:71]
	v_add_f64 v[70:71], v[80:81], -v[70:71]
	v_cndmask_b32_e32 v85, 0, v87, vcc
	v_cndmask_b32_e32 v84, 0, v86, vcc
	v_add_f64 v[86:87], v[80:81], -v[54:55]
	v_add_f64 v[68:69], v[68:69], -v[86:87]
	;; [unrolled: 1-line block ×4, first 2 shown]
	v_fma_f64 v[54:55], v[66:67], v[52:53], -v[54:55]
	v_mul_f64 v[66:67], v[64:65], v[52:53]
	v_add_f64 v[68:69], v[68:69], v[86:87]
	v_add_f64 v[86:87], v[66:67], v[54:55]
	;; [unrolled: 1-line block ×3, first 2 shown]
	v_add_f64 v[82:83], v[98:99], -v[86:87]
	v_add_f64 v[68:69], v[68:69], -v[82:83]
	;; [unrolled: 1-line block ×4, first 2 shown]
	v_add_f64 v[68:69], v[68:69], v[82:83]
	v_add_f64 v[82:83], v[86:87], -v[66:67]
	v_add_f64 v[54:55], v[54:55], -v[82:83]
	;; [unrolled: 1-line block ×4, first 2 shown]
	v_add_f64 v[54:55], v[54:55], v[82:83]
	v_add_f64 v[54:55], v[54:55], v[68:69]
	v_fma_f64 v[52:53], v[64:65], v[52:53], -v[66:67]
	v_add_f64 v[80:81], v[70:71], v[98:99]
	v_add_f64 v[52:53], v[52:53], v[54:55]
	v_ldexp_f64 v[54:55], v[84:85], 2
	v_add_f64 v[64:65], v[80:81], v[54:55]
	v_mov_b32_e32 v51, 0x40100000
	v_cmp_gt_f64_e32 vcc, 0, v[64:65]
	v_mov_b32_e32 v96, 0
	v_add_f64 v[70:71], v[80:81], -v[70:71]
	v_cndmask_b32_e32 v97, 0, v51, vcc
	v_add_f64 v[54:55], v[54:55], v[96:97]
	v_add_f64 v[64:65], v[80:81], v[54:55]
	v_cvt_i32_f64_e32 v51, v[64:65]
	v_cvt_f64_i32_e32 v[64:65], v51
	v_add_f64 v[54:55], v[54:55], -v[64:65]
	v_add_f64 v[64:65], v[80:81], v[54:55]
	v_add_f64 v[70:71], v[98:99], -v[70:71]
	v_add_f64 v[54:55], v[64:65], -v[54:55]
	v_add_f64 v[52:53], v[70:71], v[52:53]
	v_add_f64 v[54:55], v[80:81], -v[54:55]
	v_add_f64 v[52:53], v[52:53], v[54:55]
	v_cmp_le_f64_e32 vcc, 0.5, v[64:65]
	v_mov_b32_e32 v54, 0x3ff00000
	s_mov_b32 s8, 0x33145c07
	v_cndmask_b32_e32 v97, 0, v54, vcc
	v_addc_co_u32_e64 v51, s[0:1], 0, v51, vcc
	v_add_f64 v[54:55], v[64:65], -v[96:97]
	v_add_f64 v[64:65], v[54:55], v[52:53]
	s_mov_b32 s0, 0x54442d18
	v_add_f64 v[54:55], v[64:65], -v[54:55]
	s_mov_b32 s1, 0x3ff921fb
	v_add_f64 v[52:53], v[52:53], -v[54:55]
	v_mul_f64 v[54:55], v[64:65], s[0:1]
	v_fma_f64 v[66:67], v[64:65], s[0:1], -v[54:55]
	s_mov_b32 s9, 0x3c91a626
	v_fmac_f64_e32 v[66:67], s[8:9], v[64:65]
	v_fmac_f64_e32 v[66:67], s[0:1], v[52:53]
	v_add_f64 v[52:53], v[54:55], v[66:67]
	v_add_f64 v[54:55], v[52:53], -v[54:55]
	v_add_f64 v[54:55], v[66:67], -v[54:55]
	s_andn2_saveexec_b64 s[0:1], s[6:7]
	s_cbranch_execnz .LBB5_118
	s_branch .LBB5_119
.LBB5_117:
	s_andn2_saveexec_b64 s[0:1], s[6:7]
	s_cbranch_execz .LBB5_119
.LBB5_118:
	s_mov_b32 s6, 0x6dc9c883
	s_mov_b32 s7, 0x3fe45f30
	v_mul_f64 v[52:53], |v[24:25]|, s[6:7]
	s_mov_b32 s6, 0x54442d18
	v_rndne_f64_e32 v[64:65], v[52:53]
	s_mov_b32 s7, 0xbff921fb
	v_fma_f64 v[52:53], v[64:65], s[6:7], |v[24:25]|
	s_mov_b32 s7, 0xbc91a626
	s_mov_b32 s6, 0x33145c00
	v_mul_f64 v[66:67], v[64:65], s[6:7]
	v_add_f64 v[70:71], v[52:53], v[66:67]
	v_fma_f64 v[54:55], s[6:7], v[64:65], v[52:53]
	s_mov_b32 s7, 0x3c91a626
	v_add_f64 v[52:53], v[52:53], -v[70:71]
	v_fma_f64 v[68:69], s[6:7], v[64:65], v[66:67]
	v_add_f64 v[52:53], v[52:53], v[66:67]
	v_add_f64 v[66:67], v[70:71], -v[54:55]
	v_add_f64 v[52:53], v[66:67], v[52:53]
	s_mov_b32 s6, 0x252049c0
	v_add_f64 v[66:67], v[52:53], -v[68:69]
	s_mov_b32 s7, 0xb97b839a
	v_fmac_f64_e32 v[66:67], s[6:7], v[64:65]
	v_add_f64 v[52:53], v[54:55], v[66:67]
	v_add_f64 v[54:55], v[52:53], -v[54:55]
	v_add_f64 v[54:55], v[66:67], -v[54:55]
	v_cvt_i32_f64_e32 v51, v[64:65]
.LBB5_119:
	s_or_b64 exec, exec, s[0:1]
	s_mov_b32 s0, 0
	v_mul_f64 v[64:65], v[38:39], v[38:39]
	s_mov_b32 s1, 0x40390000
	v_div_scale_f64 v[66:67], s[6:7], v[64:65], v[64:65], s[0:1]
	v_rcp_f64_e32 v[68:69], v[66:67]
	v_mov_b32_e32 v82, 0xb1759c7f
	v_mov_b32_e32 v83, 0x408ac370
	;; [unrolled: 1-line block ×3, first 2 shown]
	v_fma_f64 v[70:71], -v[66:67], v[68:69], 1.0
	v_fmac_f64_e32 v[68:69], v[68:69], v[70:71]
	v_fma_f64 v[70:71], -v[66:67], v[68:69], 1.0
	v_fmac_f64_e32 v[68:69], v[68:69], v[70:71]
	v_div_scale_f64 v[70:71], vcc, s[0:1], v[64:65], s[0:1]
	v_mul_f64 v[80:81], v[70:71], v[68:69]
	v_fma_f64 v[66:67], -v[66:67], v[80:81], v[70:71]
	v_mov_b32_e32 v70, 0xab5454e3
	s_nop 0
	v_div_fmas_f64 v[66:67], v[66:67], v[68:69], v[80:81]
	v_div_fixup_f64 v[64:65], v[66:67], v[64:65], s[0:1]
	v_mov_b32_e32 v66, 0x983b6b27
	v_mov_b32_e32 v67, 0x3f4a1d30
	v_fmac_f64_e32 v[66:67], 0, v[64:65]
	v_mov_b32_e32 v68, 0xb35dd1cf
	v_mov_b32_e32 v69, 0x3fb534b0
	v_fmac_f64_e32 v[68:69], v[64:65], v[66:67]
	;; [unrolled: 3-line block ×7, first 2 shown]
	v_mov_b32_e32 v71, 0x3fb5ebc5
	v_fmac_f64_e32 v[70:71], v[64:65], v[66:67]
	v_mov_b32_e32 v66, 0xc9b3069f
	v_mov_b32_e32 v67, 0x3ff40e72
	v_fmac_f64_e32 v[66:67], v[64:65], v[70:71]
	v_mov_b32_e32 v70, 0xe68162bb
	;; [unrolled: 3-line block ×4, first 2 shown]
	v_mov_b32_e32 v71, 0x40153965
	v_fmac_f64_e32 v[70:71], v[64:65], v[66:67]
	v_fma_f64 v[66:67], v[64:65], v[70:71], 1.0
	v_mov_b32_e32 v70, 0x38a5384a
	v_mov_b32_e32 v71, 0xbf874742
	v_fmac_f64_e32 v[70:71], 0, v[64:65]
	v_mov_b32_e32 v80, 0x3a321174
	v_mov_b32_e32 v81, 0xbff4853b
	v_fmac_f64_e32 v[80:81], v[64:65], v[70:71]
	;; [unrolled: 3-line block ×9, first 2 shown]
	v_fmac_f64_e32 v[82:83], v[64:65], v[70:71]
	v_mov_b32_e32 v70, 0xbd748cb5
	v_mov_b32_e32 v71, 0x40ae54cd
	v_fmac_f64_e32 v[70:71], v[64:65], v[82:83]
	v_mov_b32_e32 v82, 0xbdefd63e
	v_mov_b32_e32 v83, 0x40bc4877
	;; [unrolled: 3-line block ×4, first 2 shown]
	v_fma_f64 v[68:69], v[64:65], v[68:69], 1.0
	v_fmac_f64_e32 v[82:83], v[64:65], v[70:71]
	v_div_scale_f64 v[70:71], s[0:1], v[66:67], v[66:67], v[68:69]
	v_rcp_f64_e32 v[84:85], v[70:71]
	v_mov_b32_e32 v87, 0x406e402f
	v_fmac_f64_e32 v[86:87], v[64:65], v[82:83]
	s_mov_b32 s0, 0x9037ab78
	v_fma_f64 v[64:65], -v[70:71], v[84:85], 1.0
	v_fmac_f64_e32 v[84:85], v[84:85], v[64:65]
	v_fma_f64 v[64:65], -v[70:71], v[84:85], 1.0
	v_fmac_f64_e32 v[84:85], v[84:85], v[64:65]
	v_div_scale_f64 v[64:65], vcc, v[68:69], v[66:67], v[68:69]
	v_mul_f64 v[82:83], v[64:65], v[84:85]
	v_fma_f64 v[64:65], -v[70:71], v[82:83], v[64:65]
	s_mov_b32 s1, 0x3e21eeb6
	s_nop 0
	v_div_fmas_f64 v[64:65], v[64:65], v[84:85], v[82:83]
	s_mov_b32 s6, 0x46cc5e42
	v_div_fixup_f64 v[64:65], v[64:65], v[66:67], v[68:69]
	v_mul_f64 v[66:67], v[30:31], v[30:31]
	s_mov_b32 s7, 0xbda907db
	v_mov_b64_e32 v[84:85], s[0:1]
	s_mov_b32 s8, 0xa17f65f6
	v_mul_f64 v[68:69], v[66:67], 0.5
	v_fma_f64 v[96:97], s[6:7], v[66:67], v[84:85]
	s_mov_b32 s9, 0xbe927e4f
	s_mov_b32 s10, 0x19f4ec90
	v_add_f64 v[70:71], -v[68:69], 1.0
	v_fma_f64 v[96:97], v[66:67], v[96:97], s[8:9]
	s_mov_b32 s11, 0x3efa01a0
	s_mov_b32 s12, 0x16c16967
	v_add_f64 v[82:83], -v[70:71], 1.0
	v_fma_f64 v[96:97], v[66:67], v[96:97], s[10:11]
	s_mov_b32 s13, 0xbf56c16c
	s_mov_b32 s14, 0x55555555
	v_add_f64 v[68:69], v[82:83], -v[68:69]
	v_fma_f64 v[96:97], v[66:67], v[96:97], s[12:13]
	s_mov_b32 s15, 0x3fa55555
	v_mul_f64 v[82:83], v[66:67], v[66:67]
	v_fma_f64 v[96:97], v[66:67], v[96:97], s[14:15]
	v_fma_f64 v[68:69], v[30:31], -v[36:37], v[68:69]
	s_mov_b32 s0, 0xb42fdfa7
	v_fmac_f64_e32 v[68:69], v[82:83], v[96:97]
	s_mov_b32 s1, 0xbe5ae600
	s_mov_b32 s16, 0xf9a43bb8
	v_add_f64 v[68:69], v[70:71], v[68:69]
	s_mov_b32 s17, 0x3de5e0b2
	v_mov_b64_e32 v[70:71], s[0:1]
	s_mov_b32 s18, 0x796cde01
	v_fma_f64 v[82:83], s[16:17], v[66:67], v[70:71]
	s_mov_b32 s19, 0x3ec71de3
	s_mov_b32 s20, 0x19e83e5c
	v_fma_f64 v[82:83], v[66:67], v[82:83], s[18:19]
	s_mov_b32 s21, 0xbf2a01a0
	s_mov_b32 s22, 0x11110bb3
	v_fma_f64 v[82:83], v[66:67], v[82:83], s[20:21]
	s_mov_b32 s23, 0x3f811111
	v_fma_f64 v[82:83], v[66:67], v[82:83], s[22:23]
	v_mul_f64 v[96:97], v[30:31], -v[66:67]
	v_mul_f64 v[98:99], v[36:37], 0.5
	v_fmac_f64_e32 v[98:99], v[96:97], v[82:83]
	v_fma_f64 v[36:37], v[66:67], v[98:99], -v[36:37]
	s_mov_b32 s25, 0xbfc55555
	s_mov_b32 s24, s14
	v_fmac_f64_e32 v[36:37], s[24:25], v[96:97]
	v_add_f64 v[30:31], v[30:31], -v[36:37]
	v_and_b32_e32 v36, 1, v49
	v_cmp_eq_u32_e32 vcc, 0, v36
	s_mov_b32 s26, 0
	s_mov_b32 s27, 0x40140000
	v_cndmask_b32_e32 v66, v68, v30, vcc
	v_cndmask_b32_e32 v30, v69, v31, vcc
	v_lshlrev_b32_e32 v31, 30, v49
	v_xor_b32_e32 v31, v31, v25
	v_and_b32_e32 v31, 0x80000000, v31
	v_xor_b32_e32 v49, v30, v31
	v_div_scale_f64 v[30:31], s[0:1], v[38:39], v[38:39], s[26:27]
	v_rcp_f64_e32 v[36:37], v[30:31]
	s_movk_i32 s28, 0x1f8
	v_cmp_class_f64_e64 s[0:1], v[24:25], s28
	v_mov_b32_e32 v96, 0x7ff80000
	s_nop 0
	v_cndmask_b32_e64 v24, 0, v66, s[0:1]
	v_fma_f64 v[66:67], -v[30:31], v[36:37], 1.0
	v_fmac_f64_e32 v[36:37], v[36:37], v[66:67]
	v_fma_f64 v[66:67], -v[30:31], v[36:37], 1.0
	v_fmac_f64_e32 v[36:37], v[36:37], v[66:67]
	v_div_scale_f64 v[66:67], vcc, s[26:27], v[38:39], s[26:27]
	v_mul_f64 v[68:69], v[66:67], v[36:37]
	v_fma_f64 v[30:31], -v[30:31], v[68:69], v[66:67]
	v_div_scale_f64 v[66:67], s[28:29], v[86:87], v[86:87], v[80:81]
	v_rcp_f64_e32 v[82:83], v[66:67]
	v_div_fmas_f64 v[30:31], v[30:31], v[36:37], v[68:69]
	v_div_fixup_f64 v[30:31], v[30:31], v[38:39], s[26:27]
	v_cndmask_b32_e64 v25, v96, v49, s[0:1]
	v_fma_f64 v[36:37], -v[66:67], v[82:83], 1.0
	v_fmac_f64_e32 v[82:83], v[82:83], v[36:37]
	v_fma_f64 v[36:37], -v[66:67], v[82:83], 1.0
	v_fmac_f64_e32 v[82:83], v[82:83], v[36:37]
	v_div_scale_f64 v[36:37], vcc, v[80:81], v[86:87], v[80:81]
	v_mul_f64 v[68:69], v[36:37], v[82:83]
	v_fma_f64 v[36:37], -v[66:67], v[68:69], v[36:37]
	v_and_b32_e32 v49, 1, v51
	s_nop 0
	v_div_fmas_f64 v[36:37], v[36:37], v[82:83], v[68:69]
	v_div_fixup_f64 v[36:37], v[36:37], v[86:87], v[80:81]
	v_mul_f64 v[30:31], v[30:31], v[36:37]
	v_mul_f64 v[36:37], v[52:53], v[52:53]
	v_mul_f64 v[66:67], v[36:37], 0.5
	v_fmac_f64_e32 v[84:85], s[6:7], v[36:37]
	v_add_f64 v[68:69], -v[66:67], 1.0
	v_fma_f64 v[82:83], v[36:37], v[84:85], s[8:9]
	v_add_f64 v[80:81], -v[68:69], 1.0
	v_fma_f64 v[82:83], v[36:37], v[82:83], s[10:11]
	v_add_f64 v[66:67], v[80:81], -v[66:67]
	v_fma_f64 v[82:83], v[36:37], v[82:83], s[12:13]
	v_mul_f64 v[80:81], v[36:37], v[36:37]
	v_fma_f64 v[82:83], v[36:37], v[82:83], s[14:15]
	v_fma_f64 v[66:67], v[52:53], -v[54:55], v[66:67]
	v_fmac_f64_e32 v[66:67], v[80:81], v[82:83]
	v_fmac_f64_e32 v[70:71], s[16:17], v[36:37]
	v_add_f64 v[66:67], v[68:69], v[66:67]
	v_fma_f64 v[68:69], v[36:37], v[70:71], s[18:19]
	v_fma_f64 v[68:69], v[36:37], v[68:69], s[20:21]
	;; [unrolled: 1-line block ×3, first 2 shown]
	v_mul_f64 v[70:71], v[52:53], -v[36:37]
	v_mul_f64 v[80:81], v[54:55], 0.5
	v_fmac_f64_e32 v[80:81], v[70:71], v[68:69]
	v_fma_f64 v[36:37], v[36:37], v[80:81], -v[54:55]
	v_fmac_f64_e32 v[36:37], s[24:25], v[70:71]
	v_add_f64 v[36:37], v[52:53], -v[36:37]
	v_xor_b32_e32 v37, 0x80000000, v37
	v_cmp_eq_u32_e32 vcc, 0, v49
	v_lshlrev_b32_e32 v49, 30, v51
	v_and_b32_e32 v49, 0x80000000, v49
	v_cndmask_b32_e32 v37, v37, v67, vcc
	v_cndmask_b32_e32 v36, v36, v66, vcc
	v_xor_b32_e32 v37, v37, v49
	v_cndmask_b32_e64 v36, 0, v36, s[0:1]
	v_cndmask_b32_e64 v37, v96, v37, s[0:1]
	s_mov_b32 s0, 0
	s_brev_b32 s1, 8
	v_mul_f64 v[30:31], v[30:31], v[36:37]
	v_cmp_gt_f64_e32 vcc, s[0:1], v[38:39]
	v_fmac_f64_e32 v[30:31], v[64:65], v[24:25]
	s_mov_b32 s0, 0x33d43651
	v_cndmask_b32_e64 v24, 0, 1, vcc
	v_lshlrev_b32_e32 v24, 8, v24
	v_ldexp_f64 v[24:25], v[38:39], v24
	v_rsq_f64_e32 v[36:37], v[24:25]
	s_mov_b32 s1, 0x3fe98845
	v_mul_f64 v[30:31], v[30:31], s[0:1]
	v_mul_f64 v[38:39], v[24:25], v[36:37]
	v_mul_f64 v[36:37], v[36:37], 0.5
	v_fma_f64 v[52:53], -v[36:37], v[38:39], 0.5
	v_fmac_f64_e32 v[38:39], v[38:39], v[52:53]
	v_fma_f64 v[54:55], -v[38:39], v[38:39], v[24:25]
	v_fmac_f64_e32 v[36:37], v[36:37], v[52:53]
	v_fmac_f64_e32 v[38:39], v[54:55], v[36:37]
	v_fma_f64 v[52:53], -v[38:39], v[38:39], v[24:25]
	v_fmac_f64_e32 v[38:39], v[52:53], v[36:37]
	v_mov_b32_e32 v36, 0xffffff80
	v_cndmask_b32_e32 v36, 0, v36, vcc
	v_ldexp_f64 v[36:37], v[38:39], v36
	v_mov_b32_e32 v38, 0x260
	v_cmp_class_f64_e32 vcc, v[24:25], v38
	s_nop 1
	v_cndmask_b32_e32 v25, v37, v25, vcc
	v_cndmask_b32_e32 v24, v36, v24, vcc
	v_div_scale_f64 v[36:37], s[0:1], v[24:25], v[24:25], v[30:31]
	v_rcp_f64_e32 v[38:39], v[36:37]
	s_nop 0
	v_fma_f64 v[52:53], -v[36:37], v[38:39], 1.0
	v_fmac_f64_e32 v[38:39], v[38:39], v[52:53]
	v_fma_f64 v[52:53], -v[36:37], v[38:39], 1.0
	v_fmac_f64_e32 v[38:39], v[38:39], v[52:53]
	v_div_scale_f64 v[52:53], vcc, v[30:31], v[24:25], v[30:31]
	v_mul_f64 v[54:55], v[52:53], v[38:39]
	v_fma_f64 v[36:37], -v[36:37], v[54:55], v[52:53]
	s_nop 1
	v_div_fmas_f64 v[36:37], v[36:37], v[38:39], v[54:55]
	v_div_fixup_f64 v[24:25], v[36:37], v[24:25], v[30:31]
.LBB5_120:
	s_or_b64 exec, exec, s[4:5]
	s_mov_b32 s0, 0
	s_mov_b32 s1, 0x40140000
	v_cmp_ge_f64_e32 vcc, s[0:1], v[32:33]
                                        ; implicit-def: $vgpr30_vgpr31
	s_and_saveexec_b64 s[0:1], vcc
	s_xor_b64 s[0:1], exec, s[0:1]
	s_cbranch_execz .LBB5_130
; %bb.121:
	v_mov_b32_e32 v30, 0
	v_cmp_neq_f64_e32 vcc, 0, v[32:33]
	v_mov_b32_e32 v31, 0xfff00000
	s_and_saveexec_b64 s[4:5], vcc
	s_cbranch_execz .LBB5_129
; %bb.122:
	v_mov_b32_e32 v30, 0
	v_cmp_ngt_f64_e32 vcc, 0, v[32:33]
	v_mov_b32_e32 v31, 0x7ff80000
	s_and_saveexec_b64 s[6:7], vcc
	s_cbranch_execz .LBB5_128
; %bb.123:
	s_mov_b32 s8, 0x88e368f1
	v_mul_f64 v[30:31], v[32:33], v[32:33]
	s_mov_b32 s9, 0x3ee4f8b5
	v_mul_f64 v[38:39], v[30:31], 0
	v_cmp_ngt_f64_e32 vcc, s[8:9], v[32:33]
                                        ; implicit-def: $vgpr36_vgpr37
	s_and_saveexec_b64 s[8:9], vcc
	s_xor_b64 s[8:9], exec, s[8:9]
	s_cbranch_execz .LBB5_125
; %bb.124:
	s_mov_b32 s10, 0xad1c8325
	s_mov_b32 s11, 0xc1f1dc53
	v_add_f64 v[36:37], v[38:39], s[10:11]
	v_mov_b32_e32 v52, 0xc772990d
	v_mov_b32_e32 v53, 0x427c7751
	s_mov_b32 s10, 0xa696b78c
	v_fmac_f64_e32 v[52:53], v[30:31], v[36:37]
	v_mov_b32_e32 v36, 0xe0d900f7
	v_mov_b32_e32 v37, 0xc2ec5614
	s_mov_b32 s11, 0x407f3902
	v_fmac_f64_e32 v[36:37], v[30:31], v[52:53]
	v_add_f64 v[52:53], v[38:39], s[10:11]
	v_mov_b32_e32 v54, 0x36a21a67
	v_mov_b32_e32 v55, 0x410536cb
	v_fmac_f64_e32 v[54:55], v[30:31], v[52:53]
	v_mov_b32_e32 v52, 0x2eac0634
	v_mov_b32_e32 v53, 0x41871934
	v_fmac_f64_e32 v[52:53], v[30:31], v[54:55]
	;; [unrolled: 3-line block ×6, first 2 shown]
	v_mov_b32_e32 v54, 0xc7b662cc
	v_mov_b32_e32 v55, 0x43b7be34
	s_mov_b32 s10, 0x80462bbb
	v_fmac_f64_e32 v[54:55], v[30:31], v[52:53]
	v_mov_b32_e32 v52, 0x69ff5fb4
	v_mov_b32_e32 v53, 0x43413ef8
	s_mov_b32 s11, 0xc01721fb
	v_fmac_f64_e32 v[52:53], v[30:31], v[36:37]
	v_add_f64 v[36:37], v[30:31], s[10:11]
	s_mov_b32 s10, 0xa621dd6f
	s_mov_b32 s11, 0xc03e78a4
	v_add_f64 v[64:65], v[30:31], s[10:11]
	v_mul_f64 v[36:37], v[36:37], v[64:65]
	v_mul_f64 v[36:37], v[36:37], v[52:53]
	v_div_scale_f64 v[52:53], s[10:11], v[54:55], v[54:55], v[36:37]
	v_rcp_f64_e32 v[64:65], v[52:53]
	s_nop 0
	v_fma_f64 v[66:67], -v[52:53], v[64:65], 1.0
	v_fmac_f64_e32 v[64:65], v[64:65], v[66:67]
	v_fma_f64 v[66:67], -v[52:53], v[64:65], 1.0
	v_fmac_f64_e32 v[64:65], v[64:65], v[66:67]
	v_div_scale_f64 v[66:67], vcc, v[36:37], v[54:55], v[36:37]
	v_mul_f64 v[68:69], v[66:67], v[64:65]
	v_fma_f64 v[52:53], -v[52:53], v[68:69], v[66:67]
	s_nop 1
	v_div_fmas_f64 v[52:53], v[52:53], v[64:65], v[68:69]
	v_div_fixup_f64 v[36:37], v[52:53], v[54:55], v[36:37]
.LBB5_125:
	s_andn2_saveexec_b64 s[8:9], s[8:9]
; %bb.126:
	s_mov_b32 s10, 0
	s_mov_b32 s11, 0xbfd00000
	v_fma_f64 v[36:37], v[30:31], s[10:11], 1.0
; %bb.127:
	s_or_b64 exec, exec, s[8:9]
	s_mov_b32 s8, 0xe896898f
	s_mov_b32 s9, 0x40ce7437
	v_add_f64 v[52:53], v[38:39], s[8:9]
	v_mov_b32_e32 v54, 0x32e48896
	v_mov_b32_e32 v55, 0xc16bf81f
	v_fmac_f64_e32 v[54:55], v[30:31], v[52:53]
	v_mov_b32_e32 v52, 0xf0284cdd
	v_mov_b32_e32 v53, 0x41f43f78
	v_fmac_f64_e32 v[52:53], v[30:31], v[54:55]
	;; [unrolled: 3-line block ×4, first 2 shown]
	v_mov_b32_e32 v54, 0xd1d8cc02
	v_mov_b32_e32 v55, 0xc328a121
	s_mov_b32 s8, 0x576dfcb6
	v_fmac_f64_e32 v[54:55], v[30:31], v[52:53]
	v_mov_b32_e32 v52, 0x660b4003
	v_mov_b32_e32 v53, 0x4363a94b
	s_mov_b32 s9, 0x40904522
	v_fmac_f64_e32 v[52:53], v[30:31], v[54:55]
	v_add_f64 v[38:39], v[38:39], s[8:9]
	v_mov_b32_e32 v54, 0xa907bc0c
	v_mov_b32_e32 v55, 0x41231b76
	v_fmac_f64_e32 v[54:55], v[30:31], v[38:39]
	v_mov_b32_e32 v38, 0x5164d101
	v_mov_b32_e32 v39, 0x41b00763
	v_fmac_f64_e32 v[38:39], v[30:31], v[54:55]
	v_mov_b32_e32 v54, 0x2b8664bc
	v_mov_b32_e32 v55, 0x42341ddb
	v_fmac_f64_e32 v[54:55], v[30:31], v[38:39]
	v_mov_b32_e32 v38, 0xc57e828e
	v_mov_b32_e32 v39, 0x42b275fc
	v_fmac_f64_e32 v[38:39], v[30:31], v[54:55]
	v_mov_b32_e32 v54, 0xdfeb596d
	v_mov_b32_e32 v55, 0x43268910
	v_fmac_f64_e32 v[54:55], v[30:31], v[38:39]
	v_mov_b32_e32 v38, 0xbcf9b5d0
	v_mov_b32_e32 v39, 0x438bd25f
	v_fmac_f64_e32 v[38:39], v[30:31], v[54:55]
	v_mov_b32_e32 v54, 0x5906367b
	v_mov_b32_e32 v55, 0xc3506d4b
	v_fmac_f64_e32 v[54:55], v[30:31], v[52:53]
	v_div_scale_f64 v[30:31], s[8:9], v[38:39], v[38:39], v[54:55]
	v_rcp_f64_e32 v[52:53], v[30:31]
	s_mov_b32 s8, 0x55555555
	s_mov_b32 s9, 0x3fe55555
	v_mov_b32_e32 v51, 0x3ff00000
	v_fma_f64 v[64:65], -v[30:31], v[52:53], 1.0
	v_fmac_f64_e32 v[52:53], v[52:53], v[64:65]
	v_fma_f64 v[64:65], -v[30:31], v[52:53], 1.0
	v_fmac_f64_e32 v[52:53], v[52:53], v[64:65]
	v_div_scale_f64 v[64:65], vcc, v[54:55], v[38:39], v[54:55]
	v_mul_f64 v[66:67], v[64:65], v[52:53]
	v_fma_f64 v[30:31], -v[30:31], v[66:67], v[64:65]
	v_frexp_exp_i32_f64_e32 v49, v[32:33]
	s_nop 0
	v_div_fmas_f64 v[30:31], v[30:31], v[52:53], v[66:67]
	v_div_fixup_f64 v[30:31], v[30:31], v[38:39], v[54:55]
	v_frexp_mant_f64_e32 v[38:39], v[32:33]
	v_cmp_gt_f64_e32 vcc, s[8:9], v[38:39]
	v_mov_b32_e32 v52, 0
	s_mov_b32 s8, 0xbf559e2b
	v_cndmask_b32_e64 v53, v51, 2.0, vcc
	v_mul_f64 v[38:39], v[38:39], v[52:53]
	v_add_f64 v[52:53], v[38:39], 1.0
	v_rcp_f64_e32 v[54:55], v[52:53]
	v_add_f64 v[66:67], v[52:53], -1.0
	v_add_f64 v[64:65], v[38:39], -1.0
	v_add_f64 v[38:39], v[38:39], -v[66:67]
	v_fma_f64 v[66:67], -v[52:53], v[54:55], 1.0
	v_fmac_f64_e32 v[54:55], v[66:67], v[54:55]
	v_fma_f64 v[66:67], -v[52:53], v[54:55], 1.0
	v_fmac_f64_e32 v[54:55], v[66:67], v[54:55]
	v_mul_f64 v[66:67], v[64:65], v[54:55]
	v_mul_f64 v[68:69], v[52:53], v[66:67]
	v_fma_f64 v[52:53], v[66:67], v[52:53], -v[68:69]
	v_fmac_f64_e32 v[52:53], v[66:67], v[38:39]
	v_add_f64 v[38:39], v[68:69], v[52:53]
	v_add_f64 v[70:71], v[64:65], -v[38:39]
	v_add_f64 v[68:69], v[38:39], -v[68:69]
	;; [unrolled: 1-line block ×5, first 2 shown]
	v_add_f64 v[38:39], v[52:53], v[38:39]
	v_add_f64 v[38:39], v[70:71], v[38:39]
	v_mul_f64 v[38:39], v[54:55], v[38:39]
	v_add_f64 v[52:53], v[66:67], v[38:39]
	v_add_f64 v[54:55], v[52:53], -v[66:67]
	v_add_f64 v[38:39], v[38:39], -v[54:55]
	v_mul_f64 v[54:55], v[52:53], v[52:53]
	v_mov_b32_e32 v64, 0x6b47b09a
	v_mov_b32_e32 v65, 0x3fc38538
	s_mov_b32 s9, 0x3fc3ab76
	v_fmac_f64_e32 v[64:65], s[8:9], v[54:55]
	v_mov_b32_e32 v66, 0xd7f4df2e
	v_mov_b32_e32 v67, 0x3fc7474d
	v_fmac_f64_e32 v[66:67], v[54:55], v[64:65]
	v_mov_b32_e32 v64, 0x16291751
	v_mov_b32_e32 v65, 0x3fcc71c0
	;; [unrolled: 3-line block ×5, first 2 shown]
	v_fmac_f64_e32 v[66:67], v[54:55], v[64:65]
	v_ldexp_f64 v[64:65], v[52:53], 1
	v_mul_f64 v[52:53], v[52:53], v[54:55]
	v_mul_f64 v[52:53], v[52:53], v[66:67]
	v_add_f64 v[54:55], v[64:65], v[52:53]
	v_add_f64 v[64:65], v[54:55], -v[64:65]
	v_ldexp_f64 v[38:39], v[38:39], 1
	v_add_f64 v[52:53], v[52:53], -v[64:65]
	v_add_f64 v[38:39], v[38:39], v[52:53]
	v_add_f64 v[52:53], v[54:55], v[38:39]
	v_subbrev_co_u32_e32 v49, vcc, 0, v49, vcc
	v_add_f64 v[54:55], v[52:53], -v[54:55]
	s_mov_b32 s8, 0xfefa39ef
	v_add_f64 v[38:39], v[38:39], -v[54:55]
	v_cvt_f64_i32_e32 v[54:55], v49
	s_mov_b32 s9, 0x3fe62e42
	v_mul_f64 v[64:65], v[54:55], s[8:9]
	v_fma_f64 v[66:67], v[54:55], s[8:9], -v[64:65]
	s_mov_b32 s8, 0x3b39803f
	s_mov_b32 s9, 0x3c7abc9e
	v_fmac_f64_e32 v[66:67], s[8:9], v[54:55]
	v_add_f64 v[54:55], v[64:65], v[66:67]
	v_add_f64 v[64:65], v[54:55], -v[64:65]
	v_add_f64 v[64:65], v[66:67], -v[64:65]
	v_add_f64 v[66:67], v[54:55], v[52:53]
	v_add_f64 v[68:69], v[66:67], -v[54:55]
	v_add_f64 v[70:71], v[66:67], -v[68:69]
	;; [unrolled: 1-line block ×4, first 2 shown]
	v_add_f64 v[52:53], v[52:53], v[54:55]
	v_add_f64 v[54:55], v[64:65], v[38:39]
	v_add_f64 v[68:69], v[54:55], -v[64:65]
	v_add_f64 v[70:71], v[54:55], -v[68:69]
	v_add_f64 v[52:53], v[54:55], v[52:53]
	v_add_f64 v[64:65], v[64:65], -v[70:71]
	v_add_f64 v[38:39], v[38:39], -v[68:69]
	v_add_f64 v[54:55], v[66:67], v[52:53]
	v_add_f64 v[38:39], v[38:39], v[64:65]
	v_add_f64 v[64:65], v[54:55], -v[66:67]
	v_add_f64 v[52:53], v[52:53], -v[64:65]
	v_add_f64 v[38:39], v[38:39], v[52:53]
	s_mov_b32 s8, 0x6dc9c883
	v_add_f64 v[38:39], v[54:55], v[38:39]
	s_mov_b32 s9, 0x3fe45f30
	v_mul_f64 v[38:39], v[38:39], s[8:9]
	v_fmac_f64_e32 v[30:31], v[38:39], v[36:37]
.LBB5_128:
	s_or_b64 exec, exec, s[6:7]
.LBB5_129:
	s_or_b64 exec, exec, s[4:5]
.LBB5_130:
	s_andn2_saveexec_b64 s[4:5], s[0:1]
	s_cbranch_execz .LBB5_140
; %bb.131:
	s_mov_b32 s9, 0xbfe921fb
	s_mov_b32 s8, 0x54442d18
	;; [unrolled: 1-line block ×3, first 2 shown]
	v_add_f64 v[30:31], v[32:33], s[8:9]
	s_mov_b32 s1, 0x41d00000
	v_cmp_nlt_f64_e64 s[6:7], |v[30:31]|, s[0:1]
	v_trig_preop_f64 v[68:69], |v[30:31]|, 0
	v_trig_preop_f64 v[66:67], |v[30:31]|, 1
	;; [unrolled: 1-line block ×3, first 2 shown]
                                        ; implicit-def: $vgpr49
                                        ; implicit-def: $vgpr36_vgpr37
                                        ; implicit-def: $vgpr38_vgpr39
	s_and_saveexec_b64 s[0:1], s[6:7]
	s_xor_b64 s[10:11], exec, s[0:1]
	s_cbranch_execz .LBB5_133
; %bb.132:
	s_mov_b32 s0, 0
	s_mov_b32 s1, 0x7b000000
	s_movk_i32 s9, 0xff80
	v_and_b32_e32 v38, 0x7fffffff, v31
	v_ldexp_f64 v[36:37], |v[30:31]|, s9
	v_cmp_ge_f64_e64 vcc, |v[30:31]|, s[0:1]
	s_mov_b32 s0, 0
	s_mov_b32 s1, 0x7ff00000
	v_cndmask_b32_e32 v37, v38, v37, vcc
	v_cndmask_b32_e32 v36, v30, v36, vcc
	v_mul_f64 v[52:53], v[68:69], v[36:37]
	v_mul_f64 v[38:39], v[66:67], v[36:37]
	v_fma_f64 v[54:55], v[68:69], v[36:37], -v[52:53]
	v_add_f64 v[70:71], v[38:39], v[54:55]
	v_add_f64 v[80:81], v[52:53], v[70:71]
	v_ldexp_f64 v[82:83], v[80:81], -2
	v_fract_f64_e32 v[84:85], v[82:83]
	v_cmp_neq_f64_e64 vcc, |v[82:83]|, s[0:1]
	v_add_f64 v[52:53], v[80:81], -v[52:53]
	v_add_f64 v[52:53], v[70:71], -v[52:53]
	v_cndmask_b32_e32 v83, 0, v85, vcc
	v_cndmask_b32_e32 v82, 0, v84, vcc
	v_add_f64 v[84:85], v[70:71], -v[38:39]
	v_add_f64 v[54:55], v[54:55], -v[84:85]
	;; [unrolled: 1-line block ×4, first 2 shown]
	v_add_f64 v[54:55], v[54:55], v[84:85]
	v_fma_f64 v[38:39], v[66:67], v[36:37], -v[38:39]
	v_mul_f64 v[84:85], v[64:65], v[36:37]
	v_add_f64 v[96:97], v[84:85], v[38:39]
	v_add_f64 v[98:99], v[96:97], v[54:55]
	v_add_f64 v[80:81], v[98:99], -v[96:97]
	v_add_f64 v[54:55], v[54:55], -v[80:81]
	;; [unrolled: 1-line block ×4, first 2 shown]
	v_add_f64 v[54:55], v[54:55], v[80:81]
	v_add_f64 v[80:81], v[96:97], -v[84:85]
	v_add_f64 v[38:39], v[38:39], -v[80:81]
	;; [unrolled: 1-line block ×4, first 2 shown]
	v_add_f64 v[70:71], v[52:53], v[98:99]
	v_add_f64 v[38:39], v[38:39], v[80:81]
	v_add_f64 v[52:53], v[70:71], -v[52:53]
	v_add_f64 v[38:39], v[38:39], v[54:55]
	v_fma_f64 v[36:37], v[64:65], v[36:37], -v[84:85]
	v_add_f64 v[52:53], v[98:99], -v[52:53]
	v_add_f64 v[36:37], v[36:37], v[38:39]
	v_ldexp_f64 v[38:39], v[82:83], 2
	v_add_f64 v[36:37], v[52:53], v[36:37]
	v_add_f64 v[52:53], v[70:71], v[38:39]
	v_mov_b32_e32 v49, 0x40100000
	v_cmp_gt_f64_e32 vcc, 0, v[52:53]
	v_mov_b32_e32 v86, 0
	s_mov_b32 s9, 0x3ff921fb
	v_cndmask_b32_e32 v87, 0, v49, vcc
	v_add_f64 v[38:39], v[38:39], v[86:87]
	v_add_f64 v[52:53], v[70:71], v[38:39]
	v_cvt_i32_f64_e32 v49, v[52:53]
	v_cvt_f64_i32_e32 v[52:53], v49
	v_add_f64 v[38:39], v[38:39], -v[52:53]
	v_add_f64 v[52:53], v[70:71], v[38:39]
	v_add_f64 v[38:39], v[52:53], -v[38:39]
	v_add_f64 v[38:39], v[70:71], -v[38:39]
	v_add_f64 v[36:37], v[36:37], v[38:39]
	v_cmp_le_f64_e32 vcc, 0.5, v[52:53]
	v_mov_b32_e32 v38, 0x3ff00000
	s_nop 0
	v_cndmask_b32_e32 v87, 0, v38, vcc
	v_add_f64 v[38:39], v[52:53], -v[86:87]
	v_add_f64 v[52:53], v[38:39], v[36:37]
	v_addc_co_u32_e64 v49, s[0:1], 0, v49, vcc
	v_add_f64 v[38:39], v[52:53], -v[38:39]
	v_add_f64 v[36:37], v[36:37], -v[38:39]
	v_mul_f64 v[38:39], v[52:53], s[8:9]
	s_mov_b32 s0, 0x33145c07
	v_fma_f64 v[54:55], v[52:53], s[8:9], -v[38:39]
	s_mov_b32 s1, 0x3c91a626
	v_fmac_f64_e32 v[54:55], s[0:1], v[52:53]
	v_fmac_f64_e32 v[54:55], s[8:9], v[36:37]
	v_add_f64 v[36:37], v[38:39], v[54:55]
	v_add_f64 v[38:39], v[36:37], -v[38:39]
	v_add_f64 v[38:39], v[54:55], -v[38:39]
	s_andn2_saveexec_b64 s[0:1], s[10:11]
	s_cbranch_execz .LBB5_135
	s_branch .LBB5_134
.LBB5_133:
	s_andn2_saveexec_b64 s[0:1], s[10:11]
	s_cbranch_execz .LBB5_135
.LBB5_134:
	s_mov_b32 s8, 0x6dc9c883
	s_mov_b32 s9, 0x3fe45f30
	v_mul_f64 v[36:37], |v[30:31]|, s[8:9]
	s_mov_b32 s8, 0x54442d18
	v_rndne_f64_e32 v[52:53], v[36:37]
	s_mov_b32 s9, 0xbff921fb
	v_fma_f64 v[36:37], v[52:53], s[8:9], |v[30:31]|
	s_mov_b32 s9, 0xbc91a626
	s_mov_b32 s8, 0x33145c00
	v_mul_f64 v[54:55], v[52:53], s[8:9]
	v_add_f64 v[80:81], v[36:37], v[54:55]
	v_fma_f64 v[38:39], s[8:9], v[52:53], v[36:37]
	s_mov_b32 s9, 0x3c91a626
	v_add_f64 v[36:37], v[36:37], -v[80:81]
	v_fma_f64 v[70:71], s[8:9], v[52:53], v[54:55]
	v_add_f64 v[36:37], v[36:37], v[54:55]
	v_add_f64 v[54:55], v[80:81], -v[38:39]
	v_add_f64 v[36:37], v[54:55], v[36:37]
	s_mov_b32 s8, 0x252049c0
	v_add_f64 v[54:55], v[36:37], -v[70:71]
	s_mov_b32 s9, 0xb97b839a
	v_fmac_f64_e32 v[54:55], s[8:9], v[52:53]
	v_add_f64 v[36:37], v[38:39], v[54:55]
	v_add_f64 v[38:39], v[36:37], -v[38:39]
	v_add_f64 v[38:39], v[54:55], -v[38:39]
	v_cvt_i32_f64_e32 v49, v[52:53]
.LBB5_135:
	s_or_b64 exec, exec, s[0:1]
                                        ; implicit-def: $vgpr51
                                        ; implicit-def: $vgpr52_vgpr53
                                        ; implicit-def: $vgpr54_vgpr55
	s_and_saveexec_b64 s[0:1], s[6:7]
	s_xor_b64 s[6:7], exec, s[0:1]
	s_cbranch_execz .LBB5_137
; %bb.136:
	s_mov_b32 s0, 0
	s_mov_b32 s1, 0x7b000000
	s_movk_i32 s8, 0xff80
	v_and_b32_e32 v51, 0x7fffffff, v31
	v_ldexp_f64 v[52:53], |v[30:31]|, s8
	v_cmp_ge_f64_e64 vcc, |v[30:31]|, s[0:1]
	s_mov_b32 s0, 0
	s_mov_b32 s1, 0x7ff00000
	v_cndmask_b32_e32 v53, v51, v53, vcc
	v_cndmask_b32_e32 v52, v30, v52, vcc
	v_mul_f64 v[70:71], v[68:69], v[52:53]
	v_mul_f64 v[54:55], v[66:67], v[52:53]
	v_fma_f64 v[68:69], v[68:69], v[52:53], -v[70:71]
	v_add_f64 v[80:81], v[54:55], v[68:69]
	v_add_f64 v[82:83], v[70:71], v[80:81]
	v_ldexp_f64 v[84:85], v[82:83], -2
	v_fract_f64_e32 v[86:87], v[84:85]
	v_cmp_neq_f64_e64 vcc, |v[84:85]|, s[0:1]
	v_add_f64 v[70:71], v[82:83], -v[70:71]
	v_add_f64 v[70:71], v[80:81], -v[70:71]
	v_cndmask_b32_e32 v85, 0, v87, vcc
	v_cndmask_b32_e32 v84, 0, v86, vcc
	v_add_f64 v[86:87], v[80:81], -v[54:55]
	v_add_f64 v[68:69], v[68:69], -v[86:87]
	;; [unrolled: 1-line block ×4, first 2 shown]
	v_fma_f64 v[54:55], v[66:67], v[52:53], -v[54:55]
	v_mul_f64 v[66:67], v[64:65], v[52:53]
	v_add_f64 v[68:69], v[68:69], v[86:87]
	v_add_f64 v[86:87], v[66:67], v[54:55]
	;; [unrolled: 1-line block ×3, first 2 shown]
	v_add_f64 v[82:83], v[98:99], -v[86:87]
	v_add_f64 v[68:69], v[68:69], -v[82:83]
	;; [unrolled: 1-line block ×4, first 2 shown]
	v_add_f64 v[68:69], v[68:69], v[82:83]
	v_add_f64 v[82:83], v[86:87], -v[66:67]
	v_add_f64 v[54:55], v[54:55], -v[82:83]
	;; [unrolled: 1-line block ×4, first 2 shown]
	v_add_f64 v[54:55], v[54:55], v[82:83]
	v_add_f64 v[54:55], v[54:55], v[68:69]
	v_fma_f64 v[52:53], v[64:65], v[52:53], -v[66:67]
	v_add_f64 v[80:81], v[70:71], v[98:99]
	v_add_f64 v[52:53], v[52:53], v[54:55]
	v_ldexp_f64 v[54:55], v[84:85], 2
	v_add_f64 v[64:65], v[80:81], v[54:55]
	v_mov_b32_e32 v51, 0x40100000
	v_cmp_gt_f64_e32 vcc, 0, v[64:65]
	v_mov_b32_e32 v96, 0
	v_add_f64 v[70:71], v[80:81], -v[70:71]
	v_cndmask_b32_e32 v97, 0, v51, vcc
	v_add_f64 v[54:55], v[54:55], v[96:97]
	v_add_f64 v[64:65], v[80:81], v[54:55]
	v_cvt_i32_f64_e32 v51, v[64:65]
	v_cvt_f64_i32_e32 v[64:65], v51
	v_add_f64 v[54:55], v[54:55], -v[64:65]
	v_add_f64 v[64:65], v[80:81], v[54:55]
	v_add_f64 v[70:71], v[98:99], -v[70:71]
	v_add_f64 v[54:55], v[64:65], -v[54:55]
	v_add_f64 v[52:53], v[70:71], v[52:53]
	v_add_f64 v[54:55], v[80:81], -v[54:55]
	v_add_f64 v[52:53], v[52:53], v[54:55]
	v_cmp_le_f64_e32 vcc, 0.5, v[64:65]
	v_mov_b32_e32 v54, 0x3ff00000
	s_mov_b32 s8, 0x33145c07
	v_cndmask_b32_e32 v97, 0, v54, vcc
	v_addc_co_u32_e64 v51, s[0:1], 0, v51, vcc
	v_add_f64 v[54:55], v[64:65], -v[96:97]
	v_add_f64 v[64:65], v[54:55], v[52:53]
	s_mov_b32 s0, 0x54442d18
	v_add_f64 v[54:55], v[64:65], -v[54:55]
	s_mov_b32 s1, 0x3ff921fb
	v_add_f64 v[52:53], v[52:53], -v[54:55]
	v_mul_f64 v[54:55], v[64:65], s[0:1]
	v_fma_f64 v[66:67], v[64:65], s[0:1], -v[54:55]
	s_mov_b32 s9, 0x3c91a626
	v_fmac_f64_e32 v[66:67], s[8:9], v[64:65]
	v_fmac_f64_e32 v[66:67], s[0:1], v[52:53]
	v_add_f64 v[52:53], v[54:55], v[66:67]
	v_add_f64 v[54:55], v[52:53], -v[54:55]
	v_add_f64 v[54:55], v[66:67], -v[54:55]
	s_andn2_saveexec_b64 s[0:1], s[6:7]
	s_cbranch_execnz .LBB5_138
	s_branch .LBB5_139
.LBB5_137:
	s_andn2_saveexec_b64 s[0:1], s[6:7]
	s_cbranch_execz .LBB5_139
.LBB5_138:
	s_mov_b32 s6, 0x6dc9c883
	s_mov_b32 s7, 0x3fe45f30
	v_mul_f64 v[52:53], |v[30:31]|, s[6:7]
	s_mov_b32 s6, 0x54442d18
	v_rndne_f64_e32 v[64:65], v[52:53]
	s_mov_b32 s7, 0xbff921fb
	v_fma_f64 v[52:53], v[64:65], s[6:7], |v[30:31]|
	s_mov_b32 s7, 0xbc91a626
	s_mov_b32 s6, 0x33145c00
	v_mul_f64 v[66:67], v[64:65], s[6:7]
	v_add_f64 v[70:71], v[52:53], v[66:67]
	v_fma_f64 v[54:55], s[6:7], v[64:65], v[52:53]
	s_mov_b32 s7, 0x3c91a626
	v_add_f64 v[52:53], v[52:53], -v[70:71]
	v_fma_f64 v[68:69], s[6:7], v[64:65], v[66:67]
	v_add_f64 v[52:53], v[52:53], v[66:67]
	v_add_f64 v[66:67], v[70:71], -v[54:55]
	v_add_f64 v[52:53], v[66:67], v[52:53]
	s_mov_b32 s6, 0x252049c0
	v_add_f64 v[66:67], v[52:53], -v[68:69]
	s_mov_b32 s7, 0xb97b839a
	v_fmac_f64_e32 v[66:67], s[6:7], v[64:65]
	v_add_f64 v[52:53], v[54:55], v[66:67]
	v_add_f64 v[54:55], v[52:53], -v[54:55]
	v_add_f64 v[54:55], v[66:67], -v[54:55]
	v_cvt_i32_f64_e32 v51, v[64:65]
.LBB5_139:
	s_or_b64 exec, exec, s[0:1]
	s_mov_b32 s0, 0
	v_mul_f64 v[64:65], v[32:33], v[32:33]
	s_mov_b32 s1, 0x40390000
	v_div_scale_f64 v[66:67], s[6:7], v[64:65], v[64:65], s[0:1]
	v_rcp_f64_e32 v[68:69], v[66:67]
	v_mov_b32_e32 v82, 0xb1759c7f
	v_mov_b32_e32 v83, 0x408ac370
	;; [unrolled: 1-line block ×3, first 2 shown]
	v_fma_f64 v[70:71], -v[66:67], v[68:69], 1.0
	v_fmac_f64_e32 v[68:69], v[68:69], v[70:71]
	v_fma_f64 v[70:71], -v[66:67], v[68:69], 1.0
	v_fmac_f64_e32 v[68:69], v[68:69], v[70:71]
	v_div_scale_f64 v[70:71], vcc, s[0:1], v[64:65], s[0:1]
	v_mul_f64 v[80:81], v[70:71], v[68:69]
	v_fma_f64 v[66:67], -v[66:67], v[80:81], v[70:71]
	v_mov_b32_e32 v70, 0xab5454e3
	s_nop 0
	v_div_fmas_f64 v[66:67], v[66:67], v[68:69], v[80:81]
	v_div_fixup_f64 v[64:65], v[66:67], v[64:65], s[0:1]
	v_mov_b32_e32 v66, 0x983b6b27
	v_mov_b32_e32 v67, 0x3f4a1d30
	v_fmac_f64_e32 v[66:67], 0, v[64:65]
	v_mov_b32_e32 v68, 0xb35dd1cf
	v_mov_b32_e32 v69, 0x3fb534b0
	v_fmac_f64_e32 v[68:69], v[64:65], v[66:67]
	;; [unrolled: 3-line block ×7, first 2 shown]
	v_mov_b32_e32 v71, 0x3fb5ebc5
	v_fmac_f64_e32 v[70:71], v[64:65], v[66:67]
	v_mov_b32_e32 v66, 0xc9b3069f
	v_mov_b32_e32 v67, 0x3ff40e72
	v_fmac_f64_e32 v[66:67], v[64:65], v[70:71]
	v_mov_b32_e32 v70, 0xe68162bb
	;; [unrolled: 3-line block ×4, first 2 shown]
	v_mov_b32_e32 v71, 0x40153965
	v_fmac_f64_e32 v[70:71], v[64:65], v[66:67]
	v_fma_f64 v[66:67], v[64:65], v[70:71], 1.0
	v_mov_b32_e32 v70, 0x38a5384a
	v_mov_b32_e32 v71, 0xbf874742
	v_fmac_f64_e32 v[70:71], 0, v[64:65]
	v_mov_b32_e32 v80, 0x3a321174
	v_mov_b32_e32 v81, 0xbff4853b
	v_fmac_f64_e32 v[80:81], v[64:65], v[70:71]
	;; [unrolled: 3-line block ×9, first 2 shown]
	v_fmac_f64_e32 v[82:83], v[64:65], v[70:71]
	v_mov_b32_e32 v70, 0xbd748cb5
	v_mov_b32_e32 v71, 0x40ae54cd
	v_fmac_f64_e32 v[70:71], v[64:65], v[82:83]
	v_mov_b32_e32 v82, 0xbdefd63e
	v_mov_b32_e32 v83, 0x40bc4877
	;; [unrolled: 3-line block ×4, first 2 shown]
	v_fma_f64 v[68:69], v[64:65], v[68:69], 1.0
	v_fmac_f64_e32 v[82:83], v[64:65], v[70:71]
	v_div_scale_f64 v[70:71], s[0:1], v[66:67], v[66:67], v[68:69]
	v_rcp_f64_e32 v[84:85], v[70:71]
	v_mov_b32_e32 v87, 0x406e402f
	v_fmac_f64_e32 v[86:87], v[64:65], v[82:83]
	s_mov_b32 s0, 0x9037ab78
	v_fma_f64 v[64:65], -v[70:71], v[84:85], 1.0
	v_fmac_f64_e32 v[84:85], v[84:85], v[64:65]
	v_fma_f64 v[64:65], -v[70:71], v[84:85], 1.0
	v_fmac_f64_e32 v[84:85], v[84:85], v[64:65]
	v_div_scale_f64 v[64:65], vcc, v[68:69], v[66:67], v[68:69]
	v_mul_f64 v[82:83], v[64:65], v[84:85]
	v_fma_f64 v[64:65], -v[70:71], v[82:83], v[64:65]
	s_mov_b32 s1, 0x3e21eeb6
	s_nop 0
	v_div_fmas_f64 v[64:65], v[64:65], v[84:85], v[82:83]
	s_mov_b32 s6, 0x46cc5e42
	v_div_fixup_f64 v[64:65], v[64:65], v[66:67], v[68:69]
	v_mul_f64 v[66:67], v[36:37], v[36:37]
	s_mov_b32 s7, 0xbda907db
	v_mov_b64_e32 v[84:85], s[0:1]
	s_mov_b32 s8, 0xa17f65f6
	v_mul_f64 v[68:69], v[66:67], 0.5
	v_fma_f64 v[96:97], s[6:7], v[66:67], v[84:85]
	s_mov_b32 s9, 0xbe927e4f
	s_mov_b32 s10, 0x19f4ec90
	v_add_f64 v[70:71], -v[68:69], 1.0
	v_fma_f64 v[96:97], v[66:67], v[96:97], s[8:9]
	s_mov_b32 s11, 0x3efa01a0
	s_mov_b32 s12, 0x16c16967
	v_add_f64 v[82:83], -v[70:71], 1.0
	v_fma_f64 v[96:97], v[66:67], v[96:97], s[10:11]
	s_mov_b32 s13, 0xbf56c16c
	s_mov_b32 s14, 0x55555555
	v_add_f64 v[68:69], v[82:83], -v[68:69]
	v_fma_f64 v[96:97], v[66:67], v[96:97], s[12:13]
	s_mov_b32 s15, 0x3fa55555
	v_mul_f64 v[82:83], v[66:67], v[66:67]
	v_fma_f64 v[96:97], v[66:67], v[96:97], s[14:15]
	v_fma_f64 v[68:69], v[36:37], -v[38:39], v[68:69]
	s_mov_b32 s0, 0xb42fdfa7
	v_fmac_f64_e32 v[68:69], v[82:83], v[96:97]
	s_mov_b32 s1, 0xbe5ae600
	s_mov_b32 s16, 0xf9a43bb8
	v_add_f64 v[68:69], v[70:71], v[68:69]
	s_mov_b32 s17, 0x3de5e0b2
	v_mov_b64_e32 v[70:71], s[0:1]
	s_mov_b32 s18, 0x796cde01
	v_fma_f64 v[82:83], s[16:17], v[66:67], v[70:71]
	s_mov_b32 s19, 0x3ec71de3
	s_mov_b32 s20, 0x19e83e5c
	v_fma_f64 v[82:83], v[66:67], v[82:83], s[18:19]
	s_mov_b32 s21, 0xbf2a01a0
	;; [unrolled: 3-line block ×3, first 2 shown]
	v_fma_f64 v[82:83], v[66:67], v[82:83], s[22:23]
	v_mul_f64 v[96:97], v[36:37], -v[66:67]
	v_mul_f64 v[98:99], v[38:39], 0.5
	v_fmac_f64_e32 v[98:99], v[96:97], v[82:83]
	v_fma_f64 v[38:39], v[66:67], v[98:99], -v[38:39]
	s_mov_b32 s25, 0xbfc55555
	s_mov_b32 s24, s14
	v_fmac_f64_e32 v[38:39], s[24:25], v[96:97]
	v_add_f64 v[36:37], v[36:37], -v[38:39]
	v_and_b32_e32 v38, 1, v49
	v_cmp_eq_u32_e32 vcc, 0, v38
	s_mov_b32 s26, 0
	s_mov_b32 s27, 0x40140000
	v_cndmask_b32_e32 v66, v68, v36, vcc
	v_cndmask_b32_e32 v36, v69, v37, vcc
	v_lshlrev_b32_e32 v37, 30, v49
	v_xor_b32_e32 v37, v37, v31
	v_and_b32_e32 v37, 0x80000000, v37
	v_xor_b32_e32 v49, v36, v37
	v_div_scale_f64 v[36:37], s[0:1], v[32:33], v[32:33], s[26:27]
	v_rcp_f64_e32 v[38:39], v[36:37]
	s_movk_i32 s28, 0x1f8
	v_cmp_class_f64_e64 s[0:1], v[30:31], s28
	v_mov_b32_e32 v96, 0x7ff80000
	s_nop 0
	v_cndmask_b32_e64 v30, 0, v66, s[0:1]
	v_fma_f64 v[66:67], -v[36:37], v[38:39], 1.0
	v_fmac_f64_e32 v[38:39], v[38:39], v[66:67]
	v_fma_f64 v[66:67], -v[36:37], v[38:39], 1.0
	v_fmac_f64_e32 v[38:39], v[38:39], v[66:67]
	v_div_scale_f64 v[66:67], vcc, s[26:27], v[32:33], s[26:27]
	v_mul_f64 v[68:69], v[66:67], v[38:39]
	v_fma_f64 v[36:37], -v[36:37], v[68:69], v[66:67]
	v_div_scale_f64 v[66:67], s[28:29], v[86:87], v[86:87], v[80:81]
	v_rcp_f64_e32 v[82:83], v[66:67]
	v_div_fmas_f64 v[36:37], v[36:37], v[38:39], v[68:69]
	v_div_fixup_f64 v[36:37], v[36:37], v[32:33], s[26:27]
	v_cndmask_b32_e64 v31, v96, v49, s[0:1]
	v_fma_f64 v[38:39], -v[66:67], v[82:83], 1.0
	v_fmac_f64_e32 v[82:83], v[82:83], v[38:39]
	v_fma_f64 v[38:39], -v[66:67], v[82:83], 1.0
	v_fmac_f64_e32 v[82:83], v[82:83], v[38:39]
	v_div_scale_f64 v[38:39], vcc, v[80:81], v[86:87], v[80:81]
	v_mul_f64 v[68:69], v[38:39], v[82:83]
	v_fma_f64 v[38:39], -v[66:67], v[68:69], v[38:39]
	v_and_b32_e32 v49, 1, v51
	s_nop 0
	v_div_fmas_f64 v[38:39], v[38:39], v[82:83], v[68:69]
	v_div_fixup_f64 v[38:39], v[38:39], v[86:87], v[80:81]
	v_mul_f64 v[36:37], v[36:37], v[38:39]
	v_mul_f64 v[38:39], v[52:53], v[52:53]
	v_mul_f64 v[66:67], v[38:39], 0.5
	v_fmac_f64_e32 v[84:85], s[6:7], v[38:39]
	v_add_f64 v[68:69], -v[66:67], 1.0
	v_fma_f64 v[82:83], v[38:39], v[84:85], s[8:9]
	v_add_f64 v[80:81], -v[68:69], 1.0
	v_fma_f64 v[82:83], v[38:39], v[82:83], s[10:11]
	v_add_f64 v[66:67], v[80:81], -v[66:67]
	v_fma_f64 v[82:83], v[38:39], v[82:83], s[12:13]
	v_mul_f64 v[80:81], v[38:39], v[38:39]
	v_fma_f64 v[82:83], v[38:39], v[82:83], s[14:15]
	v_fma_f64 v[66:67], v[52:53], -v[54:55], v[66:67]
	v_fmac_f64_e32 v[66:67], v[80:81], v[82:83]
	v_fmac_f64_e32 v[70:71], s[16:17], v[38:39]
	v_add_f64 v[66:67], v[68:69], v[66:67]
	v_fma_f64 v[68:69], v[38:39], v[70:71], s[18:19]
	v_fma_f64 v[68:69], v[38:39], v[68:69], s[20:21]
	;; [unrolled: 1-line block ×3, first 2 shown]
	v_mul_f64 v[70:71], v[52:53], -v[38:39]
	v_mul_f64 v[80:81], v[54:55], 0.5
	v_fmac_f64_e32 v[80:81], v[70:71], v[68:69]
	v_fma_f64 v[38:39], v[38:39], v[80:81], -v[54:55]
	v_fmac_f64_e32 v[38:39], s[24:25], v[70:71]
	v_add_f64 v[38:39], v[52:53], -v[38:39]
	v_xor_b32_e32 v39, 0x80000000, v39
	v_cmp_eq_u32_e32 vcc, 0, v49
	v_lshlrev_b32_e32 v49, 30, v51
	v_and_b32_e32 v49, 0x80000000, v49
	v_cndmask_b32_e32 v39, v39, v67, vcc
	v_cndmask_b32_e32 v38, v38, v66, vcc
	v_xor_b32_e32 v39, v39, v49
	v_cndmask_b32_e64 v38, 0, v38, s[0:1]
	v_cndmask_b32_e64 v39, v96, v39, s[0:1]
	s_mov_b32 s0, 0
	s_brev_b32 s1, 8
	v_mul_f64 v[36:37], v[36:37], v[38:39]
	v_cmp_gt_f64_e32 vcc, s[0:1], v[32:33]
	v_fmac_f64_e32 v[36:37], v[64:65], v[30:31]
	s_mov_b32 s0, 0x33d43651
	v_cndmask_b32_e64 v30, 0, 1, vcc
	v_lshlrev_b32_e32 v30, 8, v30
	v_ldexp_f64 v[30:31], v[32:33], v30
	v_rsq_f64_e32 v[32:33], v[30:31]
	s_mov_b32 s1, 0x3fe98845
	v_mul_f64 v[36:37], v[36:37], s[0:1]
	v_mul_f64 v[38:39], v[30:31], v[32:33]
	v_mul_f64 v[32:33], v[32:33], 0.5
	v_fma_f64 v[52:53], -v[32:33], v[38:39], 0.5
	v_fmac_f64_e32 v[38:39], v[38:39], v[52:53]
	v_fma_f64 v[54:55], -v[38:39], v[38:39], v[30:31]
	v_fmac_f64_e32 v[32:33], v[32:33], v[52:53]
	v_fmac_f64_e32 v[38:39], v[54:55], v[32:33]
	v_fma_f64 v[52:53], -v[38:39], v[38:39], v[30:31]
	v_fmac_f64_e32 v[38:39], v[52:53], v[32:33]
	v_mov_b32_e32 v32, 0xffffff80
	v_cndmask_b32_e32 v32, 0, v32, vcc
	v_ldexp_f64 v[32:33], v[38:39], v32
	v_mov_b32_e32 v38, 0x260
	v_cmp_class_f64_e32 vcc, v[30:31], v38
	s_nop 1
	v_cndmask_b32_e32 v31, v33, v31, vcc
	v_cndmask_b32_e32 v30, v32, v30, vcc
	v_div_scale_f64 v[32:33], s[0:1], v[30:31], v[30:31], v[36:37]
	v_rcp_f64_e32 v[38:39], v[32:33]
	s_nop 0
	v_fma_f64 v[52:53], -v[32:33], v[38:39], 1.0
	v_fmac_f64_e32 v[38:39], v[38:39], v[52:53]
	v_fma_f64 v[52:53], -v[32:33], v[38:39], 1.0
	v_fmac_f64_e32 v[38:39], v[38:39], v[52:53]
	v_div_scale_f64 v[52:53], vcc, v[36:37], v[30:31], v[36:37]
	v_mul_f64 v[54:55], v[52:53], v[38:39]
	v_fma_f64 v[32:33], -v[32:33], v[54:55], v[52:53]
	s_nop 1
	v_div_fmas_f64 v[32:33], v[32:33], v[38:39], v[54:55]
	v_div_fixup_f64 v[30:31], v[32:33], v[30:31], v[36:37]
.LBB5_140:
	s_or_b64 exec, exec, s[4:5]
	s_mov_b32 s0, 0
	s_mov_b32 s1, 0x40140000
	v_cmp_ge_f64_e32 vcc, s[0:1], v[34:35]
	s_and_saveexec_b64 s[0:1], vcc
	s_xor_b64 s[0:1], exec, s[0:1]
	s_cbranch_execz .LBB5_150
; %bb.141:
	v_mov_b32_e32 v32, 0
	v_cmp_neq_f64_e32 vcc, 0, v[34:35]
	v_mov_b32_e32 v33, 0xfff00000
	s_and_saveexec_b64 s[4:5], vcc
	s_cbranch_execz .LBB5_149
; %bb.142:
	v_mov_b32_e32 v32, 0
	v_cmp_ngt_f64_e32 vcc, 0, v[34:35]
	v_mov_b32_e32 v33, 0x7ff80000
	s_and_saveexec_b64 s[6:7], vcc
	s_cbranch_execz .LBB5_148
; %bb.143:
	s_mov_b32 s8, 0x88e368f1
	v_mul_f64 v[32:33], v[34:35], v[34:35]
	s_mov_b32 s9, 0x3ee4f8b5
	v_mul_f64 v[38:39], v[32:33], 0
	v_cmp_ngt_f64_e32 vcc, s[8:9], v[34:35]
                                        ; implicit-def: $vgpr36_vgpr37
	s_and_saveexec_b64 s[8:9], vcc
	s_xor_b64 s[8:9], exec, s[8:9]
	s_cbranch_execz .LBB5_145
; %bb.144:
	s_mov_b32 s10, 0xad1c8325
	s_mov_b32 s11, 0xc1f1dc53
	v_add_f64 v[36:37], v[38:39], s[10:11]
	v_mov_b32_e32 v52, 0xc772990d
	v_mov_b32_e32 v53, 0x427c7751
	s_mov_b32 s10, 0xa696b78c
	v_fmac_f64_e32 v[52:53], v[32:33], v[36:37]
	v_mov_b32_e32 v36, 0xe0d900f7
	v_mov_b32_e32 v37, 0xc2ec5614
	s_mov_b32 s11, 0x407f3902
	v_fmac_f64_e32 v[36:37], v[32:33], v[52:53]
	v_add_f64 v[52:53], v[38:39], s[10:11]
	v_mov_b32_e32 v54, 0x36a21a67
	v_mov_b32_e32 v55, 0x410536cb
	v_fmac_f64_e32 v[54:55], v[32:33], v[52:53]
	v_mov_b32_e32 v52, 0x2eac0634
	v_mov_b32_e32 v53, 0x41871934
	v_fmac_f64_e32 v[52:53], v[32:33], v[54:55]
	;; [unrolled: 3-line block ×6, first 2 shown]
	v_mov_b32_e32 v54, 0xc7b662cc
	v_mov_b32_e32 v55, 0x43b7be34
	s_mov_b32 s10, 0x80462bbb
	v_fmac_f64_e32 v[54:55], v[32:33], v[52:53]
	v_mov_b32_e32 v52, 0x69ff5fb4
	v_mov_b32_e32 v53, 0x43413ef8
	s_mov_b32 s11, 0xc01721fb
	v_fmac_f64_e32 v[52:53], v[32:33], v[36:37]
	v_add_f64 v[36:37], v[32:33], s[10:11]
	s_mov_b32 s10, 0xa621dd6f
	s_mov_b32 s11, 0xc03e78a4
	v_add_f64 v[64:65], v[32:33], s[10:11]
	v_mul_f64 v[36:37], v[36:37], v[64:65]
	v_mul_f64 v[36:37], v[36:37], v[52:53]
	v_div_scale_f64 v[52:53], s[10:11], v[54:55], v[54:55], v[36:37]
	v_rcp_f64_e32 v[64:65], v[52:53]
	s_nop 0
	v_fma_f64 v[66:67], -v[52:53], v[64:65], 1.0
	v_fmac_f64_e32 v[64:65], v[64:65], v[66:67]
	v_fma_f64 v[66:67], -v[52:53], v[64:65], 1.0
	v_fmac_f64_e32 v[64:65], v[64:65], v[66:67]
	v_div_scale_f64 v[66:67], vcc, v[36:37], v[54:55], v[36:37]
	v_mul_f64 v[68:69], v[66:67], v[64:65]
	v_fma_f64 v[52:53], -v[52:53], v[68:69], v[66:67]
	s_nop 1
	v_div_fmas_f64 v[52:53], v[52:53], v[64:65], v[68:69]
	v_div_fixup_f64 v[36:37], v[52:53], v[54:55], v[36:37]
.LBB5_145:
	s_andn2_saveexec_b64 s[8:9], s[8:9]
; %bb.146:
	s_mov_b32 s10, 0
	s_mov_b32 s11, 0xbfd00000
	v_fma_f64 v[36:37], v[32:33], s[10:11], 1.0
; %bb.147:
	s_or_b64 exec, exec, s[8:9]
	s_mov_b32 s8, 0xe896898f
	s_mov_b32 s9, 0x40ce7437
	v_add_f64 v[52:53], v[38:39], s[8:9]
	v_mov_b32_e32 v54, 0x32e48896
	v_mov_b32_e32 v55, 0xc16bf81f
	v_fmac_f64_e32 v[54:55], v[32:33], v[52:53]
	v_mov_b32_e32 v52, 0xf0284cdd
	v_mov_b32_e32 v53, 0x41f43f78
	v_fmac_f64_e32 v[52:53], v[32:33], v[54:55]
	;; [unrolled: 3-line block ×4, first 2 shown]
	v_mov_b32_e32 v54, 0xd1d8cc02
	v_mov_b32_e32 v55, 0xc328a121
	s_mov_b32 s8, 0x576dfcb6
	v_fmac_f64_e32 v[54:55], v[32:33], v[52:53]
	v_mov_b32_e32 v52, 0x660b4003
	v_mov_b32_e32 v53, 0x4363a94b
	s_mov_b32 s9, 0x40904522
	v_fmac_f64_e32 v[52:53], v[32:33], v[54:55]
	v_add_f64 v[38:39], v[38:39], s[8:9]
	v_mov_b32_e32 v54, 0xa907bc0c
	v_mov_b32_e32 v55, 0x41231b76
	v_fmac_f64_e32 v[54:55], v[32:33], v[38:39]
	v_mov_b32_e32 v38, 0x5164d101
	v_mov_b32_e32 v39, 0x41b00763
	v_fmac_f64_e32 v[38:39], v[32:33], v[54:55]
	;; [unrolled: 3-line block ×7, first 2 shown]
	v_div_scale_f64 v[32:33], s[8:9], v[38:39], v[38:39], v[54:55]
	v_rcp_f64_e32 v[52:53], v[32:33]
	s_mov_b32 s8, 0x55555555
	v_frexp_exp_i32_f64_e32 v49, v[34:35]
	v_frexp_mant_f64_e32 v[34:35], v[34:35]
	v_fma_f64 v[64:65], -v[32:33], v[52:53], 1.0
	v_fmac_f64_e32 v[52:53], v[52:53], v[64:65]
	v_fma_f64 v[64:65], -v[32:33], v[52:53], 1.0
	v_fmac_f64_e32 v[52:53], v[52:53], v[64:65]
	v_div_scale_f64 v[64:65], vcc, v[54:55], v[38:39], v[54:55]
	v_mul_f64 v[66:67], v[64:65], v[52:53]
	v_fma_f64 v[32:33], -v[32:33], v[66:67], v[64:65]
	s_mov_b32 s9, 0x3fe55555
	s_nop 0
	v_div_fmas_f64 v[32:33], v[32:33], v[52:53], v[66:67]
	v_div_fixup_f64 v[32:33], v[32:33], v[38:39], v[54:55]
	v_mov_b32_e32 v38, 0x3ff00000
	v_cmp_gt_f64_e32 vcc, s[8:9], v[34:35]
	s_mov_b32 s8, 0xbf559e2b
	s_mov_b32 s9, 0x3fc3ab76
	v_cndmask_b32_e64 v39, v38, 2.0, vcc
	v_mov_b32_e32 v38, 0
	v_mul_f64 v[34:35], v[34:35], v[38:39]
	v_add_f64 v[38:39], v[34:35], 1.0
	v_rcp_f64_e32 v[52:53], v[38:39]
	v_add_f64 v[64:65], v[38:39], -1.0
	v_add_f64 v[54:55], v[34:35], -1.0
	v_add_f64 v[34:35], v[34:35], -v[64:65]
	v_fma_f64 v[64:65], -v[38:39], v[52:53], 1.0
	v_fmac_f64_e32 v[52:53], v[64:65], v[52:53]
	v_fma_f64 v[64:65], -v[38:39], v[52:53], 1.0
	v_fmac_f64_e32 v[52:53], v[64:65], v[52:53]
	v_mul_f64 v[64:65], v[54:55], v[52:53]
	v_mul_f64 v[66:67], v[38:39], v[64:65]
	v_fma_f64 v[38:39], v[64:65], v[38:39], -v[66:67]
	v_fmac_f64_e32 v[38:39], v[64:65], v[34:35]
	v_add_f64 v[34:35], v[66:67], v[38:39]
	v_add_f64 v[68:69], v[54:55], -v[34:35]
	v_add_f64 v[66:67], v[34:35], -v[66:67]
	v_add_f64 v[54:55], v[54:55], -v[68:69]
	v_add_f64 v[34:35], v[54:55], -v[34:35]
	v_add_f64 v[38:39], v[66:67], -v[38:39]
	v_add_f64 v[34:35], v[38:39], v[34:35]
	v_add_f64 v[34:35], v[68:69], v[34:35]
	v_mul_f64 v[34:35], v[52:53], v[34:35]
	v_add_f64 v[38:39], v[64:65], v[34:35]
	v_add_f64 v[52:53], v[38:39], -v[64:65]
	v_add_f64 v[34:35], v[34:35], -v[52:53]
	v_mul_f64 v[52:53], v[38:39], v[38:39]
	v_mov_b32_e32 v54, 0x6b47b09a
	v_mov_b32_e32 v55, 0x3fc38538
	v_fmac_f64_e32 v[54:55], s[8:9], v[52:53]
	v_mov_b32_e32 v64, 0xd7f4df2e
	v_mov_b32_e32 v65, 0x3fc7474d
	v_fmac_f64_e32 v[64:65], v[52:53], v[54:55]
	v_mov_b32_e32 v54, 0x16291751
	v_mov_b32_e32 v55, 0x3fcc71c0
	v_fmac_f64_e32 v[54:55], v[52:53], v[64:65]
	v_mov_b32_e32 v64, 0x9b27acf1
	v_mov_b32_e32 v65, 0x3fd24924
	v_fmac_f64_e32 v[64:65], v[52:53], v[54:55]
	v_mov_b32_e32 v54, 0x998ef7b6
	v_mov_b32_e32 v55, 0x3fd99999
	v_fmac_f64_e32 v[54:55], v[52:53], v[64:65]
	v_mov_b32_e32 v64, 0x55555780
	v_mov_b32_e32 v65, 0x3fe55555
	v_fmac_f64_e32 v[64:65], v[52:53], v[54:55]
	v_ldexp_f64 v[54:55], v[38:39], 1
	v_mul_f64 v[38:39], v[38:39], v[52:53]
	v_mul_f64 v[38:39], v[38:39], v[64:65]
	v_add_f64 v[52:53], v[54:55], v[38:39]
	v_add_f64 v[54:55], v[52:53], -v[54:55]
	v_ldexp_f64 v[34:35], v[34:35], 1
	v_add_f64 v[38:39], v[38:39], -v[54:55]
	v_add_f64 v[34:35], v[34:35], v[38:39]
	v_add_f64 v[38:39], v[52:53], v[34:35]
	v_subbrev_co_u32_e32 v49, vcc, 0, v49, vcc
	v_add_f64 v[52:53], v[38:39], -v[52:53]
	s_mov_b32 s8, 0xfefa39ef
	v_add_f64 v[34:35], v[34:35], -v[52:53]
	v_cvt_f64_i32_e32 v[52:53], v49
	s_mov_b32 s9, 0x3fe62e42
	v_mul_f64 v[54:55], v[52:53], s[8:9]
	v_fma_f64 v[64:65], v[52:53], s[8:9], -v[54:55]
	s_mov_b32 s8, 0x3b39803f
	s_mov_b32 s9, 0x3c7abc9e
	v_fmac_f64_e32 v[64:65], s[8:9], v[52:53]
	v_add_f64 v[52:53], v[54:55], v[64:65]
	v_add_f64 v[54:55], v[52:53], -v[54:55]
	v_add_f64 v[54:55], v[64:65], -v[54:55]
	v_add_f64 v[64:65], v[52:53], v[38:39]
	v_add_f64 v[66:67], v[64:65], -v[52:53]
	v_add_f64 v[68:69], v[64:65], -v[66:67]
	;; [unrolled: 1-line block ×4, first 2 shown]
	v_add_f64 v[38:39], v[38:39], v[52:53]
	v_add_f64 v[52:53], v[54:55], v[34:35]
	v_add_f64 v[66:67], v[52:53], -v[54:55]
	v_add_f64 v[68:69], v[52:53], -v[66:67]
	v_add_f64 v[38:39], v[52:53], v[38:39]
	v_add_f64 v[54:55], v[54:55], -v[68:69]
	v_add_f64 v[34:35], v[34:35], -v[66:67]
	v_add_f64 v[52:53], v[64:65], v[38:39]
	v_add_f64 v[34:35], v[34:35], v[54:55]
	v_add_f64 v[54:55], v[52:53], -v[64:65]
	v_add_f64 v[38:39], v[38:39], -v[54:55]
	v_add_f64 v[34:35], v[34:35], v[38:39]
	s_mov_b32 s8, 0x6dc9c883
	v_add_f64 v[34:35], v[52:53], v[34:35]
	s_mov_b32 s9, 0x3fe45f30
	v_mul_f64 v[34:35], v[34:35], s[8:9]
	v_fmac_f64_e32 v[32:33], v[34:35], v[36:37]
.LBB5_148:
	s_or_b64 exec, exec, s[6:7]
.LBB5_149:
	s_or_b64 exec, exec, s[4:5]
                                        ; implicit-def: $vgpr34_vgpr35
.LBB5_150:
	s_andn2_saveexec_b64 s[4:5], s[0:1]
	s_cbranch_execz .LBB5_160
; %bb.151:
	s_mov_b32 s9, 0xbfe921fb
	s_mov_b32 s8, 0x54442d18
	;; [unrolled: 1-line block ×3, first 2 shown]
	v_add_f64 v[32:33], v[34:35], s[8:9]
	s_mov_b32 s1, 0x41d00000
	v_cmp_nlt_f64_e64 s[6:7], |v[32:33]|, s[0:1]
	v_trig_preop_f64 v[68:69], |v[32:33]|, 0
	v_trig_preop_f64 v[66:67], |v[32:33]|, 1
	;; [unrolled: 1-line block ×3, first 2 shown]
                                        ; implicit-def: $vgpr49
                                        ; implicit-def: $vgpr36_vgpr37
                                        ; implicit-def: $vgpr38_vgpr39
	s_and_saveexec_b64 s[0:1], s[6:7]
	s_xor_b64 s[10:11], exec, s[0:1]
	s_cbranch_execz .LBB5_153
; %bb.152:
	s_mov_b32 s0, 0
	s_mov_b32 s1, 0x7b000000
	s_movk_i32 s9, 0xff80
	v_and_b32_e32 v38, 0x7fffffff, v33
	v_ldexp_f64 v[36:37], |v[32:33]|, s9
	v_cmp_ge_f64_e64 vcc, |v[32:33]|, s[0:1]
	s_mov_b32 s0, 0
	s_mov_b32 s1, 0x7ff00000
	v_cndmask_b32_e32 v37, v38, v37, vcc
	v_cndmask_b32_e32 v36, v32, v36, vcc
	v_mul_f64 v[52:53], v[68:69], v[36:37]
	v_mul_f64 v[38:39], v[66:67], v[36:37]
	v_fma_f64 v[54:55], v[68:69], v[36:37], -v[52:53]
	v_add_f64 v[70:71], v[38:39], v[54:55]
	v_add_f64 v[80:81], v[52:53], v[70:71]
	v_ldexp_f64 v[82:83], v[80:81], -2
	v_fract_f64_e32 v[84:85], v[82:83]
	v_cmp_neq_f64_e64 vcc, |v[82:83]|, s[0:1]
	v_add_f64 v[52:53], v[80:81], -v[52:53]
	v_add_f64 v[52:53], v[70:71], -v[52:53]
	v_cndmask_b32_e32 v83, 0, v85, vcc
	v_cndmask_b32_e32 v82, 0, v84, vcc
	v_add_f64 v[84:85], v[70:71], -v[38:39]
	v_add_f64 v[54:55], v[54:55], -v[84:85]
	;; [unrolled: 1-line block ×4, first 2 shown]
	v_add_f64 v[54:55], v[54:55], v[84:85]
	v_fma_f64 v[38:39], v[66:67], v[36:37], -v[38:39]
	v_mul_f64 v[84:85], v[64:65], v[36:37]
	v_add_f64 v[96:97], v[84:85], v[38:39]
	v_add_f64 v[98:99], v[96:97], v[54:55]
	v_add_f64 v[80:81], v[98:99], -v[96:97]
	v_add_f64 v[54:55], v[54:55], -v[80:81]
	;; [unrolled: 1-line block ×4, first 2 shown]
	v_add_f64 v[54:55], v[54:55], v[80:81]
	v_add_f64 v[80:81], v[96:97], -v[84:85]
	v_add_f64 v[38:39], v[38:39], -v[80:81]
	;; [unrolled: 1-line block ×4, first 2 shown]
	v_add_f64 v[70:71], v[52:53], v[98:99]
	v_add_f64 v[38:39], v[38:39], v[80:81]
	v_add_f64 v[52:53], v[70:71], -v[52:53]
	v_add_f64 v[38:39], v[38:39], v[54:55]
	v_fma_f64 v[36:37], v[64:65], v[36:37], -v[84:85]
	v_add_f64 v[52:53], v[98:99], -v[52:53]
	v_add_f64 v[36:37], v[36:37], v[38:39]
	v_ldexp_f64 v[38:39], v[82:83], 2
	v_add_f64 v[36:37], v[52:53], v[36:37]
	v_add_f64 v[52:53], v[70:71], v[38:39]
	v_mov_b32_e32 v49, 0x40100000
	v_cmp_gt_f64_e32 vcc, 0, v[52:53]
	v_mov_b32_e32 v86, 0
	s_mov_b32 s9, 0x3ff921fb
	v_cndmask_b32_e32 v87, 0, v49, vcc
	v_add_f64 v[38:39], v[38:39], v[86:87]
	v_add_f64 v[52:53], v[70:71], v[38:39]
	v_cvt_i32_f64_e32 v49, v[52:53]
	v_cvt_f64_i32_e32 v[52:53], v49
	v_add_f64 v[38:39], v[38:39], -v[52:53]
	v_add_f64 v[52:53], v[70:71], v[38:39]
	v_add_f64 v[38:39], v[52:53], -v[38:39]
	v_add_f64 v[38:39], v[70:71], -v[38:39]
	v_add_f64 v[36:37], v[36:37], v[38:39]
	v_cmp_le_f64_e32 vcc, 0.5, v[52:53]
	v_mov_b32_e32 v38, 0x3ff00000
	s_nop 0
	v_cndmask_b32_e32 v87, 0, v38, vcc
	v_add_f64 v[38:39], v[52:53], -v[86:87]
	v_add_f64 v[52:53], v[38:39], v[36:37]
	v_addc_co_u32_e64 v49, s[0:1], 0, v49, vcc
	v_add_f64 v[38:39], v[52:53], -v[38:39]
	v_add_f64 v[36:37], v[36:37], -v[38:39]
	v_mul_f64 v[38:39], v[52:53], s[8:9]
	s_mov_b32 s0, 0x33145c07
	v_fma_f64 v[54:55], v[52:53], s[8:9], -v[38:39]
	s_mov_b32 s1, 0x3c91a626
	v_fmac_f64_e32 v[54:55], s[0:1], v[52:53]
	v_fmac_f64_e32 v[54:55], s[8:9], v[36:37]
	v_add_f64 v[36:37], v[38:39], v[54:55]
	v_add_f64 v[38:39], v[36:37], -v[38:39]
	v_add_f64 v[38:39], v[54:55], -v[38:39]
	s_andn2_saveexec_b64 s[0:1], s[10:11]
	s_cbranch_execz .LBB5_155
	s_branch .LBB5_154
.LBB5_153:
	s_andn2_saveexec_b64 s[0:1], s[10:11]
	s_cbranch_execz .LBB5_155
.LBB5_154:
	s_mov_b32 s8, 0x6dc9c883
	s_mov_b32 s9, 0x3fe45f30
	v_mul_f64 v[36:37], |v[32:33]|, s[8:9]
	s_mov_b32 s8, 0x54442d18
	v_rndne_f64_e32 v[52:53], v[36:37]
	s_mov_b32 s9, 0xbff921fb
	v_fma_f64 v[36:37], v[52:53], s[8:9], |v[32:33]|
	s_mov_b32 s9, 0xbc91a626
	s_mov_b32 s8, 0x33145c00
	v_mul_f64 v[54:55], v[52:53], s[8:9]
	v_add_f64 v[80:81], v[36:37], v[54:55]
	v_fma_f64 v[38:39], s[8:9], v[52:53], v[36:37]
	s_mov_b32 s9, 0x3c91a626
	v_add_f64 v[36:37], v[36:37], -v[80:81]
	v_fma_f64 v[70:71], s[8:9], v[52:53], v[54:55]
	v_add_f64 v[36:37], v[36:37], v[54:55]
	v_add_f64 v[54:55], v[80:81], -v[38:39]
	v_add_f64 v[36:37], v[54:55], v[36:37]
	s_mov_b32 s8, 0x252049c0
	v_add_f64 v[54:55], v[36:37], -v[70:71]
	s_mov_b32 s9, 0xb97b839a
	v_fmac_f64_e32 v[54:55], s[8:9], v[52:53]
	v_add_f64 v[36:37], v[38:39], v[54:55]
	v_add_f64 v[38:39], v[36:37], -v[38:39]
	v_add_f64 v[38:39], v[54:55], -v[38:39]
	v_cvt_i32_f64_e32 v49, v[52:53]
.LBB5_155:
	s_or_b64 exec, exec, s[0:1]
                                        ; implicit-def: $vgpr51
                                        ; implicit-def: $vgpr52_vgpr53
                                        ; implicit-def: $vgpr54_vgpr55
	s_and_saveexec_b64 s[0:1], s[6:7]
	s_xor_b64 s[6:7], exec, s[0:1]
	s_cbranch_execz .LBB5_157
; %bb.156:
	s_mov_b32 s0, 0
	s_mov_b32 s1, 0x7b000000
	s_movk_i32 s8, 0xff80
	v_and_b32_e32 v51, 0x7fffffff, v33
	v_ldexp_f64 v[52:53], |v[32:33]|, s8
	v_cmp_ge_f64_e64 vcc, |v[32:33]|, s[0:1]
	s_mov_b32 s0, 0
	s_mov_b32 s1, 0x7ff00000
	v_cndmask_b32_e32 v53, v51, v53, vcc
	v_cndmask_b32_e32 v52, v32, v52, vcc
	v_mul_f64 v[70:71], v[68:69], v[52:53]
	v_mul_f64 v[54:55], v[66:67], v[52:53]
	v_fma_f64 v[68:69], v[68:69], v[52:53], -v[70:71]
	v_add_f64 v[80:81], v[54:55], v[68:69]
	v_add_f64 v[82:83], v[70:71], v[80:81]
	v_ldexp_f64 v[84:85], v[82:83], -2
	v_fract_f64_e32 v[86:87], v[84:85]
	v_cmp_neq_f64_e64 vcc, |v[84:85]|, s[0:1]
	v_add_f64 v[70:71], v[82:83], -v[70:71]
	v_add_f64 v[70:71], v[80:81], -v[70:71]
	v_cndmask_b32_e32 v85, 0, v87, vcc
	v_cndmask_b32_e32 v84, 0, v86, vcc
	v_add_f64 v[86:87], v[80:81], -v[54:55]
	v_add_f64 v[68:69], v[68:69], -v[86:87]
	;; [unrolled: 1-line block ×4, first 2 shown]
	v_fma_f64 v[54:55], v[66:67], v[52:53], -v[54:55]
	v_mul_f64 v[66:67], v[64:65], v[52:53]
	v_add_f64 v[68:69], v[68:69], v[86:87]
	v_add_f64 v[86:87], v[66:67], v[54:55]
	;; [unrolled: 1-line block ×3, first 2 shown]
	v_add_f64 v[82:83], v[98:99], -v[86:87]
	v_add_f64 v[68:69], v[68:69], -v[82:83]
	;; [unrolled: 1-line block ×4, first 2 shown]
	v_add_f64 v[68:69], v[68:69], v[82:83]
	v_add_f64 v[82:83], v[86:87], -v[66:67]
	v_add_f64 v[54:55], v[54:55], -v[82:83]
	;; [unrolled: 1-line block ×4, first 2 shown]
	v_add_f64 v[54:55], v[54:55], v[82:83]
	v_add_f64 v[54:55], v[54:55], v[68:69]
	v_fma_f64 v[52:53], v[64:65], v[52:53], -v[66:67]
	v_add_f64 v[80:81], v[70:71], v[98:99]
	v_add_f64 v[52:53], v[52:53], v[54:55]
	v_ldexp_f64 v[54:55], v[84:85], 2
	v_add_f64 v[64:65], v[80:81], v[54:55]
	v_mov_b32_e32 v51, 0x40100000
	v_cmp_gt_f64_e32 vcc, 0, v[64:65]
	v_mov_b32_e32 v96, 0
	v_add_f64 v[70:71], v[80:81], -v[70:71]
	v_cndmask_b32_e32 v97, 0, v51, vcc
	v_add_f64 v[54:55], v[54:55], v[96:97]
	v_add_f64 v[64:65], v[80:81], v[54:55]
	v_cvt_i32_f64_e32 v51, v[64:65]
	v_cvt_f64_i32_e32 v[64:65], v51
	v_add_f64 v[54:55], v[54:55], -v[64:65]
	v_add_f64 v[64:65], v[80:81], v[54:55]
	v_add_f64 v[70:71], v[98:99], -v[70:71]
	v_add_f64 v[54:55], v[64:65], -v[54:55]
	v_add_f64 v[52:53], v[70:71], v[52:53]
	v_add_f64 v[54:55], v[80:81], -v[54:55]
	v_add_f64 v[52:53], v[52:53], v[54:55]
	v_cmp_le_f64_e32 vcc, 0.5, v[64:65]
	v_mov_b32_e32 v54, 0x3ff00000
	s_mov_b32 s8, 0x33145c07
	v_cndmask_b32_e32 v97, 0, v54, vcc
	v_addc_co_u32_e64 v51, s[0:1], 0, v51, vcc
	v_add_f64 v[54:55], v[64:65], -v[96:97]
	v_add_f64 v[64:65], v[54:55], v[52:53]
	s_mov_b32 s0, 0x54442d18
	v_add_f64 v[54:55], v[64:65], -v[54:55]
	s_mov_b32 s1, 0x3ff921fb
	v_add_f64 v[52:53], v[52:53], -v[54:55]
	v_mul_f64 v[54:55], v[64:65], s[0:1]
	v_fma_f64 v[66:67], v[64:65], s[0:1], -v[54:55]
	s_mov_b32 s9, 0x3c91a626
	v_fmac_f64_e32 v[66:67], s[8:9], v[64:65]
	v_fmac_f64_e32 v[66:67], s[0:1], v[52:53]
	v_add_f64 v[52:53], v[54:55], v[66:67]
	v_add_f64 v[54:55], v[52:53], -v[54:55]
	v_add_f64 v[54:55], v[66:67], -v[54:55]
	s_andn2_saveexec_b64 s[0:1], s[6:7]
	s_cbranch_execnz .LBB5_158
	s_branch .LBB5_159
.LBB5_157:
	s_andn2_saveexec_b64 s[0:1], s[6:7]
	s_cbranch_execz .LBB5_159
.LBB5_158:
	s_mov_b32 s6, 0x6dc9c883
	s_mov_b32 s7, 0x3fe45f30
	v_mul_f64 v[52:53], |v[32:33]|, s[6:7]
	s_mov_b32 s6, 0x54442d18
	v_rndne_f64_e32 v[64:65], v[52:53]
	s_mov_b32 s7, 0xbff921fb
	v_fma_f64 v[52:53], v[64:65], s[6:7], |v[32:33]|
	s_mov_b32 s7, 0xbc91a626
	s_mov_b32 s6, 0x33145c00
	v_mul_f64 v[66:67], v[64:65], s[6:7]
	v_add_f64 v[70:71], v[52:53], v[66:67]
	v_fma_f64 v[54:55], s[6:7], v[64:65], v[52:53]
	s_mov_b32 s7, 0x3c91a626
	v_add_f64 v[52:53], v[52:53], -v[70:71]
	v_fma_f64 v[68:69], s[6:7], v[64:65], v[66:67]
	v_add_f64 v[52:53], v[52:53], v[66:67]
	v_add_f64 v[66:67], v[70:71], -v[54:55]
	v_add_f64 v[52:53], v[66:67], v[52:53]
	s_mov_b32 s6, 0x252049c0
	v_add_f64 v[66:67], v[52:53], -v[68:69]
	s_mov_b32 s7, 0xb97b839a
	v_fmac_f64_e32 v[66:67], s[6:7], v[64:65]
	v_add_f64 v[52:53], v[54:55], v[66:67]
	v_add_f64 v[54:55], v[52:53], -v[54:55]
	v_add_f64 v[54:55], v[66:67], -v[54:55]
	v_cvt_i32_f64_e32 v51, v[64:65]
.LBB5_159:
	s_or_b64 exec, exec, s[0:1]
	s_mov_b32 s0, 0
	v_mul_f64 v[64:65], v[34:35], v[34:35]
	s_mov_b32 s1, 0x40390000
	v_div_scale_f64 v[66:67], s[6:7], v[64:65], v[64:65], s[0:1]
	v_rcp_f64_e32 v[68:69], v[66:67]
	v_mov_b32_e32 v82, 0xb1759c7f
	v_mov_b32_e32 v83, 0x408ac370
	;; [unrolled: 1-line block ×3, first 2 shown]
	v_fma_f64 v[70:71], -v[66:67], v[68:69], 1.0
	v_fmac_f64_e32 v[68:69], v[68:69], v[70:71]
	v_fma_f64 v[70:71], -v[66:67], v[68:69], 1.0
	v_fmac_f64_e32 v[68:69], v[68:69], v[70:71]
	v_div_scale_f64 v[70:71], vcc, s[0:1], v[64:65], s[0:1]
	v_mul_f64 v[80:81], v[70:71], v[68:69]
	v_fma_f64 v[66:67], -v[66:67], v[80:81], v[70:71]
	v_mov_b32_e32 v70, 0xab5454e3
	s_nop 0
	v_div_fmas_f64 v[66:67], v[66:67], v[68:69], v[80:81]
	v_div_fixup_f64 v[64:65], v[66:67], v[64:65], s[0:1]
	v_mov_b32_e32 v66, 0x983b6b27
	v_mov_b32_e32 v67, 0x3f4a1d30
	v_fmac_f64_e32 v[66:67], 0, v[64:65]
	v_mov_b32_e32 v68, 0xb35dd1cf
	v_mov_b32_e32 v69, 0x3fb534b0
	v_fmac_f64_e32 v[68:69], v[64:65], v[66:67]
	v_mov_b32_e32 v66, 0x4e680b98
	v_mov_b32_e32 v67, 0x3ff3d521
	v_fmac_f64_e32 v[66:67], v[64:65], v[68:69]
	v_mov_b32_e32 v68, 0xe97a0956
	v_mov_b32_e32 v69, 0x4015c9fb
	v_fmac_f64_e32 v[68:69], v[64:65], v[66:67]
	v_mov_b32_e32 v66, 0x69409888
	v_mov_b32_e32 v67, 0x40217e8c
	v_fmac_f64_e32 v[66:67], v[64:65], v[68:69]
	v_mov_b32_e32 v68, 0xa59425a1
	v_mov_b32_e32 v69, 0x40153684
	v_fmac_f64_e32 v[68:69], v[64:65], v[66:67]
	v_mov_b32_e32 v66, 0xce039737
	v_mov_b32_e32 v67, 0x3f4e4a80
	v_fmac_f64_e32 v[66:67], 0, v[64:65]
	v_mov_b32_e32 v71, 0x3fb5ebc5
	v_fmac_f64_e32 v[70:71], v[64:65], v[66:67]
	v_mov_b32_e32 v66, 0xc9b3069f
	v_mov_b32_e32 v67, 0x3ff40e72
	v_fmac_f64_e32 v[66:67], v[64:65], v[70:71]
	v_mov_b32_e32 v70, 0xe68162bb
	v_mov_b32_e32 v71, 0x4015e247
	v_fmac_f64_e32 v[70:71], v[64:65], v[66:67]
	v_mov_b32_e32 v66, 0xea1b21a1
	v_mov_b32_e32 v67, 0x40218618
	v_fmac_f64_e32 v[66:67], v[64:65], v[70:71]
	v_mov_b32_e32 v70, 0xed423a19
	v_mov_b32_e32 v71, 0x40153965
	v_fmac_f64_e32 v[70:71], v[64:65], v[66:67]
	v_fma_f64 v[66:67], v[64:65], v[70:71], 1.0
	v_mov_b32_e32 v70, 0x38a5384a
	v_mov_b32_e32 v71, 0xbf874742
	v_fmac_f64_e32 v[70:71], 0, v[64:65]
	v_mov_b32_e32 v80, 0x3a321174
	v_mov_b32_e32 v81, 0xbff4853b
	v_fmac_f64_e32 v[80:81], v[64:65], v[70:71]
	;; [unrolled: 3-line block ×9, first 2 shown]
	v_fmac_f64_e32 v[82:83], v[64:65], v[70:71]
	v_mov_b32_e32 v70, 0xbd748cb5
	v_mov_b32_e32 v71, 0x40ae54cd
	v_fmac_f64_e32 v[70:71], v[64:65], v[82:83]
	v_mov_b32_e32 v82, 0xbdefd63e
	v_mov_b32_e32 v83, 0x40bc4877
	;; [unrolled: 3-line block ×4, first 2 shown]
	v_fma_f64 v[68:69], v[64:65], v[68:69], 1.0
	v_fmac_f64_e32 v[82:83], v[64:65], v[70:71]
	v_div_scale_f64 v[70:71], s[0:1], v[66:67], v[66:67], v[68:69]
	v_rcp_f64_e32 v[84:85], v[70:71]
	v_mov_b32_e32 v87, 0x406e402f
	v_fmac_f64_e32 v[86:87], v[64:65], v[82:83]
	s_mov_b32 s0, 0x9037ab78
	v_fma_f64 v[64:65], -v[70:71], v[84:85], 1.0
	v_fmac_f64_e32 v[84:85], v[84:85], v[64:65]
	v_fma_f64 v[64:65], -v[70:71], v[84:85], 1.0
	v_fmac_f64_e32 v[84:85], v[84:85], v[64:65]
	v_div_scale_f64 v[64:65], vcc, v[68:69], v[66:67], v[68:69]
	v_mul_f64 v[82:83], v[64:65], v[84:85]
	v_fma_f64 v[64:65], -v[70:71], v[82:83], v[64:65]
	s_mov_b32 s1, 0x3e21eeb6
	s_nop 0
	v_div_fmas_f64 v[64:65], v[64:65], v[84:85], v[82:83]
	s_mov_b32 s6, 0x46cc5e42
	v_div_fixup_f64 v[64:65], v[64:65], v[66:67], v[68:69]
	v_mul_f64 v[66:67], v[36:37], v[36:37]
	s_mov_b32 s7, 0xbda907db
	v_mov_b64_e32 v[84:85], s[0:1]
	s_mov_b32 s8, 0xa17f65f6
	v_mul_f64 v[68:69], v[66:67], 0.5
	v_fma_f64 v[96:97], s[6:7], v[66:67], v[84:85]
	s_mov_b32 s9, 0xbe927e4f
	s_mov_b32 s10, 0x19f4ec90
	v_add_f64 v[70:71], -v[68:69], 1.0
	v_fma_f64 v[96:97], v[66:67], v[96:97], s[8:9]
	s_mov_b32 s11, 0x3efa01a0
	s_mov_b32 s12, 0x16c16967
	v_add_f64 v[82:83], -v[70:71], 1.0
	v_fma_f64 v[96:97], v[66:67], v[96:97], s[10:11]
	s_mov_b32 s13, 0xbf56c16c
	s_mov_b32 s14, 0x55555555
	v_add_f64 v[68:69], v[82:83], -v[68:69]
	v_fma_f64 v[96:97], v[66:67], v[96:97], s[12:13]
	s_mov_b32 s15, 0x3fa55555
	v_mul_f64 v[82:83], v[66:67], v[66:67]
	v_fma_f64 v[96:97], v[66:67], v[96:97], s[14:15]
	v_fma_f64 v[68:69], v[36:37], -v[38:39], v[68:69]
	s_mov_b32 s0, 0xb42fdfa7
	v_fmac_f64_e32 v[68:69], v[82:83], v[96:97]
	s_mov_b32 s1, 0xbe5ae600
	s_mov_b32 s16, 0xf9a43bb8
	v_add_f64 v[68:69], v[70:71], v[68:69]
	s_mov_b32 s17, 0x3de5e0b2
	v_mov_b64_e32 v[70:71], s[0:1]
	s_mov_b32 s18, 0x796cde01
	v_fma_f64 v[82:83], s[16:17], v[66:67], v[70:71]
	s_mov_b32 s19, 0x3ec71de3
	s_mov_b32 s20, 0x19e83e5c
	v_fma_f64 v[82:83], v[66:67], v[82:83], s[18:19]
	s_mov_b32 s21, 0xbf2a01a0
	;; [unrolled: 3-line block ×3, first 2 shown]
	v_fma_f64 v[82:83], v[66:67], v[82:83], s[22:23]
	v_mul_f64 v[96:97], v[36:37], -v[66:67]
	v_mul_f64 v[98:99], v[38:39], 0.5
	v_fmac_f64_e32 v[98:99], v[96:97], v[82:83]
	v_fma_f64 v[38:39], v[66:67], v[98:99], -v[38:39]
	s_mov_b32 s25, 0xbfc55555
	s_mov_b32 s24, s14
	v_fmac_f64_e32 v[38:39], s[24:25], v[96:97]
	v_add_f64 v[36:37], v[36:37], -v[38:39]
	v_and_b32_e32 v38, 1, v49
	v_cmp_eq_u32_e32 vcc, 0, v38
	s_mov_b32 s26, 0
	s_mov_b32 s27, 0x40140000
	v_cndmask_b32_e32 v66, v68, v36, vcc
	v_cndmask_b32_e32 v36, v69, v37, vcc
	v_lshlrev_b32_e32 v37, 30, v49
	v_xor_b32_e32 v37, v37, v33
	v_and_b32_e32 v37, 0x80000000, v37
	v_xor_b32_e32 v49, v36, v37
	v_div_scale_f64 v[36:37], s[0:1], v[34:35], v[34:35], s[26:27]
	v_rcp_f64_e32 v[38:39], v[36:37]
	s_movk_i32 s28, 0x1f8
	v_cmp_class_f64_e64 s[0:1], v[32:33], s28
	v_mov_b32_e32 v96, 0x7ff80000
	s_nop 0
	v_cndmask_b32_e64 v32, 0, v66, s[0:1]
	v_fma_f64 v[66:67], -v[36:37], v[38:39], 1.0
	v_fmac_f64_e32 v[38:39], v[38:39], v[66:67]
	v_fma_f64 v[66:67], -v[36:37], v[38:39], 1.0
	v_fmac_f64_e32 v[38:39], v[38:39], v[66:67]
	v_div_scale_f64 v[66:67], vcc, s[26:27], v[34:35], s[26:27]
	v_mul_f64 v[68:69], v[66:67], v[38:39]
	v_fma_f64 v[36:37], -v[36:37], v[68:69], v[66:67]
	v_div_scale_f64 v[66:67], s[28:29], v[86:87], v[86:87], v[80:81]
	v_rcp_f64_e32 v[82:83], v[66:67]
	v_div_fmas_f64 v[36:37], v[36:37], v[38:39], v[68:69]
	v_div_fixup_f64 v[36:37], v[36:37], v[34:35], s[26:27]
	v_cndmask_b32_e64 v33, v96, v49, s[0:1]
	v_fma_f64 v[38:39], -v[66:67], v[82:83], 1.0
	v_fmac_f64_e32 v[82:83], v[82:83], v[38:39]
	v_fma_f64 v[38:39], -v[66:67], v[82:83], 1.0
	v_fmac_f64_e32 v[82:83], v[82:83], v[38:39]
	v_div_scale_f64 v[38:39], vcc, v[80:81], v[86:87], v[80:81]
	v_mul_f64 v[68:69], v[38:39], v[82:83]
	v_fma_f64 v[38:39], -v[66:67], v[68:69], v[38:39]
	v_and_b32_e32 v49, 1, v51
	s_nop 0
	v_div_fmas_f64 v[38:39], v[38:39], v[82:83], v[68:69]
	v_div_fixup_f64 v[38:39], v[38:39], v[86:87], v[80:81]
	v_mul_f64 v[36:37], v[36:37], v[38:39]
	v_mul_f64 v[38:39], v[52:53], v[52:53]
	v_mul_f64 v[66:67], v[38:39], 0.5
	v_fmac_f64_e32 v[84:85], s[6:7], v[38:39]
	v_add_f64 v[68:69], -v[66:67], 1.0
	v_fma_f64 v[82:83], v[38:39], v[84:85], s[8:9]
	v_add_f64 v[80:81], -v[68:69], 1.0
	v_fma_f64 v[82:83], v[38:39], v[82:83], s[10:11]
	v_add_f64 v[66:67], v[80:81], -v[66:67]
	v_fma_f64 v[82:83], v[38:39], v[82:83], s[12:13]
	v_mul_f64 v[80:81], v[38:39], v[38:39]
	v_fma_f64 v[82:83], v[38:39], v[82:83], s[14:15]
	v_fma_f64 v[66:67], v[52:53], -v[54:55], v[66:67]
	v_fmac_f64_e32 v[66:67], v[80:81], v[82:83]
	v_fmac_f64_e32 v[70:71], s[16:17], v[38:39]
	v_add_f64 v[66:67], v[68:69], v[66:67]
	v_fma_f64 v[68:69], v[38:39], v[70:71], s[18:19]
	v_fma_f64 v[68:69], v[38:39], v[68:69], s[20:21]
	;; [unrolled: 1-line block ×3, first 2 shown]
	v_mul_f64 v[70:71], v[52:53], -v[38:39]
	v_mul_f64 v[80:81], v[54:55], 0.5
	v_fmac_f64_e32 v[80:81], v[70:71], v[68:69]
	v_fma_f64 v[38:39], v[38:39], v[80:81], -v[54:55]
	v_fmac_f64_e32 v[38:39], s[24:25], v[70:71]
	v_add_f64 v[38:39], v[52:53], -v[38:39]
	v_xor_b32_e32 v39, 0x80000000, v39
	v_cmp_eq_u32_e32 vcc, 0, v49
	v_lshlrev_b32_e32 v49, 30, v51
	v_and_b32_e32 v49, 0x80000000, v49
	v_cndmask_b32_e32 v39, v39, v67, vcc
	v_cndmask_b32_e32 v38, v38, v66, vcc
	v_xor_b32_e32 v39, v39, v49
	v_cndmask_b32_e64 v38, 0, v38, s[0:1]
	v_cndmask_b32_e64 v39, v96, v39, s[0:1]
	s_mov_b32 s0, 0
	s_brev_b32 s1, 8
	v_mul_f64 v[36:37], v[36:37], v[38:39]
	v_cmp_gt_f64_e32 vcc, s[0:1], v[34:35]
	v_fmac_f64_e32 v[36:37], v[64:65], v[32:33]
	s_mov_b32 s0, 0x33d43651
	v_cndmask_b32_e64 v32, 0, 1, vcc
	v_lshlrev_b32_e32 v32, 8, v32
	v_ldexp_f64 v[32:33], v[34:35], v32
	v_rsq_f64_e32 v[34:35], v[32:33]
	s_mov_b32 s1, 0x3fe98845
	v_mul_f64 v[36:37], v[36:37], s[0:1]
	v_mul_f64 v[38:39], v[32:33], v[34:35]
	v_mul_f64 v[34:35], v[34:35], 0.5
	v_fma_f64 v[52:53], -v[34:35], v[38:39], 0.5
	v_fmac_f64_e32 v[38:39], v[38:39], v[52:53]
	v_fma_f64 v[54:55], -v[38:39], v[38:39], v[32:33]
	v_fmac_f64_e32 v[34:35], v[34:35], v[52:53]
	v_fmac_f64_e32 v[38:39], v[54:55], v[34:35]
	v_fma_f64 v[52:53], -v[38:39], v[38:39], v[32:33]
	v_fmac_f64_e32 v[38:39], v[52:53], v[34:35]
	v_mov_b32_e32 v34, 0xffffff80
	v_cndmask_b32_e32 v34, 0, v34, vcc
	v_ldexp_f64 v[34:35], v[38:39], v34
	v_mov_b32_e32 v38, 0x260
	v_cmp_class_f64_e32 vcc, v[32:33], v38
	s_nop 1
	v_cndmask_b32_e32 v33, v35, v33, vcc
	v_cndmask_b32_e32 v32, v34, v32, vcc
	v_div_scale_f64 v[34:35], s[0:1], v[32:33], v[32:33], v[36:37]
	v_rcp_f64_e32 v[38:39], v[34:35]
	s_nop 0
	v_fma_f64 v[52:53], -v[34:35], v[38:39], 1.0
	v_fmac_f64_e32 v[38:39], v[38:39], v[52:53]
	v_fma_f64 v[52:53], -v[34:35], v[38:39], 1.0
	v_fmac_f64_e32 v[38:39], v[38:39], v[52:53]
	v_div_scale_f64 v[52:53], vcc, v[36:37], v[32:33], v[36:37]
	v_mul_f64 v[54:55], v[52:53], v[38:39]
	v_fma_f64 v[34:35], -v[34:35], v[54:55], v[52:53]
	s_nop 1
	v_div_fmas_f64 v[34:35], v[34:35], v[38:39], v[54:55]
	v_div_fixup_f64 v[32:33], v[34:35], v[32:33], v[36:37]
.LBB5_160:
	s_or_b64 exec, exec, s[4:5]
	s_mov_b32 s0, 0
	s_mov_b32 s1, 0x40140000
	v_cmp_ge_f64_e32 vcc, s[0:1], v[26:27]
                                        ; implicit-def: $vgpr34_vgpr35
	s_and_saveexec_b64 s[0:1], vcc
	s_xor_b64 s[0:1], exec, s[0:1]
	s_cbranch_execz .LBB5_170
; %bb.161:
	v_mov_b32_e32 v34, 0
	v_cmp_neq_f64_e32 vcc, 0, v[26:27]
	v_mov_b32_e32 v35, 0xfff00000
	s_and_saveexec_b64 s[4:5], vcc
	s_cbranch_execz .LBB5_169
; %bb.162:
	v_mov_b32_e32 v34, 0
	v_cmp_ngt_f64_e32 vcc, 0, v[26:27]
	v_mov_b32_e32 v35, 0x7ff80000
	s_and_saveexec_b64 s[6:7], vcc
	s_cbranch_execz .LBB5_168
; %bb.163:
	s_mov_b32 s8, 0x88e368f1
	v_mul_f64 v[34:35], v[26:27], v[26:27]
	s_mov_b32 s9, 0x3ee4f8b5
	v_mul_f64 v[38:39], v[34:35], 0
	v_cmp_ngt_f64_e32 vcc, s[8:9], v[26:27]
                                        ; implicit-def: $vgpr36_vgpr37
	s_and_saveexec_b64 s[8:9], vcc
	s_xor_b64 s[8:9], exec, s[8:9]
	s_cbranch_execz .LBB5_165
; %bb.164:
	s_mov_b32 s10, 0xad1c8325
	s_mov_b32 s11, 0xc1f1dc53
	v_add_f64 v[36:37], v[38:39], s[10:11]
	v_mov_b32_e32 v52, 0xc772990d
	v_mov_b32_e32 v53, 0x427c7751
	s_mov_b32 s10, 0xa696b78c
	v_fmac_f64_e32 v[52:53], v[34:35], v[36:37]
	v_mov_b32_e32 v36, 0xe0d900f7
	v_mov_b32_e32 v37, 0xc2ec5614
	s_mov_b32 s11, 0x407f3902
	v_fmac_f64_e32 v[36:37], v[34:35], v[52:53]
	v_add_f64 v[52:53], v[38:39], s[10:11]
	v_mov_b32_e32 v54, 0x36a21a67
	v_mov_b32_e32 v55, 0x410536cb
	v_fmac_f64_e32 v[54:55], v[34:35], v[52:53]
	v_mov_b32_e32 v52, 0x2eac0634
	v_mov_b32_e32 v53, 0x41871934
	v_fmac_f64_e32 v[52:53], v[34:35], v[54:55]
	v_mov_b32_e32 v54, 0x9444914
	v_mov_b32_e32 v55, 0x4204d5b0
	v_fmac_f64_e32 v[54:55], v[34:35], v[52:53]
	v_mov_b32_e32 v52, 0x72182e46
	v_mov_b32_e32 v53, 0x427ebeb3
	v_fmac_f64_e32 v[52:53], v[34:35], v[54:55]
	v_mov_b32_e32 v54, 0x8c9748e9
	v_mov_b32_e32 v55, 0x42f1a6a2
	v_fmac_f64_e32 v[54:55], v[34:35], v[52:53]
	v_mov_b32_e32 v52, 0x7e7b2e9c
	v_mov_b32_e32 v53, 0x435c4141
	v_fmac_f64_e32 v[52:53], v[34:35], v[54:55]
	v_mov_b32_e32 v54, 0xc7b662cc
	v_mov_b32_e32 v55, 0x43b7be34
	s_mov_b32 s10, 0x80462bbb
	v_fmac_f64_e32 v[54:55], v[34:35], v[52:53]
	v_mov_b32_e32 v52, 0x69ff5fb4
	v_mov_b32_e32 v53, 0x43413ef8
	s_mov_b32 s11, 0xc01721fb
	v_fmac_f64_e32 v[52:53], v[34:35], v[36:37]
	v_add_f64 v[36:37], v[34:35], s[10:11]
	s_mov_b32 s10, 0xa621dd6f
	s_mov_b32 s11, 0xc03e78a4
	v_add_f64 v[64:65], v[34:35], s[10:11]
	v_mul_f64 v[36:37], v[36:37], v[64:65]
	v_mul_f64 v[36:37], v[36:37], v[52:53]
	v_div_scale_f64 v[52:53], s[10:11], v[54:55], v[54:55], v[36:37]
	v_rcp_f64_e32 v[64:65], v[52:53]
	s_nop 0
	v_fma_f64 v[66:67], -v[52:53], v[64:65], 1.0
	v_fmac_f64_e32 v[64:65], v[64:65], v[66:67]
	v_fma_f64 v[66:67], -v[52:53], v[64:65], 1.0
	v_fmac_f64_e32 v[64:65], v[64:65], v[66:67]
	v_div_scale_f64 v[66:67], vcc, v[36:37], v[54:55], v[36:37]
	v_mul_f64 v[68:69], v[66:67], v[64:65]
	v_fma_f64 v[52:53], -v[52:53], v[68:69], v[66:67]
	s_nop 1
	v_div_fmas_f64 v[52:53], v[52:53], v[64:65], v[68:69]
	v_div_fixup_f64 v[36:37], v[52:53], v[54:55], v[36:37]
.LBB5_165:
	s_andn2_saveexec_b64 s[8:9], s[8:9]
; %bb.166:
	s_mov_b32 s10, 0
	s_mov_b32 s11, 0xbfd00000
	v_fma_f64 v[36:37], v[34:35], s[10:11], 1.0
; %bb.167:
	s_or_b64 exec, exec, s[8:9]
	s_mov_b32 s8, 0xe896898f
	s_mov_b32 s9, 0x40ce7437
	v_add_f64 v[52:53], v[38:39], s[8:9]
	v_mov_b32_e32 v54, 0x32e48896
	v_mov_b32_e32 v55, 0xc16bf81f
	v_fmac_f64_e32 v[54:55], v[34:35], v[52:53]
	v_mov_b32_e32 v52, 0xf0284cdd
	v_mov_b32_e32 v53, 0x41f43f78
	v_fmac_f64_e32 v[52:53], v[34:35], v[54:55]
	;; [unrolled: 3-line block ×4, first 2 shown]
	v_mov_b32_e32 v54, 0xd1d8cc02
	v_mov_b32_e32 v55, 0xc328a121
	s_mov_b32 s8, 0x576dfcb6
	v_fmac_f64_e32 v[54:55], v[34:35], v[52:53]
	v_mov_b32_e32 v52, 0x660b4003
	v_mov_b32_e32 v53, 0x4363a94b
	s_mov_b32 s9, 0x40904522
	v_fmac_f64_e32 v[52:53], v[34:35], v[54:55]
	v_add_f64 v[38:39], v[38:39], s[8:9]
	v_mov_b32_e32 v54, 0xa907bc0c
	v_mov_b32_e32 v55, 0x41231b76
	v_fmac_f64_e32 v[54:55], v[34:35], v[38:39]
	v_mov_b32_e32 v38, 0x5164d101
	v_mov_b32_e32 v39, 0x41b00763
	v_fmac_f64_e32 v[38:39], v[34:35], v[54:55]
	;; [unrolled: 3-line block ×7, first 2 shown]
	v_div_scale_f64 v[34:35], s[8:9], v[38:39], v[38:39], v[54:55]
	v_rcp_f64_e32 v[52:53], v[34:35]
	s_mov_b32 s8, 0x55555555
	s_mov_b32 s9, 0x3fe55555
	v_mov_b32_e32 v51, 0x3ff00000
	v_fma_f64 v[64:65], -v[34:35], v[52:53], 1.0
	v_fmac_f64_e32 v[52:53], v[52:53], v[64:65]
	v_fma_f64 v[64:65], -v[34:35], v[52:53], 1.0
	v_fmac_f64_e32 v[52:53], v[52:53], v[64:65]
	v_div_scale_f64 v[64:65], vcc, v[54:55], v[38:39], v[54:55]
	v_mul_f64 v[66:67], v[64:65], v[52:53]
	v_fma_f64 v[34:35], -v[34:35], v[66:67], v[64:65]
	v_frexp_exp_i32_f64_e32 v49, v[26:27]
	s_nop 0
	v_div_fmas_f64 v[34:35], v[34:35], v[52:53], v[66:67]
	v_div_fixup_f64 v[34:35], v[34:35], v[38:39], v[54:55]
	v_frexp_mant_f64_e32 v[38:39], v[26:27]
	v_cmp_gt_f64_e32 vcc, s[8:9], v[38:39]
	v_mov_b32_e32 v52, 0
	s_mov_b32 s8, 0xbf559e2b
	v_cndmask_b32_e64 v53, v51, 2.0, vcc
	v_mul_f64 v[38:39], v[38:39], v[52:53]
	v_add_f64 v[52:53], v[38:39], 1.0
	v_rcp_f64_e32 v[54:55], v[52:53]
	v_add_f64 v[66:67], v[52:53], -1.0
	v_add_f64 v[64:65], v[38:39], -1.0
	v_add_f64 v[38:39], v[38:39], -v[66:67]
	v_fma_f64 v[66:67], -v[52:53], v[54:55], 1.0
	v_fmac_f64_e32 v[54:55], v[66:67], v[54:55]
	v_fma_f64 v[66:67], -v[52:53], v[54:55], 1.0
	v_fmac_f64_e32 v[54:55], v[66:67], v[54:55]
	v_mul_f64 v[66:67], v[64:65], v[54:55]
	v_mul_f64 v[68:69], v[52:53], v[66:67]
	v_fma_f64 v[52:53], v[66:67], v[52:53], -v[68:69]
	v_fmac_f64_e32 v[52:53], v[66:67], v[38:39]
	v_add_f64 v[38:39], v[68:69], v[52:53]
	v_add_f64 v[70:71], v[64:65], -v[38:39]
	v_add_f64 v[68:69], v[38:39], -v[68:69]
	;; [unrolled: 1-line block ×5, first 2 shown]
	v_add_f64 v[38:39], v[52:53], v[38:39]
	v_add_f64 v[38:39], v[70:71], v[38:39]
	v_mul_f64 v[38:39], v[54:55], v[38:39]
	v_add_f64 v[52:53], v[66:67], v[38:39]
	v_add_f64 v[54:55], v[52:53], -v[66:67]
	v_add_f64 v[38:39], v[38:39], -v[54:55]
	v_mul_f64 v[54:55], v[52:53], v[52:53]
	v_mov_b32_e32 v64, 0x6b47b09a
	v_mov_b32_e32 v65, 0x3fc38538
	s_mov_b32 s9, 0x3fc3ab76
	v_fmac_f64_e32 v[64:65], s[8:9], v[54:55]
	v_mov_b32_e32 v66, 0xd7f4df2e
	v_mov_b32_e32 v67, 0x3fc7474d
	v_fmac_f64_e32 v[66:67], v[54:55], v[64:65]
	v_mov_b32_e32 v64, 0x16291751
	v_mov_b32_e32 v65, 0x3fcc71c0
	;; [unrolled: 3-line block ×5, first 2 shown]
	v_fmac_f64_e32 v[66:67], v[54:55], v[64:65]
	v_ldexp_f64 v[64:65], v[52:53], 1
	v_mul_f64 v[52:53], v[52:53], v[54:55]
	v_mul_f64 v[52:53], v[52:53], v[66:67]
	v_add_f64 v[54:55], v[64:65], v[52:53]
	v_add_f64 v[64:65], v[54:55], -v[64:65]
	v_ldexp_f64 v[38:39], v[38:39], 1
	v_add_f64 v[52:53], v[52:53], -v[64:65]
	v_add_f64 v[38:39], v[38:39], v[52:53]
	v_add_f64 v[52:53], v[54:55], v[38:39]
	v_subbrev_co_u32_e32 v49, vcc, 0, v49, vcc
	v_add_f64 v[54:55], v[52:53], -v[54:55]
	s_mov_b32 s8, 0xfefa39ef
	v_add_f64 v[38:39], v[38:39], -v[54:55]
	v_cvt_f64_i32_e32 v[54:55], v49
	s_mov_b32 s9, 0x3fe62e42
	v_mul_f64 v[64:65], v[54:55], s[8:9]
	v_fma_f64 v[66:67], v[54:55], s[8:9], -v[64:65]
	s_mov_b32 s8, 0x3b39803f
	s_mov_b32 s9, 0x3c7abc9e
	v_fmac_f64_e32 v[66:67], s[8:9], v[54:55]
	v_add_f64 v[54:55], v[64:65], v[66:67]
	v_add_f64 v[64:65], v[54:55], -v[64:65]
	v_add_f64 v[64:65], v[66:67], -v[64:65]
	v_add_f64 v[66:67], v[54:55], v[52:53]
	v_add_f64 v[68:69], v[66:67], -v[54:55]
	v_add_f64 v[70:71], v[66:67], -v[68:69]
	v_add_f64 v[54:55], v[54:55], -v[70:71]
	v_add_f64 v[52:53], v[52:53], -v[68:69]
	v_add_f64 v[52:53], v[52:53], v[54:55]
	v_add_f64 v[54:55], v[64:65], v[38:39]
	v_add_f64 v[68:69], v[54:55], -v[64:65]
	v_add_f64 v[70:71], v[54:55], -v[68:69]
	v_add_f64 v[52:53], v[54:55], v[52:53]
	v_add_f64 v[64:65], v[64:65], -v[70:71]
	v_add_f64 v[38:39], v[38:39], -v[68:69]
	v_add_f64 v[54:55], v[66:67], v[52:53]
	v_add_f64 v[38:39], v[38:39], v[64:65]
	v_add_f64 v[64:65], v[54:55], -v[66:67]
	v_add_f64 v[52:53], v[52:53], -v[64:65]
	v_add_f64 v[38:39], v[38:39], v[52:53]
	s_mov_b32 s8, 0x6dc9c883
	v_add_f64 v[38:39], v[54:55], v[38:39]
	s_mov_b32 s9, 0x3fe45f30
	v_mul_f64 v[38:39], v[38:39], s[8:9]
	v_fmac_f64_e32 v[34:35], v[38:39], v[36:37]
.LBB5_168:
	s_or_b64 exec, exec, s[6:7]
.LBB5_169:
	s_or_b64 exec, exec, s[4:5]
.LBB5_170:
	s_andn2_saveexec_b64 s[4:5], s[0:1]
	s_cbranch_execz .LBB5_180
; %bb.171:
	s_mov_b32 s9, 0xbfe921fb
	s_mov_b32 s8, 0x54442d18
	;; [unrolled: 1-line block ×3, first 2 shown]
	v_add_f64 v[34:35], v[26:27], s[8:9]
	s_mov_b32 s1, 0x41d00000
	v_cmp_nlt_f64_e64 s[6:7], |v[34:35]|, s[0:1]
	v_trig_preop_f64 v[68:69], |v[34:35]|, 0
	v_trig_preop_f64 v[66:67], |v[34:35]|, 1
	;; [unrolled: 1-line block ×3, first 2 shown]
                                        ; implicit-def: $vgpr49
                                        ; implicit-def: $vgpr36_vgpr37
                                        ; implicit-def: $vgpr38_vgpr39
	s_and_saveexec_b64 s[0:1], s[6:7]
	s_xor_b64 s[10:11], exec, s[0:1]
	s_cbranch_execz .LBB5_173
; %bb.172:
	s_mov_b32 s0, 0
	s_mov_b32 s1, 0x7b000000
	s_movk_i32 s9, 0xff80
	v_and_b32_e32 v38, 0x7fffffff, v35
	v_ldexp_f64 v[36:37], |v[34:35]|, s9
	v_cmp_ge_f64_e64 vcc, |v[34:35]|, s[0:1]
	s_mov_b32 s0, 0
	s_mov_b32 s1, 0x7ff00000
	v_cndmask_b32_e32 v37, v38, v37, vcc
	v_cndmask_b32_e32 v36, v34, v36, vcc
	v_mul_f64 v[52:53], v[68:69], v[36:37]
	v_mul_f64 v[38:39], v[66:67], v[36:37]
	v_fma_f64 v[54:55], v[68:69], v[36:37], -v[52:53]
	v_add_f64 v[70:71], v[38:39], v[54:55]
	v_add_f64 v[80:81], v[52:53], v[70:71]
	v_ldexp_f64 v[82:83], v[80:81], -2
	v_fract_f64_e32 v[84:85], v[82:83]
	v_cmp_neq_f64_e64 vcc, |v[82:83]|, s[0:1]
	v_add_f64 v[52:53], v[80:81], -v[52:53]
	v_add_f64 v[52:53], v[70:71], -v[52:53]
	v_cndmask_b32_e32 v83, 0, v85, vcc
	v_cndmask_b32_e32 v82, 0, v84, vcc
	v_add_f64 v[84:85], v[70:71], -v[38:39]
	v_add_f64 v[54:55], v[54:55], -v[84:85]
	;; [unrolled: 1-line block ×4, first 2 shown]
	v_add_f64 v[54:55], v[54:55], v[84:85]
	v_fma_f64 v[38:39], v[66:67], v[36:37], -v[38:39]
	v_mul_f64 v[84:85], v[64:65], v[36:37]
	v_add_f64 v[96:97], v[84:85], v[38:39]
	v_add_f64 v[98:99], v[96:97], v[54:55]
	v_add_f64 v[80:81], v[98:99], -v[96:97]
	v_add_f64 v[54:55], v[54:55], -v[80:81]
	v_add_f64 v[80:81], v[98:99], -v[80:81]
	v_add_f64 v[80:81], v[96:97], -v[80:81]
	v_add_f64 v[54:55], v[54:55], v[80:81]
	v_add_f64 v[80:81], v[96:97], -v[84:85]
	v_add_f64 v[38:39], v[38:39], -v[80:81]
	v_add_f64 v[80:81], v[96:97], -v[80:81]
	v_add_f64 v[80:81], v[84:85], -v[80:81]
	v_add_f64 v[70:71], v[52:53], v[98:99]
	v_add_f64 v[38:39], v[38:39], v[80:81]
	v_add_f64 v[52:53], v[70:71], -v[52:53]
	v_add_f64 v[38:39], v[38:39], v[54:55]
	v_fma_f64 v[36:37], v[64:65], v[36:37], -v[84:85]
	v_add_f64 v[52:53], v[98:99], -v[52:53]
	v_add_f64 v[36:37], v[36:37], v[38:39]
	v_ldexp_f64 v[38:39], v[82:83], 2
	v_add_f64 v[36:37], v[52:53], v[36:37]
	v_add_f64 v[52:53], v[70:71], v[38:39]
	v_mov_b32_e32 v49, 0x40100000
	v_cmp_gt_f64_e32 vcc, 0, v[52:53]
	v_mov_b32_e32 v86, 0
	s_mov_b32 s9, 0x3ff921fb
	v_cndmask_b32_e32 v87, 0, v49, vcc
	v_add_f64 v[38:39], v[38:39], v[86:87]
	v_add_f64 v[52:53], v[70:71], v[38:39]
	v_cvt_i32_f64_e32 v49, v[52:53]
	v_cvt_f64_i32_e32 v[52:53], v49
	v_add_f64 v[38:39], v[38:39], -v[52:53]
	v_add_f64 v[52:53], v[70:71], v[38:39]
	v_add_f64 v[38:39], v[52:53], -v[38:39]
	v_add_f64 v[38:39], v[70:71], -v[38:39]
	v_add_f64 v[36:37], v[36:37], v[38:39]
	v_cmp_le_f64_e32 vcc, 0.5, v[52:53]
	v_mov_b32_e32 v38, 0x3ff00000
	s_nop 0
	v_cndmask_b32_e32 v87, 0, v38, vcc
	v_add_f64 v[38:39], v[52:53], -v[86:87]
	v_add_f64 v[52:53], v[38:39], v[36:37]
	v_addc_co_u32_e64 v49, s[0:1], 0, v49, vcc
	v_add_f64 v[38:39], v[52:53], -v[38:39]
	v_add_f64 v[36:37], v[36:37], -v[38:39]
	v_mul_f64 v[38:39], v[52:53], s[8:9]
	s_mov_b32 s0, 0x33145c07
	v_fma_f64 v[54:55], v[52:53], s[8:9], -v[38:39]
	s_mov_b32 s1, 0x3c91a626
	v_fmac_f64_e32 v[54:55], s[0:1], v[52:53]
	v_fmac_f64_e32 v[54:55], s[8:9], v[36:37]
	v_add_f64 v[36:37], v[38:39], v[54:55]
	v_add_f64 v[38:39], v[36:37], -v[38:39]
	v_add_f64 v[38:39], v[54:55], -v[38:39]
	s_andn2_saveexec_b64 s[0:1], s[10:11]
	s_cbranch_execz .LBB5_175
	s_branch .LBB5_174
.LBB5_173:
	s_andn2_saveexec_b64 s[0:1], s[10:11]
	s_cbranch_execz .LBB5_175
.LBB5_174:
	s_mov_b32 s8, 0x6dc9c883
	s_mov_b32 s9, 0x3fe45f30
	v_mul_f64 v[36:37], |v[34:35]|, s[8:9]
	s_mov_b32 s8, 0x54442d18
	v_rndne_f64_e32 v[52:53], v[36:37]
	s_mov_b32 s9, 0xbff921fb
	v_fma_f64 v[36:37], v[52:53], s[8:9], |v[34:35]|
	s_mov_b32 s9, 0xbc91a626
	s_mov_b32 s8, 0x33145c00
	v_mul_f64 v[54:55], v[52:53], s[8:9]
	v_add_f64 v[80:81], v[36:37], v[54:55]
	v_fma_f64 v[38:39], s[8:9], v[52:53], v[36:37]
	s_mov_b32 s9, 0x3c91a626
	v_add_f64 v[36:37], v[36:37], -v[80:81]
	v_fma_f64 v[70:71], s[8:9], v[52:53], v[54:55]
	v_add_f64 v[36:37], v[36:37], v[54:55]
	v_add_f64 v[54:55], v[80:81], -v[38:39]
	v_add_f64 v[36:37], v[54:55], v[36:37]
	s_mov_b32 s8, 0x252049c0
	v_add_f64 v[54:55], v[36:37], -v[70:71]
	s_mov_b32 s9, 0xb97b839a
	v_fmac_f64_e32 v[54:55], s[8:9], v[52:53]
	v_add_f64 v[36:37], v[38:39], v[54:55]
	v_add_f64 v[38:39], v[36:37], -v[38:39]
	v_add_f64 v[38:39], v[54:55], -v[38:39]
	v_cvt_i32_f64_e32 v49, v[52:53]
.LBB5_175:
	s_or_b64 exec, exec, s[0:1]
                                        ; implicit-def: $vgpr51
                                        ; implicit-def: $vgpr52_vgpr53
                                        ; implicit-def: $vgpr54_vgpr55
	s_and_saveexec_b64 s[0:1], s[6:7]
	s_xor_b64 s[6:7], exec, s[0:1]
	s_cbranch_execz .LBB5_177
; %bb.176:
	s_mov_b32 s0, 0
	s_mov_b32 s1, 0x7b000000
	s_movk_i32 s8, 0xff80
	v_and_b32_e32 v51, 0x7fffffff, v35
	v_ldexp_f64 v[52:53], |v[34:35]|, s8
	v_cmp_ge_f64_e64 vcc, |v[34:35]|, s[0:1]
	s_mov_b32 s0, 0
	s_mov_b32 s1, 0x7ff00000
	v_cndmask_b32_e32 v53, v51, v53, vcc
	v_cndmask_b32_e32 v52, v34, v52, vcc
	v_mul_f64 v[70:71], v[68:69], v[52:53]
	v_mul_f64 v[54:55], v[66:67], v[52:53]
	v_fma_f64 v[68:69], v[68:69], v[52:53], -v[70:71]
	v_add_f64 v[80:81], v[54:55], v[68:69]
	v_add_f64 v[82:83], v[70:71], v[80:81]
	v_ldexp_f64 v[84:85], v[82:83], -2
	v_fract_f64_e32 v[86:87], v[84:85]
	v_cmp_neq_f64_e64 vcc, |v[84:85]|, s[0:1]
	v_add_f64 v[70:71], v[82:83], -v[70:71]
	v_add_f64 v[70:71], v[80:81], -v[70:71]
	v_cndmask_b32_e32 v85, 0, v87, vcc
	v_cndmask_b32_e32 v84, 0, v86, vcc
	v_add_f64 v[86:87], v[80:81], -v[54:55]
	v_add_f64 v[68:69], v[68:69], -v[86:87]
	;; [unrolled: 1-line block ×4, first 2 shown]
	v_fma_f64 v[54:55], v[66:67], v[52:53], -v[54:55]
	v_mul_f64 v[66:67], v[64:65], v[52:53]
	v_add_f64 v[68:69], v[68:69], v[86:87]
	v_add_f64 v[86:87], v[66:67], v[54:55]
	;; [unrolled: 1-line block ×3, first 2 shown]
	v_add_f64 v[82:83], v[98:99], -v[86:87]
	v_add_f64 v[68:69], v[68:69], -v[82:83]
	;; [unrolled: 1-line block ×4, first 2 shown]
	v_add_f64 v[68:69], v[68:69], v[82:83]
	v_add_f64 v[82:83], v[86:87], -v[66:67]
	v_add_f64 v[54:55], v[54:55], -v[82:83]
	;; [unrolled: 1-line block ×4, first 2 shown]
	v_add_f64 v[54:55], v[54:55], v[82:83]
	v_add_f64 v[54:55], v[54:55], v[68:69]
	v_fma_f64 v[52:53], v[64:65], v[52:53], -v[66:67]
	v_add_f64 v[80:81], v[70:71], v[98:99]
	v_add_f64 v[52:53], v[52:53], v[54:55]
	v_ldexp_f64 v[54:55], v[84:85], 2
	v_add_f64 v[64:65], v[80:81], v[54:55]
	v_mov_b32_e32 v51, 0x40100000
	v_cmp_gt_f64_e32 vcc, 0, v[64:65]
	v_mov_b32_e32 v96, 0
	v_add_f64 v[70:71], v[80:81], -v[70:71]
	v_cndmask_b32_e32 v97, 0, v51, vcc
	v_add_f64 v[54:55], v[54:55], v[96:97]
	v_add_f64 v[64:65], v[80:81], v[54:55]
	v_cvt_i32_f64_e32 v51, v[64:65]
	v_cvt_f64_i32_e32 v[64:65], v51
	v_add_f64 v[54:55], v[54:55], -v[64:65]
	v_add_f64 v[64:65], v[80:81], v[54:55]
	v_add_f64 v[70:71], v[98:99], -v[70:71]
	v_add_f64 v[54:55], v[64:65], -v[54:55]
	v_add_f64 v[52:53], v[70:71], v[52:53]
	v_add_f64 v[54:55], v[80:81], -v[54:55]
	v_add_f64 v[52:53], v[52:53], v[54:55]
	v_cmp_le_f64_e32 vcc, 0.5, v[64:65]
	v_mov_b32_e32 v54, 0x3ff00000
	s_mov_b32 s8, 0x33145c07
	v_cndmask_b32_e32 v97, 0, v54, vcc
	v_addc_co_u32_e64 v51, s[0:1], 0, v51, vcc
	v_add_f64 v[54:55], v[64:65], -v[96:97]
	v_add_f64 v[64:65], v[54:55], v[52:53]
	s_mov_b32 s0, 0x54442d18
	v_add_f64 v[54:55], v[64:65], -v[54:55]
	s_mov_b32 s1, 0x3ff921fb
	v_add_f64 v[52:53], v[52:53], -v[54:55]
	v_mul_f64 v[54:55], v[64:65], s[0:1]
	v_fma_f64 v[66:67], v[64:65], s[0:1], -v[54:55]
	s_mov_b32 s9, 0x3c91a626
	v_fmac_f64_e32 v[66:67], s[8:9], v[64:65]
	v_fmac_f64_e32 v[66:67], s[0:1], v[52:53]
	v_add_f64 v[52:53], v[54:55], v[66:67]
	v_add_f64 v[54:55], v[52:53], -v[54:55]
	v_add_f64 v[54:55], v[66:67], -v[54:55]
	s_andn2_saveexec_b64 s[0:1], s[6:7]
	s_cbranch_execnz .LBB5_178
	s_branch .LBB5_179
.LBB5_177:
	s_andn2_saveexec_b64 s[0:1], s[6:7]
	s_cbranch_execz .LBB5_179
.LBB5_178:
	s_mov_b32 s6, 0x6dc9c883
	s_mov_b32 s7, 0x3fe45f30
	v_mul_f64 v[52:53], |v[34:35]|, s[6:7]
	s_mov_b32 s6, 0x54442d18
	v_rndne_f64_e32 v[64:65], v[52:53]
	s_mov_b32 s7, 0xbff921fb
	v_fma_f64 v[52:53], v[64:65], s[6:7], |v[34:35]|
	s_mov_b32 s7, 0xbc91a626
	s_mov_b32 s6, 0x33145c00
	v_mul_f64 v[66:67], v[64:65], s[6:7]
	v_add_f64 v[70:71], v[52:53], v[66:67]
	v_fma_f64 v[54:55], s[6:7], v[64:65], v[52:53]
	s_mov_b32 s7, 0x3c91a626
	v_add_f64 v[52:53], v[52:53], -v[70:71]
	v_fma_f64 v[68:69], s[6:7], v[64:65], v[66:67]
	v_add_f64 v[52:53], v[52:53], v[66:67]
	v_add_f64 v[66:67], v[70:71], -v[54:55]
	v_add_f64 v[52:53], v[66:67], v[52:53]
	s_mov_b32 s6, 0x252049c0
	v_add_f64 v[66:67], v[52:53], -v[68:69]
	s_mov_b32 s7, 0xb97b839a
	v_fmac_f64_e32 v[66:67], s[6:7], v[64:65]
	v_add_f64 v[52:53], v[54:55], v[66:67]
	v_add_f64 v[54:55], v[52:53], -v[54:55]
	v_add_f64 v[54:55], v[66:67], -v[54:55]
	v_cvt_i32_f64_e32 v51, v[64:65]
.LBB5_179:
	s_or_b64 exec, exec, s[0:1]
	s_mov_b32 s0, 0
	v_mul_f64 v[64:65], v[26:27], v[26:27]
	s_mov_b32 s1, 0x40390000
	v_div_scale_f64 v[66:67], s[6:7], v[64:65], v[64:65], s[0:1]
	v_rcp_f64_e32 v[68:69], v[66:67]
	v_mov_b32_e32 v82, 0xb1759c7f
	v_mov_b32_e32 v83, 0x408ac370
	;; [unrolled: 1-line block ×3, first 2 shown]
	v_fma_f64 v[70:71], -v[66:67], v[68:69], 1.0
	v_fmac_f64_e32 v[68:69], v[68:69], v[70:71]
	v_fma_f64 v[70:71], -v[66:67], v[68:69], 1.0
	v_fmac_f64_e32 v[68:69], v[68:69], v[70:71]
	v_div_scale_f64 v[70:71], vcc, s[0:1], v[64:65], s[0:1]
	v_mul_f64 v[80:81], v[70:71], v[68:69]
	v_fma_f64 v[66:67], -v[66:67], v[80:81], v[70:71]
	v_mov_b32_e32 v70, 0xab5454e3
	s_nop 0
	v_div_fmas_f64 v[66:67], v[66:67], v[68:69], v[80:81]
	v_div_fixup_f64 v[64:65], v[66:67], v[64:65], s[0:1]
	v_mov_b32_e32 v66, 0x983b6b27
	v_mov_b32_e32 v67, 0x3f4a1d30
	v_fmac_f64_e32 v[66:67], 0, v[64:65]
	v_mov_b32_e32 v68, 0xb35dd1cf
	v_mov_b32_e32 v69, 0x3fb534b0
	v_fmac_f64_e32 v[68:69], v[64:65], v[66:67]
	;; [unrolled: 3-line block ×7, first 2 shown]
	v_mov_b32_e32 v71, 0x3fb5ebc5
	v_fmac_f64_e32 v[70:71], v[64:65], v[66:67]
	v_mov_b32_e32 v66, 0xc9b3069f
	v_mov_b32_e32 v67, 0x3ff40e72
	v_fmac_f64_e32 v[66:67], v[64:65], v[70:71]
	v_mov_b32_e32 v70, 0xe68162bb
	;; [unrolled: 3-line block ×4, first 2 shown]
	v_mov_b32_e32 v71, 0x40153965
	v_fmac_f64_e32 v[70:71], v[64:65], v[66:67]
	v_fma_f64 v[66:67], v[64:65], v[70:71], 1.0
	v_mov_b32_e32 v70, 0x38a5384a
	v_mov_b32_e32 v71, 0xbf874742
	v_fmac_f64_e32 v[70:71], 0, v[64:65]
	v_mov_b32_e32 v80, 0x3a321174
	v_mov_b32_e32 v81, 0xbff4853b
	v_fmac_f64_e32 v[80:81], v[64:65], v[70:71]
	v_mov_b32_e32 v70, 0xf50e2c0c
	v_mov_b32_e32 v71, 0xc0338dcf
	v_fmac_f64_e32 v[70:71], v[64:65], v[80:81]
	v_mov_b32_e32 v80, 0x5a6de8c4
	v_mov_b32_e32 v81, 0xc0574d2f
	v_fmac_f64_e32 v[80:81], v[64:65], v[70:71]
	v_mov_b32_e32 v70, 0x20cae8ea
	v_mov_b32_e32 v71, 0xc06635cc
	v_fmac_f64_e32 v[70:71], v[64:65], v[80:81]
	v_mov_b32_e32 v80, 0xec17392d
	v_mov_b32_e32 v81, 0xc062627a
	v_fmac_f64_e32 v[80:81], v[64:65], v[70:71]
	v_mov_b32_e32 v70, 0x55b218cd
	v_mov_b32_e32 v71, 0xc049b48c
	v_fmac_f64_e32 v[70:71], v[64:65], v[80:81]
	v_mov_b32_e32 v80, 0xd1b9a1dd
	v_mov_b32_e32 v81, 0xc0183358
	v_fmac_f64_e32 v[80:81], v[64:65], v[70:71]
	v_mov_b32_e32 v70, 0x413c25ac
	v_mov_b32_e32 v71, 0x40501457
	v_fmac_f64_e32 v[70:71], 0, v[64:65]
	v_fmac_f64_e32 v[82:83], v[64:65], v[70:71]
	v_mov_b32_e32 v70, 0xbd748cb5
	v_mov_b32_e32 v71, 0x40ae54cd
	v_fmac_f64_e32 v[70:71], v[64:65], v[82:83]
	v_mov_b32_e32 v82, 0xbdefd63e
	v_mov_b32_e32 v83, 0x40bc4877
	;; [unrolled: 3-line block ×4, first 2 shown]
	v_fma_f64 v[68:69], v[64:65], v[68:69], 1.0
	v_fmac_f64_e32 v[82:83], v[64:65], v[70:71]
	v_div_scale_f64 v[70:71], s[0:1], v[66:67], v[66:67], v[68:69]
	v_rcp_f64_e32 v[84:85], v[70:71]
	v_mov_b32_e32 v87, 0x406e402f
	v_fmac_f64_e32 v[86:87], v[64:65], v[82:83]
	s_mov_b32 s0, 0x9037ab78
	v_fma_f64 v[64:65], -v[70:71], v[84:85], 1.0
	v_fmac_f64_e32 v[84:85], v[84:85], v[64:65]
	v_fma_f64 v[64:65], -v[70:71], v[84:85], 1.0
	v_fmac_f64_e32 v[84:85], v[84:85], v[64:65]
	v_div_scale_f64 v[64:65], vcc, v[68:69], v[66:67], v[68:69]
	v_mul_f64 v[82:83], v[64:65], v[84:85]
	v_fma_f64 v[64:65], -v[70:71], v[82:83], v[64:65]
	s_mov_b32 s1, 0x3e21eeb6
	s_nop 0
	v_div_fmas_f64 v[64:65], v[64:65], v[84:85], v[82:83]
	s_mov_b32 s6, 0x46cc5e42
	v_div_fixup_f64 v[64:65], v[64:65], v[66:67], v[68:69]
	v_mul_f64 v[66:67], v[36:37], v[36:37]
	s_mov_b32 s7, 0xbda907db
	v_mov_b64_e32 v[84:85], s[0:1]
	s_mov_b32 s8, 0xa17f65f6
	v_mul_f64 v[68:69], v[66:67], 0.5
	v_fma_f64 v[96:97], s[6:7], v[66:67], v[84:85]
	s_mov_b32 s9, 0xbe927e4f
	s_mov_b32 s10, 0x19f4ec90
	v_add_f64 v[70:71], -v[68:69], 1.0
	v_fma_f64 v[96:97], v[66:67], v[96:97], s[8:9]
	s_mov_b32 s11, 0x3efa01a0
	s_mov_b32 s12, 0x16c16967
	v_add_f64 v[82:83], -v[70:71], 1.0
	v_fma_f64 v[96:97], v[66:67], v[96:97], s[10:11]
	s_mov_b32 s13, 0xbf56c16c
	s_mov_b32 s14, 0x55555555
	v_add_f64 v[68:69], v[82:83], -v[68:69]
	v_fma_f64 v[96:97], v[66:67], v[96:97], s[12:13]
	s_mov_b32 s15, 0x3fa55555
	v_mul_f64 v[82:83], v[66:67], v[66:67]
	v_fma_f64 v[96:97], v[66:67], v[96:97], s[14:15]
	v_fma_f64 v[68:69], v[36:37], -v[38:39], v[68:69]
	s_mov_b32 s0, 0xb42fdfa7
	v_fmac_f64_e32 v[68:69], v[82:83], v[96:97]
	s_mov_b32 s1, 0xbe5ae600
	s_mov_b32 s16, 0xf9a43bb8
	v_add_f64 v[68:69], v[70:71], v[68:69]
	s_mov_b32 s17, 0x3de5e0b2
	v_mov_b64_e32 v[70:71], s[0:1]
	s_mov_b32 s18, 0x796cde01
	v_fma_f64 v[82:83], s[16:17], v[66:67], v[70:71]
	s_mov_b32 s19, 0x3ec71de3
	s_mov_b32 s20, 0x19e83e5c
	v_fma_f64 v[82:83], v[66:67], v[82:83], s[18:19]
	s_mov_b32 s21, 0xbf2a01a0
	;; [unrolled: 3-line block ×3, first 2 shown]
	v_fma_f64 v[82:83], v[66:67], v[82:83], s[22:23]
	v_mul_f64 v[96:97], v[36:37], -v[66:67]
	v_mul_f64 v[98:99], v[38:39], 0.5
	v_fmac_f64_e32 v[98:99], v[96:97], v[82:83]
	v_fma_f64 v[38:39], v[66:67], v[98:99], -v[38:39]
	s_mov_b32 s25, 0xbfc55555
	s_mov_b32 s24, s14
	v_fmac_f64_e32 v[38:39], s[24:25], v[96:97]
	v_add_f64 v[36:37], v[36:37], -v[38:39]
	v_and_b32_e32 v38, 1, v49
	v_cmp_eq_u32_e32 vcc, 0, v38
	s_mov_b32 s26, 0
	s_mov_b32 s27, 0x40140000
	v_cndmask_b32_e32 v66, v68, v36, vcc
	v_cndmask_b32_e32 v36, v69, v37, vcc
	v_lshlrev_b32_e32 v37, 30, v49
	v_xor_b32_e32 v37, v37, v35
	v_and_b32_e32 v37, 0x80000000, v37
	v_xor_b32_e32 v49, v36, v37
	v_div_scale_f64 v[36:37], s[0:1], v[26:27], v[26:27], s[26:27]
	v_rcp_f64_e32 v[38:39], v[36:37]
	s_movk_i32 s28, 0x1f8
	v_cmp_class_f64_e64 s[0:1], v[34:35], s28
	v_mov_b32_e32 v96, 0x7ff80000
	s_nop 0
	v_cndmask_b32_e64 v34, 0, v66, s[0:1]
	v_fma_f64 v[66:67], -v[36:37], v[38:39], 1.0
	v_fmac_f64_e32 v[38:39], v[38:39], v[66:67]
	v_fma_f64 v[66:67], -v[36:37], v[38:39], 1.0
	v_fmac_f64_e32 v[38:39], v[38:39], v[66:67]
	v_div_scale_f64 v[66:67], vcc, s[26:27], v[26:27], s[26:27]
	v_mul_f64 v[68:69], v[66:67], v[38:39]
	v_fma_f64 v[36:37], -v[36:37], v[68:69], v[66:67]
	v_div_scale_f64 v[66:67], s[28:29], v[86:87], v[86:87], v[80:81]
	v_rcp_f64_e32 v[82:83], v[66:67]
	v_div_fmas_f64 v[36:37], v[36:37], v[38:39], v[68:69]
	v_div_fixup_f64 v[36:37], v[36:37], v[26:27], s[26:27]
	v_cndmask_b32_e64 v35, v96, v49, s[0:1]
	v_fma_f64 v[38:39], -v[66:67], v[82:83], 1.0
	v_fmac_f64_e32 v[82:83], v[82:83], v[38:39]
	v_fma_f64 v[38:39], -v[66:67], v[82:83], 1.0
	v_fmac_f64_e32 v[82:83], v[82:83], v[38:39]
	v_div_scale_f64 v[38:39], vcc, v[80:81], v[86:87], v[80:81]
	v_mul_f64 v[68:69], v[38:39], v[82:83]
	v_fma_f64 v[38:39], -v[66:67], v[68:69], v[38:39]
	v_and_b32_e32 v49, 1, v51
	s_nop 0
	v_div_fmas_f64 v[38:39], v[38:39], v[82:83], v[68:69]
	v_div_fixup_f64 v[38:39], v[38:39], v[86:87], v[80:81]
	v_mul_f64 v[36:37], v[36:37], v[38:39]
	v_mul_f64 v[38:39], v[52:53], v[52:53]
	v_mul_f64 v[66:67], v[38:39], 0.5
	v_fmac_f64_e32 v[84:85], s[6:7], v[38:39]
	v_add_f64 v[68:69], -v[66:67], 1.0
	v_fma_f64 v[82:83], v[38:39], v[84:85], s[8:9]
	v_add_f64 v[80:81], -v[68:69], 1.0
	v_fma_f64 v[82:83], v[38:39], v[82:83], s[10:11]
	v_add_f64 v[66:67], v[80:81], -v[66:67]
	v_fma_f64 v[82:83], v[38:39], v[82:83], s[12:13]
	v_mul_f64 v[80:81], v[38:39], v[38:39]
	v_fma_f64 v[82:83], v[38:39], v[82:83], s[14:15]
	v_fma_f64 v[66:67], v[52:53], -v[54:55], v[66:67]
	v_fmac_f64_e32 v[66:67], v[80:81], v[82:83]
	v_fmac_f64_e32 v[70:71], s[16:17], v[38:39]
	v_add_f64 v[66:67], v[68:69], v[66:67]
	v_fma_f64 v[68:69], v[38:39], v[70:71], s[18:19]
	v_fma_f64 v[68:69], v[38:39], v[68:69], s[20:21]
	;; [unrolled: 1-line block ×3, first 2 shown]
	v_mul_f64 v[70:71], v[52:53], -v[38:39]
	v_mul_f64 v[80:81], v[54:55], 0.5
	v_fmac_f64_e32 v[80:81], v[70:71], v[68:69]
	v_fma_f64 v[38:39], v[38:39], v[80:81], -v[54:55]
	v_fmac_f64_e32 v[38:39], s[24:25], v[70:71]
	v_add_f64 v[38:39], v[52:53], -v[38:39]
	v_xor_b32_e32 v39, 0x80000000, v39
	v_cmp_eq_u32_e32 vcc, 0, v49
	v_lshlrev_b32_e32 v49, 30, v51
	v_and_b32_e32 v49, 0x80000000, v49
	v_cndmask_b32_e32 v39, v39, v67, vcc
	v_cndmask_b32_e32 v38, v38, v66, vcc
	v_xor_b32_e32 v39, v39, v49
	v_cndmask_b32_e64 v38, 0, v38, s[0:1]
	v_cndmask_b32_e64 v39, v96, v39, s[0:1]
	s_mov_b32 s0, 0
	s_brev_b32 s1, 8
	v_mul_f64 v[36:37], v[36:37], v[38:39]
	v_cmp_gt_f64_e32 vcc, s[0:1], v[26:27]
	v_fmac_f64_e32 v[36:37], v[64:65], v[34:35]
	s_mov_b32 s0, 0x33d43651
	v_cndmask_b32_e64 v34, 0, 1, vcc
	v_lshlrev_b32_e32 v34, 8, v34
	v_ldexp_f64 v[26:27], v[26:27], v34
	v_rsq_f64_e32 v[34:35], v[26:27]
	s_mov_b32 s1, 0x3fe98845
	v_mul_f64 v[36:37], v[36:37], s[0:1]
	v_mul_f64 v[38:39], v[26:27], v[34:35]
	v_mul_f64 v[34:35], v[34:35], 0.5
	v_fma_f64 v[52:53], -v[34:35], v[38:39], 0.5
	v_fmac_f64_e32 v[38:39], v[38:39], v[52:53]
	v_fma_f64 v[54:55], -v[38:39], v[38:39], v[26:27]
	v_fmac_f64_e32 v[34:35], v[34:35], v[52:53]
	v_fmac_f64_e32 v[38:39], v[54:55], v[34:35]
	v_fma_f64 v[52:53], -v[38:39], v[38:39], v[26:27]
	v_fmac_f64_e32 v[38:39], v[52:53], v[34:35]
	v_mov_b32_e32 v34, 0xffffff80
	v_cndmask_b32_e32 v34, 0, v34, vcc
	v_ldexp_f64 v[34:35], v[38:39], v34
	v_mov_b32_e32 v38, 0x260
	v_cmp_class_f64_e32 vcc, v[26:27], v38
	s_nop 1
	v_cndmask_b32_e32 v27, v35, v27, vcc
	v_cndmask_b32_e32 v26, v34, v26, vcc
	v_div_scale_f64 v[34:35], s[0:1], v[26:27], v[26:27], v[36:37]
	v_rcp_f64_e32 v[38:39], v[34:35]
	s_nop 0
	v_fma_f64 v[52:53], -v[34:35], v[38:39], 1.0
	v_fmac_f64_e32 v[38:39], v[38:39], v[52:53]
	v_fma_f64 v[52:53], -v[34:35], v[38:39], 1.0
	v_fmac_f64_e32 v[38:39], v[38:39], v[52:53]
	v_div_scale_f64 v[52:53], vcc, v[36:37], v[26:27], v[36:37]
	v_mul_f64 v[54:55], v[52:53], v[38:39]
	v_fma_f64 v[34:35], -v[34:35], v[54:55], v[52:53]
	s_nop 1
	v_div_fmas_f64 v[34:35], v[34:35], v[38:39], v[54:55]
	v_div_fixup_f64 v[34:35], v[34:35], v[26:27], v[36:37]
.LBB5_180:
	s_or_b64 exec, exec, s[4:5]
	s_mov_b32 s0, 0
	s_mov_b32 s1, 0x40140000
	v_cmp_ge_f64_e32 vcc, s[0:1], v[28:29]
	s_and_saveexec_b64 s[0:1], vcc
	s_xor_b64 s[0:1], exec, s[0:1]
	s_cbranch_execz .LBB5_190
; %bb.181:
	v_mov_b32_e32 v36, 0
	v_cmp_neq_f64_e32 vcc, 0, v[28:29]
	v_mov_b32_e32 v37, 0xfff00000
	s_and_saveexec_b64 s[4:5], vcc
	s_cbranch_execz .LBB5_189
; %bb.182:
	v_mov_b32_e32 v36, 0
	v_cmp_ngt_f64_e32 vcc, 0, v[28:29]
	v_mov_b32_e32 v37, 0x7ff80000
	s_and_saveexec_b64 s[6:7], vcc
	s_cbranch_execz .LBB5_188
; %bb.183:
	s_mov_b32 s8, 0x88e368f1
	v_mul_f64 v[36:37], v[28:29], v[28:29]
	s_mov_b32 s9, 0x3ee4f8b5
	v_mul_f64 v[38:39], v[36:37], 0
	v_cmp_ngt_f64_e32 vcc, s[8:9], v[28:29]
                                        ; implicit-def: $vgpr26_vgpr27
	s_and_saveexec_b64 s[8:9], vcc
	s_xor_b64 s[8:9], exec, s[8:9]
	s_cbranch_execz .LBB5_185
; %bb.184:
	s_mov_b32 s10, 0xad1c8325
	s_mov_b32 s11, 0xc1f1dc53
	v_add_f64 v[26:27], v[38:39], s[10:11]
	v_mov_b32_e32 v52, 0xc772990d
	v_mov_b32_e32 v53, 0x427c7751
	s_mov_b32 s10, 0xa696b78c
	v_fmac_f64_e32 v[52:53], v[36:37], v[26:27]
	v_mov_b32_e32 v26, 0xe0d900f7
	v_mov_b32_e32 v27, 0xc2ec5614
	s_mov_b32 s11, 0x407f3902
	v_fmac_f64_e32 v[26:27], v[36:37], v[52:53]
	v_add_f64 v[52:53], v[38:39], s[10:11]
	v_mov_b32_e32 v54, 0x36a21a67
	v_mov_b32_e32 v55, 0x410536cb
	v_fmac_f64_e32 v[54:55], v[36:37], v[52:53]
	v_mov_b32_e32 v52, 0x2eac0634
	v_mov_b32_e32 v53, 0x41871934
	v_fmac_f64_e32 v[52:53], v[36:37], v[54:55]
	;; [unrolled: 3-line block ×6, first 2 shown]
	v_mov_b32_e32 v54, 0xc7b662cc
	v_mov_b32_e32 v55, 0x43b7be34
	s_mov_b32 s10, 0x80462bbb
	v_fmac_f64_e32 v[54:55], v[36:37], v[52:53]
	v_mov_b32_e32 v52, 0x69ff5fb4
	v_mov_b32_e32 v53, 0x43413ef8
	s_mov_b32 s11, 0xc01721fb
	v_fmac_f64_e32 v[52:53], v[36:37], v[26:27]
	v_add_f64 v[26:27], v[36:37], s[10:11]
	s_mov_b32 s10, 0xa621dd6f
	s_mov_b32 s11, 0xc03e78a4
	v_add_f64 v[64:65], v[36:37], s[10:11]
	v_mul_f64 v[26:27], v[26:27], v[64:65]
	v_mul_f64 v[26:27], v[26:27], v[52:53]
	v_div_scale_f64 v[52:53], s[10:11], v[54:55], v[54:55], v[26:27]
	v_rcp_f64_e32 v[64:65], v[52:53]
	s_nop 0
	v_fma_f64 v[66:67], -v[52:53], v[64:65], 1.0
	v_fmac_f64_e32 v[64:65], v[64:65], v[66:67]
	v_fma_f64 v[66:67], -v[52:53], v[64:65], 1.0
	v_fmac_f64_e32 v[64:65], v[64:65], v[66:67]
	v_div_scale_f64 v[66:67], vcc, v[26:27], v[54:55], v[26:27]
	v_mul_f64 v[68:69], v[66:67], v[64:65]
	v_fma_f64 v[52:53], -v[52:53], v[68:69], v[66:67]
	s_nop 1
	v_div_fmas_f64 v[52:53], v[52:53], v[64:65], v[68:69]
	v_div_fixup_f64 v[26:27], v[52:53], v[54:55], v[26:27]
.LBB5_185:
	s_andn2_saveexec_b64 s[8:9], s[8:9]
; %bb.186:
	s_mov_b32 s10, 0
	s_mov_b32 s11, 0xbfd00000
	v_fma_f64 v[26:27], v[36:37], s[10:11], 1.0
; %bb.187:
	s_or_b64 exec, exec, s[8:9]
	s_mov_b32 s8, 0xe896898f
	s_mov_b32 s9, 0x40ce7437
	v_add_f64 v[52:53], v[38:39], s[8:9]
	v_mov_b32_e32 v54, 0x32e48896
	v_mov_b32_e32 v55, 0xc16bf81f
	v_fmac_f64_e32 v[54:55], v[36:37], v[52:53]
	v_mov_b32_e32 v52, 0xf0284cdd
	v_mov_b32_e32 v53, 0x41f43f78
	v_fmac_f64_e32 v[52:53], v[36:37], v[54:55]
	;; [unrolled: 3-line block ×4, first 2 shown]
	v_mov_b32_e32 v54, 0xd1d8cc02
	v_mov_b32_e32 v55, 0xc328a121
	s_mov_b32 s8, 0x576dfcb6
	v_fmac_f64_e32 v[54:55], v[36:37], v[52:53]
	v_mov_b32_e32 v52, 0x660b4003
	v_mov_b32_e32 v53, 0x4363a94b
	s_mov_b32 s9, 0x40904522
	v_fmac_f64_e32 v[52:53], v[36:37], v[54:55]
	v_add_f64 v[38:39], v[38:39], s[8:9]
	v_mov_b32_e32 v54, 0xa907bc0c
	v_mov_b32_e32 v55, 0x41231b76
	v_fmac_f64_e32 v[54:55], v[36:37], v[38:39]
	v_mov_b32_e32 v38, 0x5164d101
	v_mov_b32_e32 v39, 0x41b00763
	v_fmac_f64_e32 v[38:39], v[36:37], v[54:55]
	;; [unrolled: 3-line block ×7, first 2 shown]
	v_div_scale_f64 v[36:37], s[8:9], v[38:39], v[38:39], v[54:55]
	v_rcp_f64_e32 v[52:53], v[36:37]
	s_mov_b32 s8, 0x55555555
	v_frexp_exp_i32_f64_e32 v49, v[28:29]
	v_frexp_mant_f64_e32 v[28:29], v[28:29]
	v_fma_f64 v[64:65], -v[36:37], v[52:53], 1.0
	v_fmac_f64_e32 v[52:53], v[52:53], v[64:65]
	v_fma_f64 v[64:65], -v[36:37], v[52:53], 1.0
	v_fmac_f64_e32 v[52:53], v[52:53], v[64:65]
	v_div_scale_f64 v[64:65], vcc, v[54:55], v[38:39], v[54:55]
	v_mul_f64 v[66:67], v[64:65], v[52:53]
	v_fma_f64 v[36:37], -v[36:37], v[66:67], v[64:65]
	s_mov_b32 s9, 0x3fe55555
	s_nop 0
	v_div_fmas_f64 v[36:37], v[36:37], v[52:53], v[66:67]
	v_div_fixup_f64 v[36:37], v[36:37], v[38:39], v[54:55]
	v_mov_b32_e32 v38, 0x3ff00000
	v_cmp_gt_f64_e32 vcc, s[8:9], v[28:29]
	s_mov_b32 s8, 0xbf559e2b
	s_mov_b32 s9, 0x3fc3ab76
	v_cndmask_b32_e64 v39, v38, 2.0, vcc
	v_mov_b32_e32 v38, 0
	v_mul_f64 v[28:29], v[28:29], v[38:39]
	v_add_f64 v[38:39], v[28:29], 1.0
	v_rcp_f64_e32 v[52:53], v[38:39]
	v_add_f64 v[64:65], v[38:39], -1.0
	v_add_f64 v[54:55], v[28:29], -1.0
	v_add_f64 v[28:29], v[28:29], -v[64:65]
	v_fma_f64 v[64:65], -v[38:39], v[52:53], 1.0
	v_fmac_f64_e32 v[52:53], v[64:65], v[52:53]
	v_fma_f64 v[64:65], -v[38:39], v[52:53], 1.0
	v_fmac_f64_e32 v[52:53], v[64:65], v[52:53]
	v_mul_f64 v[64:65], v[54:55], v[52:53]
	v_mul_f64 v[66:67], v[38:39], v[64:65]
	v_fma_f64 v[38:39], v[64:65], v[38:39], -v[66:67]
	v_fmac_f64_e32 v[38:39], v[64:65], v[28:29]
	v_add_f64 v[28:29], v[66:67], v[38:39]
	v_add_f64 v[68:69], v[54:55], -v[28:29]
	v_add_f64 v[66:67], v[28:29], -v[66:67]
	;; [unrolled: 1-line block ×5, first 2 shown]
	v_add_f64 v[28:29], v[38:39], v[28:29]
	v_add_f64 v[28:29], v[68:69], v[28:29]
	v_mul_f64 v[28:29], v[52:53], v[28:29]
	v_add_f64 v[38:39], v[64:65], v[28:29]
	v_add_f64 v[52:53], v[38:39], -v[64:65]
	v_add_f64 v[28:29], v[28:29], -v[52:53]
	v_mul_f64 v[52:53], v[38:39], v[38:39]
	v_mov_b32_e32 v54, 0x6b47b09a
	v_mov_b32_e32 v55, 0x3fc38538
	v_fmac_f64_e32 v[54:55], s[8:9], v[52:53]
	v_mov_b32_e32 v64, 0xd7f4df2e
	v_mov_b32_e32 v65, 0x3fc7474d
	v_fmac_f64_e32 v[64:65], v[52:53], v[54:55]
	;; [unrolled: 3-line block ×6, first 2 shown]
	v_ldexp_f64 v[54:55], v[38:39], 1
	v_mul_f64 v[38:39], v[38:39], v[52:53]
	v_mul_f64 v[38:39], v[38:39], v[64:65]
	v_add_f64 v[52:53], v[54:55], v[38:39]
	v_add_f64 v[54:55], v[52:53], -v[54:55]
	v_ldexp_f64 v[28:29], v[28:29], 1
	v_add_f64 v[38:39], v[38:39], -v[54:55]
	v_add_f64 v[28:29], v[28:29], v[38:39]
	v_add_f64 v[38:39], v[52:53], v[28:29]
	v_subbrev_co_u32_e32 v49, vcc, 0, v49, vcc
	v_add_f64 v[52:53], v[38:39], -v[52:53]
	s_mov_b32 s8, 0xfefa39ef
	v_add_f64 v[28:29], v[28:29], -v[52:53]
	v_cvt_f64_i32_e32 v[52:53], v49
	s_mov_b32 s9, 0x3fe62e42
	v_mul_f64 v[54:55], v[52:53], s[8:9]
	v_fma_f64 v[64:65], v[52:53], s[8:9], -v[54:55]
	s_mov_b32 s8, 0x3b39803f
	s_mov_b32 s9, 0x3c7abc9e
	v_fmac_f64_e32 v[64:65], s[8:9], v[52:53]
	v_add_f64 v[52:53], v[54:55], v[64:65]
	v_add_f64 v[54:55], v[52:53], -v[54:55]
	v_add_f64 v[54:55], v[64:65], -v[54:55]
	v_add_f64 v[64:65], v[52:53], v[38:39]
	v_add_f64 v[66:67], v[64:65], -v[52:53]
	v_add_f64 v[68:69], v[64:65], -v[66:67]
	;; [unrolled: 1-line block ×4, first 2 shown]
	v_add_f64 v[38:39], v[38:39], v[52:53]
	v_add_f64 v[52:53], v[54:55], v[28:29]
	v_add_f64 v[66:67], v[52:53], -v[54:55]
	v_add_f64 v[68:69], v[52:53], -v[66:67]
	v_add_f64 v[38:39], v[52:53], v[38:39]
	v_add_f64 v[54:55], v[54:55], -v[68:69]
	v_add_f64 v[28:29], v[28:29], -v[66:67]
	v_add_f64 v[52:53], v[64:65], v[38:39]
	v_add_f64 v[28:29], v[28:29], v[54:55]
	v_add_f64 v[54:55], v[52:53], -v[64:65]
	v_add_f64 v[38:39], v[38:39], -v[54:55]
	v_add_f64 v[28:29], v[28:29], v[38:39]
	s_mov_b32 s8, 0x6dc9c883
	v_add_f64 v[28:29], v[52:53], v[28:29]
	s_mov_b32 s9, 0x3fe45f30
	v_mul_f64 v[28:29], v[28:29], s[8:9]
	v_fmac_f64_e32 v[36:37], v[28:29], v[26:27]
.LBB5_188:
	s_or_b64 exec, exec, s[6:7]
.LBB5_189:
	s_or_b64 exec, exec, s[4:5]
                                        ; implicit-def: $vgpr28_vgpr29
.LBB5_190:
	s_andn2_saveexec_b64 s[4:5], s[0:1]
	s_cbranch_execz .LBB5_200
; %bb.191:
	s_mov_b32 s9, 0xbfe921fb
	s_mov_b32 s8, 0x54442d18
	;; [unrolled: 1-line block ×3, first 2 shown]
	v_add_f64 v[26:27], v[28:29], s[8:9]
	s_mov_b32 s1, 0x41d00000
	v_cmp_nlt_f64_e64 s[6:7], |v[26:27]|, s[0:1]
	v_trig_preop_f64 v[68:69], |v[26:27]|, 0
	v_trig_preop_f64 v[66:67], |v[26:27]|, 1
	;; [unrolled: 1-line block ×3, first 2 shown]
                                        ; implicit-def: $vgpr49
                                        ; implicit-def: $vgpr36_vgpr37
                                        ; implicit-def: $vgpr38_vgpr39
	s_and_saveexec_b64 s[0:1], s[6:7]
	s_xor_b64 s[10:11], exec, s[0:1]
	s_cbranch_execz .LBB5_193
; %bb.192:
	s_mov_b32 s0, 0
	s_mov_b32 s1, 0x7b000000
	s_movk_i32 s9, 0xff80
	v_and_b32_e32 v38, 0x7fffffff, v27
	v_ldexp_f64 v[36:37], |v[26:27]|, s9
	v_cmp_ge_f64_e64 vcc, |v[26:27]|, s[0:1]
	s_mov_b32 s0, 0
	s_mov_b32 s1, 0x7ff00000
	v_cndmask_b32_e32 v37, v38, v37, vcc
	v_cndmask_b32_e32 v36, v26, v36, vcc
	v_mul_f64 v[52:53], v[68:69], v[36:37]
	v_mul_f64 v[38:39], v[66:67], v[36:37]
	v_fma_f64 v[54:55], v[68:69], v[36:37], -v[52:53]
	v_add_f64 v[70:71], v[38:39], v[54:55]
	v_add_f64 v[80:81], v[52:53], v[70:71]
	v_ldexp_f64 v[82:83], v[80:81], -2
	v_fract_f64_e32 v[84:85], v[82:83]
	v_cmp_neq_f64_e64 vcc, |v[82:83]|, s[0:1]
	v_add_f64 v[52:53], v[80:81], -v[52:53]
	v_add_f64 v[52:53], v[70:71], -v[52:53]
	v_cndmask_b32_e32 v83, 0, v85, vcc
	v_cndmask_b32_e32 v82, 0, v84, vcc
	v_add_f64 v[84:85], v[70:71], -v[38:39]
	v_add_f64 v[54:55], v[54:55], -v[84:85]
	;; [unrolled: 1-line block ×4, first 2 shown]
	v_add_f64 v[54:55], v[54:55], v[84:85]
	v_fma_f64 v[38:39], v[66:67], v[36:37], -v[38:39]
	v_mul_f64 v[84:85], v[64:65], v[36:37]
	v_add_f64 v[96:97], v[84:85], v[38:39]
	v_add_f64 v[98:99], v[96:97], v[54:55]
	v_add_f64 v[80:81], v[98:99], -v[96:97]
	v_add_f64 v[54:55], v[54:55], -v[80:81]
	v_add_f64 v[80:81], v[98:99], -v[80:81]
	v_add_f64 v[80:81], v[96:97], -v[80:81]
	v_add_f64 v[54:55], v[54:55], v[80:81]
	v_add_f64 v[80:81], v[96:97], -v[84:85]
	v_add_f64 v[38:39], v[38:39], -v[80:81]
	;; [unrolled: 1-line block ×4, first 2 shown]
	v_add_f64 v[70:71], v[52:53], v[98:99]
	v_add_f64 v[38:39], v[38:39], v[80:81]
	v_add_f64 v[52:53], v[70:71], -v[52:53]
	v_add_f64 v[38:39], v[38:39], v[54:55]
	v_fma_f64 v[36:37], v[64:65], v[36:37], -v[84:85]
	v_add_f64 v[52:53], v[98:99], -v[52:53]
	v_add_f64 v[36:37], v[36:37], v[38:39]
	v_ldexp_f64 v[38:39], v[82:83], 2
	v_add_f64 v[36:37], v[52:53], v[36:37]
	v_add_f64 v[52:53], v[70:71], v[38:39]
	v_mov_b32_e32 v49, 0x40100000
	v_cmp_gt_f64_e32 vcc, 0, v[52:53]
	v_mov_b32_e32 v86, 0
	s_mov_b32 s9, 0x3ff921fb
	v_cndmask_b32_e32 v87, 0, v49, vcc
	v_add_f64 v[38:39], v[38:39], v[86:87]
	v_add_f64 v[52:53], v[70:71], v[38:39]
	v_cvt_i32_f64_e32 v49, v[52:53]
	v_cvt_f64_i32_e32 v[52:53], v49
	v_add_f64 v[38:39], v[38:39], -v[52:53]
	v_add_f64 v[52:53], v[70:71], v[38:39]
	v_add_f64 v[38:39], v[52:53], -v[38:39]
	v_add_f64 v[38:39], v[70:71], -v[38:39]
	v_add_f64 v[36:37], v[36:37], v[38:39]
	v_cmp_le_f64_e32 vcc, 0.5, v[52:53]
	v_mov_b32_e32 v38, 0x3ff00000
	s_nop 0
	v_cndmask_b32_e32 v87, 0, v38, vcc
	v_add_f64 v[38:39], v[52:53], -v[86:87]
	v_add_f64 v[52:53], v[38:39], v[36:37]
	v_addc_co_u32_e64 v49, s[0:1], 0, v49, vcc
	v_add_f64 v[38:39], v[52:53], -v[38:39]
	v_add_f64 v[36:37], v[36:37], -v[38:39]
	v_mul_f64 v[38:39], v[52:53], s[8:9]
	s_mov_b32 s0, 0x33145c07
	v_fma_f64 v[54:55], v[52:53], s[8:9], -v[38:39]
	s_mov_b32 s1, 0x3c91a626
	v_fmac_f64_e32 v[54:55], s[0:1], v[52:53]
	v_fmac_f64_e32 v[54:55], s[8:9], v[36:37]
	v_add_f64 v[36:37], v[38:39], v[54:55]
	v_add_f64 v[38:39], v[36:37], -v[38:39]
	v_add_f64 v[38:39], v[54:55], -v[38:39]
	s_andn2_saveexec_b64 s[0:1], s[10:11]
	s_cbranch_execz .LBB5_195
	s_branch .LBB5_194
.LBB5_193:
	s_andn2_saveexec_b64 s[0:1], s[10:11]
	s_cbranch_execz .LBB5_195
.LBB5_194:
	s_mov_b32 s8, 0x6dc9c883
	s_mov_b32 s9, 0x3fe45f30
	v_mul_f64 v[36:37], |v[26:27]|, s[8:9]
	s_mov_b32 s8, 0x54442d18
	v_rndne_f64_e32 v[52:53], v[36:37]
	s_mov_b32 s9, 0xbff921fb
	v_fma_f64 v[36:37], v[52:53], s[8:9], |v[26:27]|
	s_mov_b32 s9, 0xbc91a626
	s_mov_b32 s8, 0x33145c00
	v_mul_f64 v[54:55], v[52:53], s[8:9]
	v_add_f64 v[80:81], v[36:37], v[54:55]
	v_fma_f64 v[38:39], s[8:9], v[52:53], v[36:37]
	s_mov_b32 s9, 0x3c91a626
	v_add_f64 v[36:37], v[36:37], -v[80:81]
	v_fma_f64 v[70:71], s[8:9], v[52:53], v[54:55]
	v_add_f64 v[36:37], v[36:37], v[54:55]
	v_add_f64 v[54:55], v[80:81], -v[38:39]
	v_add_f64 v[36:37], v[54:55], v[36:37]
	s_mov_b32 s8, 0x252049c0
	v_add_f64 v[54:55], v[36:37], -v[70:71]
	s_mov_b32 s9, 0xb97b839a
	v_fmac_f64_e32 v[54:55], s[8:9], v[52:53]
	v_add_f64 v[36:37], v[38:39], v[54:55]
	v_add_f64 v[38:39], v[36:37], -v[38:39]
	v_add_f64 v[38:39], v[54:55], -v[38:39]
	v_cvt_i32_f64_e32 v49, v[52:53]
.LBB5_195:
	s_or_b64 exec, exec, s[0:1]
                                        ; implicit-def: $vgpr51
                                        ; implicit-def: $vgpr52_vgpr53
                                        ; implicit-def: $vgpr54_vgpr55
	s_and_saveexec_b64 s[0:1], s[6:7]
	s_xor_b64 s[6:7], exec, s[0:1]
	s_cbranch_execz .LBB5_197
; %bb.196:
	s_mov_b32 s0, 0
	s_mov_b32 s1, 0x7b000000
	s_movk_i32 s8, 0xff80
	v_and_b32_e32 v51, 0x7fffffff, v27
	v_ldexp_f64 v[52:53], |v[26:27]|, s8
	v_cmp_ge_f64_e64 vcc, |v[26:27]|, s[0:1]
	s_mov_b32 s0, 0
	s_mov_b32 s1, 0x7ff00000
	v_cndmask_b32_e32 v53, v51, v53, vcc
	v_cndmask_b32_e32 v52, v26, v52, vcc
	v_mul_f64 v[70:71], v[68:69], v[52:53]
	v_mul_f64 v[54:55], v[66:67], v[52:53]
	v_fma_f64 v[68:69], v[68:69], v[52:53], -v[70:71]
	v_add_f64 v[80:81], v[54:55], v[68:69]
	v_add_f64 v[82:83], v[70:71], v[80:81]
	v_ldexp_f64 v[84:85], v[82:83], -2
	v_fract_f64_e32 v[86:87], v[84:85]
	v_cmp_neq_f64_e64 vcc, |v[84:85]|, s[0:1]
	v_add_f64 v[70:71], v[82:83], -v[70:71]
	v_add_f64 v[70:71], v[80:81], -v[70:71]
	v_cndmask_b32_e32 v85, 0, v87, vcc
	v_cndmask_b32_e32 v84, 0, v86, vcc
	v_add_f64 v[86:87], v[80:81], -v[54:55]
	v_add_f64 v[68:69], v[68:69], -v[86:87]
	;; [unrolled: 1-line block ×4, first 2 shown]
	v_fma_f64 v[54:55], v[66:67], v[52:53], -v[54:55]
	v_mul_f64 v[66:67], v[64:65], v[52:53]
	v_add_f64 v[68:69], v[68:69], v[86:87]
	v_add_f64 v[86:87], v[66:67], v[54:55]
	;; [unrolled: 1-line block ×3, first 2 shown]
	v_add_f64 v[82:83], v[98:99], -v[86:87]
	v_add_f64 v[68:69], v[68:69], -v[82:83]
	;; [unrolled: 1-line block ×4, first 2 shown]
	v_add_f64 v[68:69], v[68:69], v[82:83]
	v_add_f64 v[82:83], v[86:87], -v[66:67]
	v_add_f64 v[54:55], v[54:55], -v[82:83]
	;; [unrolled: 1-line block ×4, first 2 shown]
	v_add_f64 v[54:55], v[54:55], v[82:83]
	v_add_f64 v[54:55], v[54:55], v[68:69]
	v_fma_f64 v[52:53], v[64:65], v[52:53], -v[66:67]
	v_add_f64 v[80:81], v[70:71], v[98:99]
	v_add_f64 v[52:53], v[52:53], v[54:55]
	v_ldexp_f64 v[54:55], v[84:85], 2
	v_add_f64 v[64:65], v[80:81], v[54:55]
	v_mov_b32_e32 v51, 0x40100000
	v_cmp_gt_f64_e32 vcc, 0, v[64:65]
	v_mov_b32_e32 v96, 0
	v_add_f64 v[70:71], v[80:81], -v[70:71]
	v_cndmask_b32_e32 v97, 0, v51, vcc
	v_add_f64 v[54:55], v[54:55], v[96:97]
	v_add_f64 v[64:65], v[80:81], v[54:55]
	v_cvt_i32_f64_e32 v51, v[64:65]
	v_cvt_f64_i32_e32 v[64:65], v51
	v_add_f64 v[54:55], v[54:55], -v[64:65]
	v_add_f64 v[64:65], v[80:81], v[54:55]
	v_add_f64 v[70:71], v[98:99], -v[70:71]
	v_add_f64 v[54:55], v[64:65], -v[54:55]
	v_add_f64 v[52:53], v[70:71], v[52:53]
	v_add_f64 v[54:55], v[80:81], -v[54:55]
	v_add_f64 v[52:53], v[52:53], v[54:55]
	v_cmp_le_f64_e32 vcc, 0.5, v[64:65]
	v_mov_b32_e32 v54, 0x3ff00000
	s_mov_b32 s8, 0x33145c07
	v_cndmask_b32_e32 v97, 0, v54, vcc
	v_addc_co_u32_e64 v51, s[0:1], 0, v51, vcc
	v_add_f64 v[54:55], v[64:65], -v[96:97]
	v_add_f64 v[64:65], v[54:55], v[52:53]
	s_mov_b32 s0, 0x54442d18
	v_add_f64 v[54:55], v[64:65], -v[54:55]
	s_mov_b32 s1, 0x3ff921fb
	v_add_f64 v[52:53], v[52:53], -v[54:55]
	v_mul_f64 v[54:55], v[64:65], s[0:1]
	v_fma_f64 v[66:67], v[64:65], s[0:1], -v[54:55]
	s_mov_b32 s9, 0x3c91a626
	v_fmac_f64_e32 v[66:67], s[8:9], v[64:65]
	v_fmac_f64_e32 v[66:67], s[0:1], v[52:53]
	v_add_f64 v[52:53], v[54:55], v[66:67]
	v_add_f64 v[54:55], v[52:53], -v[54:55]
	v_add_f64 v[54:55], v[66:67], -v[54:55]
	s_andn2_saveexec_b64 s[0:1], s[6:7]
	s_cbranch_execnz .LBB5_198
	s_branch .LBB5_199
.LBB5_197:
	s_andn2_saveexec_b64 s[0:1], s[6:7]
	s_cbranch_execz .LBB5_199
.LBB5_198:
	s_mov_b32 s6, 0x6dc9c883
	s_mov_b32 s7, 0x3fe45f30
	v_mul_f64 v[52:53], |v[26:27]|, s[6:7]
	s_mov_b32 s6, 0x54442d18
	v_rndne_f64_e32 v[64:65], v[52:53]
	s_mov_b32 s7, 0xbff921fb
	v_fma_f64 v[52:53], v[64:65], s[6:7], |v[26:27]|
	s_mov_b32 s7, 0xbc91a626
	s_mov_b32 s6, 0x33145c00
	v_mul_f64 v[66:67], v[64:65], s[6:7]
	v_add_f64 v[70:71], v[52:53], v[66:67]
	v_fma_f64 v[54:55], s[6:7], v[64:65], v[52:53]
	s_mov_b32 s7, 0x3c91a626
	v_add_f64 v[52:53], v[52:53], -v[70:71]
	v_fma_f64 v[68:69], s[6:7], v[64:65], v[66:67]
	v_add_f64 v[52:53], v[52:53], v[66:67]
	v_add_f64 v[66:67], v[70:71], -v[54:55]
	v_add_f64 v[52:53], v[66:67], v[52:53]
	s_mov_b32 s6, 0x252049c0
	v_add_f64 v[66:67], v[52:53], -v[68:69]
	s_mov_b32 s7, 0xb97b839a
	v_fmac_f64_e32 v[66:67], s[6:7], v[64:65]
	v_add_f64 v[52:53], v[54:55], v[66:67]
	v_add_f64 v[54:55], v[52:53], -v[54:55]
	v_add_f64 v[54:55], v[66:67], -v[54:55]
	v_cvt_i32_f64_e32 v51, v[64:65]
.LBB5_199:
	s_or_b64 exec, exec, s[0:1]
	s_mov_b32 s0, 0
	v_mul_f64 v[64:65], v[28:29], v[28:29]
	s_mov_b32 s1, 0x40390000
	v_div_scale_f64 v[66:67], s[6:7], v[64:65], v[64:65], s[0:1]
	v_rcp_f64_e32 v[68:69], v[66:67]
	v_mov_b32_e32 v82, 0xb1759c7f
	v_mov_b32_e32 v83, 0x408ac370
	;; [unrolled: 1-line block ×3, first 2 shown]
	v_fma_f64 v[70:71], -v[66:67], v[68:69], 1.0
	v_fmac_f64_e32 v[68:69], v[68:69], v[70:71]
	v_fma_f64 v[70:71], -v[66:67], v[68:69], 1.0
	v_fmac_f64_e32 v[68:69], v[68:69], v[70:71]
	v_div_scale_f64 v[70:71], vcc, s[0:1], v[64:65], s[0:1]
	v_mul_f64 v[80:81], v[70:71], v[68:69]
	v_fma_f64 v[66:67], -v[66:67], v[80:81], v[70:71]
	v_mov_b32_e32 v70, 0xab5454e3
	s_nop 0
	v_div_fmas_f64 v[66:67], v[66:67], v[68:69], v[80:81]
	v_div_fixup_f64 v[64:65], v[66:67], v[64:65], s[0:1]
	v_mov_b32_e32 v66, 0x983b6b27
	v_mov_b32_e32 v67, 0x3f4a1d30
	v_fmac_f64_e32 v[66:67], 0, v[64:65]
	v_mov_b32_e32 v68, 0xb35dd1cf
	v_mov_b32_e32 v69, 0x3fb534b0
	v_fmac_f64_e32 v[68:69], v[64:65], v[66:67]
	;; [unrolled: 3-line block ×7, first 2 shown]
	v_mov_b32_e32 v71, 0x3fb5ebc5
	v_fmac_f64_e32 v[70:71], v[64:65], v[66:67]
	v_mov_b32_e32 v66, 0xc9b3069f
	v_mov_b32_e32 v67, 0x3ff40e72
	v_fmac_f64_e32 v[66:67], v[64:65], v[70:71]
	v_mov_b32_e32 v70, 0xe68162bb
	;; [unrolled: 3-line block ×4, first 2 shown]
	v_mov_b32_e32 v71, 0x40153965
	v_fmac_f64_e32 v[70:71], v[64:65], v[66:67]
	v_fma_f64 v[66:67], v[64:65], v[70:71], 1.0
	v_mov_b32_e32 v70, 0x38a5384a
	v_mov_b32_e32 v71, 0xbf874742
	v_fmac_f64_e32 v[70:71], 0, v[64:65]
	v_mov_b32_e32 v80, 0x3a321174
	v_mov_b32_e32 v81, 0xbff4853b
	v_fmac_f64_e32 v[80:81], v[64:65], v[70:71]
	;; [unrolled: 3-line block ×9, first 2 shown]
	v_fmac_f64_e32 v[82:83], v[64:65], v[70:71]
	v_mov_b32_e32 v70, 0xbd748cb5
	v_mov_b32_e32 v71, 0x40ae54cd
	v_fmac_f64_e32 v[70:71], v[64:65], v[82:83]
	v_mov_b32_e32 v82, 0xbdefd63e
	v_mov_b32_e32 v83, 0x40bc4877
	v_fmac_f64_e32 v[82:83], v[64:65], v[70:71]
	v_mov_b32_e32 v70, 0x1d733b11
	v_mov_b32_e32 v71, 0x40b72aba
	v_fmac_f64_e32 v[70:71], v[64:65], v[82:83]
	v_mov_b32_e32 v82, 0xc7319e82
	v_mov_b32_e32 v83, 0x40a01c2f
	v_fma_f64 v[68:69], v[64:65], v[68:69], 1.0
	v_fmac_f64_e32 v[82:83], v[64:65], v[70:71]
	v_div_scale_f64 v[70:71], s[0:1], v[66:67], v[66:67], v[68:69]
	v_rcp_f64_e32 v[84:85], v[70:71]
	v_mov_b32_e32 v87, 0x406e402f
	v_fmac_f64_e32 v[86:87], v[64:65], v[82:83]
	s_mov_b32 s0, 0x9037ab78
	v_fma_f64 v[64:65], -v[70:71], v[84:85], 1.0
	v_fmac_f64_e32 v[84:85], v[84:85], v[64:65]
	v_fma_f64 v[64:65], -v[70:71], v[84:85], 1.0
	v_fmac_f64_e32 v[84:85], v[84:85], v[64:65]
	v_div_scale_f64 v[64:65], vcc, v[68:69], v[66:67], v[68:69]
	v_mul_f64 v[82:83], v[64:65], v[84:85]
	v_fma_f64 v[64:65], -v[70:71], v[82:83], v[64:65]
	s_mov_b32 s1, 0x3e21eeb6
	s_nop 0
	v_div_fmas_f64 v[64:65], v[64:65], v[84:85], v[82:83]
	s_mov_b32 s6, 0x46cc5e42
	v_div_fixup_f64 v[64:65], v[64:65], v[66:67], v[68:69]
	v_mul_f64 v[66:67], v[36:37], v[36:37]
	s_mov_b32 s7, 0xbda907db
	v_mov_b64_e32 v[84:85], s[0:1]
	s_mov_b32 s8, 0xa17f65f6
	v_mul_f64 v[68:69], v[66:67], 0.5
	v_fma_f64 v[96:97], s[6:7], v[66:67], v[84:85]
	s_mov_b32 s9, 0xbe927e4f
	s_mov_b32 s10, 0x19f4ec90
	v_add_f64 v[70:71], -v[68:69], 1.0
	v_fma_f64 v[96:97], v[66:67], v[96:97], s[8:9]
	s_mov_b32 s11, 0x3efa01a0
	s_mov_b32 s12, 0x16c16967
	v_add_f64 v[82:83], -v[70:71], 1.0
	v_fma_f64 v[96:97], v[66:67], v[96:97], s[10:11]
	s_mov_b32 s13, 0xbf56c16c
	s_mov_b32 s14, 0x55555555
	v_add_f64 v[68:69], v[82:83], -v[68:69]
	v_fma_f64 v[96:97], v[66:67], v[96:97], s[12:13]
	s_mov_b32 s15, 0x3fa55555
	v_mul_f64 v[82:83], v[66:67], v[66:67]
	v_fma_f64 v[96:97], v[66:67], v[96:97], s[14:15]
	v_fma_f64 v[68:69], v[36:37], -v[38:39], v[68:69]
	s_mov_b32 s0, 0xb42fdfa7
	v_fmac_f64_e32 v[68:69], v[82:83], v[96:97]
	s_mov_b32 s1, 0xbe5ae600
	s_mov_b32 s16, 0xf9a43bb8
	v_add_f64 v[68:69], v[70:71], v[68:69]
	s_mov_b32 s17, 0x3de5e0b2
	v_mov_b64_e32 v[70:71], s[0:1]
	s_mov_b32 s18, 0x796cde01
	v_fma_f64 v[82:83], s[16:17], v[66:67], v[70:71]
	s_mov_b32 s19, 0x3ec71de3
	s_mov_b32 s20, 0x19e83e5c
	v_fma_f64 v[82:83], v[66:67], v[82:83], s[18:19]
	s_mov_b32 s21, 0xbf2a01a0
	;; [unrolled: 3-line block ×3, first 2 shown]
	v_fma_f64 v[82:83], v[66:67], v[82:83], s[22:23]
	v_mul_f64 v[96:97], v[36:37], -v[66:67]
	v_mul_f64 v[98:99], v[38:39], 0.5
	v_fmac_f64_e32 v[98:99], v[96:97], v[82:83]
	v_fma_f64 v[38:39], v[66:67], v[98:99], -v[38:39]
	s_mov_b32 s25, 0xbfc55555
	s_mov_b32 s24, s14
	v_fmac_f64_e32 v[38:39], s[24:25], v[96:97]
	v_add_f64 v[36:37], v[36:37], -v[38:39]
	v_and_b32_e32 v38, 1, v49
	v_cmp_eq_u32_e32 vcc, 0, v38
	s_mov_b32 s26, 0
	s_mov_b32 s27, 0x40140000
	v_cndmask_b32_e32 v66, v68, v36, vcc
	v_cndmask_b32_e32 v36, v69, v37, vcc
	v_lshlrev_b32_e32 v37, 30, v49
	v_xor_b32_e32 v37, v37, v27
	v_and_b32_e32 v37, 0x80000000, v37
	v_xor_b32_e32 v49, v36, v37
	v_div_scale_f64 v[36:37], s[0:1], v[28:29], v[28:29], s[26:27]
	v_rcp_f64_e32 v[38:39], v[36:37]
	s_movk_i32 s28, 0x1f8
	v_cmp_class_f64_e64 s[0:1], v[26:27], s28
	v_mov_b32_e32 v96, 0x7ff80000
	s_nop 0
	v_cndmask_b32_e64 v26, 0, v66, s[0:1]
	v_fma_f64 v[66:67], -v[36:37], v[38:39], 1.0
	v_fmac_f64_e32 v[38:39], v[38:39], v[66:67]
	v_fma_f64 v[66:67], -v[36:37], v[38:39], 1.0
	v_fmac_f64_e32 v[38:39], v[38:39], v[66:67]
	v_div_scale_f64 v[66:67], vcc, s[26:27], v[28:29], s[26:27]
	v_mul_f64 v[68:69], v[66:67], v[38:39]
	v_fma_f64 v[36:37], -v[36:37], v[68:69], v[66:67]
	v_div_scale_f64 v[66:67], s[28:29], v[86:87], v[86:87], v[80:81]
	v_rcp_f64_e32 v[82:83], v[66:67]
	v_div_fmas_f64 v[36:37], v[36:37], v[38:39], v[68:69]
	v_div_fixup_f64 v[36:37], v[36:37], v[28:29], s[26:27]
	v_cndmask_b32_e64 v27, v96, v49, s[0:1]
	v_fma_f64 v[38:39], -v[66:67], v[82:83], 1.0
	v_fmac_f64_e32 v[82:83], v[82:83], v[38:39]
	v_fma_f64 v[38:39], -v[66:67], v[82:83], 1.0
	v_fmac_f64_e32 v[82:83], v[82:83], v[38:39]
	v_div_scale_f64 v[38:39], vcc, v[80:81], v[86:87], v[80:81]
	v_mul_f64 v[68:69], v[38:39], v[82:83]
	v_fma_f64 v[38:39], -v[66:67], v[68:69], v[38:39]
	v_and_b32_e32 v49, 1, v51
	s_nop 0
	v_div_fmas_f64 v[38:39], v[38:39], v[82:83], v[68:69]
	v_div_fixup_f64 v[38:39], v[38:39], v[86:87], v[80:81]
	v_mul_f64 v[36:37], v[36:37], v[38:39]
	v_mul_f64 v[38:39], v[52:53], v[52:53]
	v_mul_f64 v[66:67], v[38:39], 0.5
	v_fmac_f64_e32 v[84:85], s[6:7], v[38:39]
	v_add_f64 v[68:69], -v[66:67], 1.0
	v_fma_f64 v[82:83], v[38:39], v[84:85], s[8:9]
	v_add_f64 v[80:81], -v[68:69], 1.0
	v_fma_f64 v[82:83], v[38:39], v[82:83], s[10:11]
	v_add_f64 v[66:67], v[80:81], -v[66:67]
	v_fma_f64 v[82:83], v[38:39], v[82:83], s[12:13]
	v_mul_f64 v[80:81], v[38:39], v[38:39]
	v_fma_f64 v[82:83], v[38:39], v[82:83], s[14:15]
	v_fma_f64 v[66:67], v[52:53], -v[54:55], v[66:67]
	v_fmac_f64_e32 v[66:67], v[80:81], v[82:83]
	v_fmac_f64_e32 v[70:71], s[16:17], v[38:39]
	v_add_f64 v[66:67], v[68:69], v[66:67]
	v_fma_f64 v[68:69], v[38:39], v[70:71], s[18:19]
	v_fma_f64 v[68:69], v[38:39], v[68:69], s[20:21]
	;; [unrolled: 1-line block ×3, first 2 shown]
	v_mul_f64 v[70:71], v[52:53], -v[38:39]
	v_mul_f64 v[80:81], v[54:55], 0.5
	v_fmac_f64_e32 v[80:81], v[70:71], v[68:69]
	v_fma_f64 v[38:39], v[38:39], v[80:81], -v[54:55]
	v_fmac_f64_e32 v[38:39], s[24:25], v[70:71]
	v_add_f64 v[38:39], v[52:53], -v[38:39]
	v_xor_b32_e32 v39, 0x80000000, v39
	v_cmp_eq_u32_e32 vcc, 0, v49
	v_lshlrev_b32_e32 v49, 30, v51
	v_and_b32_e32 v49, 0x80000000, v49
	v_cndmask_b32_e32 v39, v39, v67, vcc
	v_cndmask_b32_e32 v38, v38, v66, vcc
	v_xor_b32_e32 v39, v39, v49
	v_cndmask_b32_e64 v38, 0, v38, s[0:1]
	v_cndmask_b32_e64 v39, v96, v39, s[0:1]
	s_mov_b32 s0, 0
	s_brev_b32 s1, 8
	v_mul_f64 v[36:37], v[36:37], v[38:39]
	v_cmp_gt_f64_e32 vcc, s[0:1], v[28:29]
	v_fmac_f64_e32 v[36:37], v[64:65], v[26:27]
	s_mov_b32 s0, 0x33d43651
	v_cndmask_b32_e64 v26, 0, 1, vcc
	v_lshlrev_b32_e32 v26, 8, v26
	v_ldexp_f64 v[26:27], v[28:29], v26
	v_rsq_f64_e32 v[28:29], v[26:27]
	s_mov_b32 s1, 0x3fe98845
	v_mul_f64 v[36:37], v[36:37], s[0:1]
	v_mul_f64 v[38:39], v[26:27], v[28:29]
	v_mul_f64 v[28:29], v[28:29], 0.5
	v_fma_f64 v[52:53], -v[28:29], v[38:39], 0.5
	v_fmac_f64_e32 v[38:39], v[38:39], v[52:53]
	v_fma_f64 v[54:55], -v[38:39], v[38:39], v[26:27]
	v_fmac_f64_e32 v[28:29], v[28:29], v[52:53]
	v_fmac_f64_e32 v[38:39], v[54:55], v[28:29]
	v_fma_f64 v[52:53], -v[38:39], v[38:39], v[26:27]
	v_fmac_f64_e32 v[38:39], v[52:53], v[28:29]
	v_mov_b32_e32 v28, 0xffffff80
	v_cndmask_b32_e32 v28, 0, v28, vcc
	v_ldexp_f64 v[28:29], v[38:39], v28
	v_mov_b32_e32 v38, 0x260
	v_cmp_class_f64_e32 vcc, v[26:27], v38
	s_nop 1
	v_cndmask_b32_e32 v27, v29, v27, vcc
	v_cndmask_b32_e32 v26, v28, v26, vcc
	v_div_scale_f64 v[28:29], s[0:1], v[26:27], v[26:27], v[36:37]
	v_rcp_f64_e32 v[38:39], v[28:29]
	s_nop 0
	v_fma_f64 v[52:53], -v[28:29], v[38:39], 1.0
	v_fmac_f64_e32 v[38:39], v[38:39], v[52:53]
	v_fma_f64 v[52:53], -v[28:29], v[38:39], 1.0
	v_fmac_f64_e32 v[38:39], v[38:39], v[52:53]
	v_div_scale_f64 v[52:53], vcc, v[36:37], v[26:27], v[36:37]
	v_mul_f64 v[54:55], v[52:53], v[38:39]
	v_fma_f64 v[28:29], -v[28:29], v[54:55], v[52:53]
	s_nop 1
	v_div_fmas_f64 v[28:29], v[28:29], v[38:39], v[54:55]
	v_div_fixup_f64 v[36:37], v[28:29], v[26:27], v[36:37]
.LBB5_200:
	s_or_b64 exec, exec, s[4:5]
	s_mov_b32 s0, 0
	s_mov_b32 s1, 0x40140000
	v_cmp_ge_f64_e32 vcc, s[0:1], v[18:19]
                                        ; implicit-def: $vgpr26_vgpr27
	s_and_saveexec_b64 s[0:1], vcc
	s_xor_b64 s[0:1], exec, s[0:1]
	s_cbranch_execz .LBB5_210
; %bb.201:
	v_mov_b32_e32 v26, 0
	v_cmp_neq_f64_e32 vcc, 0, v[18:19]
	v_mov_b32_e32 v27, 0xfff00000
	s_and_saveexec_b64 s[4:5], vcc
	s_cbranch_execz .LBB5_209
; %bb.202:
	v_mov_b32_e32 v26, 0
	v_cmp_ngt_f64_e32 vcc, 0, v[18:19]
	v_mov_b32_e32 v27, 0x7ff80000
	s_and_saveexec_b64 s[6:7], vcc
	s_cbranch_execz .LBB5_208
; %bb.203:
	s_mov_b32 s8, 0x88e368f1
	v_mul_f64 v[26:27], v[18:19], v[18:19]
	s_mov_b32 s9, 0x3ee4f8b5
	v_mul_f64 v[38:39], v[26:27], 0
	v_cmp_ngt_f64_e32 vcc, s[8:9], v[18:19]
                                        ; implicit-def: $vgpr28_vgpr29
	s_and_saveexec_b64 s[8:9], vcc
	s_xor_b64 s[8:9], exec, s[8:9]
	s_cbranch_execz .LBB5_205
; %bb.204:
	s_mov_b32 s10, 0xad1c8325
	s_mov_b32 s11, 0xc1f1dc53
	v_add_f64 v[28:29], v[38:39], s[10:11]
	v_mov_b32_e32 v52, 0xc772990d
	v_mov_b32_e32 v53, 0x427c7751
	s_mov_b32 s10, 0xa696b78c
	v_fmac_f64_e32 v[52:53], v[26:27], v[28:29]
	v_mov_b32_e32 v28, 0xe0d900f7
	v_mov_b32_e32 v29, 0xc2ec5614
	s_mov_b32 s11, 0x407f3902
	v_fmac_f64_e32 v[28:29], v[26:27], v[52:53]
	v_add_f64 v[52:53], v[38:39], s[10:11]
	v_mov_b32_e32 v54, 0x36a21a67
	v_mov_b32_e32 v55, 0x410536cb
	v_fmac_f64_e32 v[54:55], v[26:27], v[52:53]
	v_mov_b32_e32 v52, 0x2eac0634
	v_mov_b32_e32 v53, 0x41871934
	v_fmac_f64_e32 v[52:53], v[26:27], v[54:55]
	;; [unrolled: 3-line block ×6, first 2 shown]
	v_mov_b32_e32 v54, 0xc7b662cc
	v_mov_b32_e32 v55, 0x43b7be34
	s_mov_b32 s10, 0x80462bbb
	v_fmac_f64_e32 v[54:55], v[26:27], v[52:53]
	v_mov_b32_e32 v52, 0x69ff5fb4
	v_mov_b32_e32 v53, 0x43413ef8
	s_mov_b32 s11, 0xc01721fb
	v_fmac_f64_e32 v[52:53], v[26:27], v[28:29]
	v_add_f64 v[28:29], v[26:27], s[10:11]
	s_mov_b32 s10, 0xa621dd6f
	s_mov_b32 s11, 0xc03e78a4
	v_add_f64 v[64:65], v[26:27], s[10:11]
	v_mul_f64 v[28:29], v[28:29], v[64:65]
	v_mul_f64 v[28:29], v[28:29], v[52:53]
	v_div_scale_f64 v[52:53], s[10:11], v[54:55], v[54:55], v[28:29]
	v_rcp_f64_e32 v[64:65], v[52:53]
	s_nop 0
	v_fma_f64 v[66:67], -v[52:53], v[64:65], 1.0
	v_fmac_f64_e32 v[64:65], v[64:65], v[66:67]
	v_fma_f64 v[66:67], -v[52:53], v[64:65], 1.0
	v_fmac_f64_e32 v[64:65], v[64:65], v[66:67]
	v_div_scale_f64 v[66:67], vcc, v[28:29], v[54:55], v[28:29]
	v_mul_f64 v[68:69], v[66:67], v[64:65]
	v_fma_f64 v[52:53], -v[52:53], v[68:69], v[66:67]
	s_nop 1
	v_div_fmas_f64 v[52:53], v[52:53], v[64:65], v[68:69]
	v_div_fixup_f64 v[28:29], v[52:53], v[54:55], v[28:29]
.LBB5_205:
	s_andn2_saveexec_b64 s[8:9], s[8:9]
; %bb.206:
	s_mov_b32 s10, 0
	s_mov_b32 s11, 0xbfd00000
	v_fma_f64 v[28:29], v[26:27], s[10:11], 1.0
; %bb.207:
	s_or_b64 exec, exec, s[8:9]
	s_mov_b32 s8, 0xe896898f
	s_mov_b32 s9, 0x40ce7437
	v_add_f64 v[52:53], v[38:39], s[8:9]
	v_mov_b32_e32 v54, 0x32e48896
	v_mov_b32_e32 v55, 0xc16bf81f
	v_fmac_f64_e32 v[54:55], v[26:27], v[52:53]
	v_mov_b32_e32 v52, 0xf0284cdd
	v_mov_b32_e32 v53, 0x41f43f78
	v_fmac_f64_e32 v[52:53], v[26:27], v[54:55]
	;; [unrolled: 3-line block ×4, first 2 shown]
	v_mov_b32_e32 v54, 0xd1d8cc02
	v_mov_b32_e32 v55, 0xc328a121
	s_mov_b32 s8, 0x576dfcb6
	v_fmac_f64_e32 v[54:55], v[26:27], v[52:53]
	v_mov_b32_e32 v52, 0x660b4003
	v_mov_b32_e32 v53, 0x4363a94b
	s_mov_b32 s9, 0x40904522
	v_fmac_f64_e32 v[52:53], v[26:27], v[54:55]
	v_add_f64 v[38:39], v[38:39], s[8:9]
	v_mov_b32_e32 v54, 0xa907bc0c
	v_mov_b32_e32 v55, 0x41231b76
	v_fmac_f64_e32 v[54:55], v[26:27], v[38:39]
	v_mov_b32_e32 v38, 0x5164d101
	v_mov_b32_e32 v39, 0x41b00763
	v_fmac_f64_e32 v[38:39], v[26:27], v[54:55]
	;; [unrolled: 3-line block ×7, first 2 shown]
	v_div_scale_f64 v[26:27], s[8:9], v[38:39], v[38:39], v[54:55]
	v_rcp_f64_e32 v[52:53], v[26:27]
	s_mov_b32 s8, 0x55555555
	s_mov_b32 s9, 0x3fe55555
	v_mov_b32_e32 v51, 0x3ff00000
	v_fma_f64 v[64:65], -v[26:27], v[52:53], 1.0
	v_fmac_f64_e32 v[52:53], v[52:53], v[64:65]
	v_fma_f64 v[64:65], -v[26:27], v[52:53], 1.0
	v_fmac_f64_e32 v[52:53], v[52:53], v[64:65]
	v_div_scale_f64 v[64:65], vcc, v[54:55], v[38:39], v[54:55]
	v_mul_f64 v[66:67], v[64:65], v[52:53]
	v_fma_f64 v[26:27], -v[26:27], v[66:67], v[64:65]
	v_frexp_exp_i32_f64_e32 v49, v[18:19]
	s_nop 0
	v_div_fmas_f64 v[26:27], v[26:27], v[52:53], v[66:67]
	v_div_fixup_f64 v[26:27], v[26:27], v[38:39], v[54:55]
	v_frexp_mant_f64_e32 v[38:39], v[18:19]
	v_cmp_gt_f64_e32 vcc, s[8:9], v[38:39]
	v_mov_b32_e32 v52, 0
	s_mov_b32 s8, 0xbf559e2b
	v_cndmask_b32_e64 v53, v51, 2.0, vcc
	v_mul_f64 v[38:39], v[38:39], v[52:53]
	v_add_f64 v[52:53], v[38:39], 1.0
	v_rcp_f64_e32 v[54:55], v[52:53]
	v_add_f64 v[66:67], v[52:53], -1.0
	v_add_f64 v[64:65], v[38:39], -1.0
	v_add_f64 v[38:39], v[38:39], -v[66:67]
	v_fma_f64 v[66:67], -v[52:53], v[54:55], 1.0
	v_fmac_f64_e32 v[54:55], v[66:67], v[54:55]
	v_fma_f64 v[66:67], -v[52:53], v[54:55], 1.0
	v_fmac_f64_e32 v[54:55], v[66:67], v[54:55]
	v_mul_f64 v[66:67], v[64:65], v[54:55]
	v_mul_f64 v[68:69], v[52:53], v[66:67]
	v_fma_f64 v[52:53], v[66:67], v[52:53], -v[68:69]
	v_fmac_f64_e32 v[52:53], v[66:67], v[38:39]
	v_add_f64 v[38:39], v[68:69], v[52:53]
	v_add_f64 v[70:71], v[64:65], -v[38:39]
	v_add_f64 v[68:69], v[38:39], -v[68:69]
	;; [unrolled: 1-line block ×5, first 2 shown]
	v_add_f64 v[38:39], v[52:53], v[38:39]
	v_add_f64 v[38:39], v[70:71], v[38:39]
	v_mul_f64 v[38:39], v[54:55], v[38:39]
	v_add_f64 v[52:53], v[66:67], v[38:39]
	v_add_f64 v[54:55], v[52:53], -v[66:67]
	v_add_f64 v[38:39], v[38:39], -v[54:55]
	v_mul_f64 v[54:55], v[52:53], v[52:53]
	v_mov_b32_e32 v64, 0x6b47b09a
	v_mov_b32_e32 v65, 0x3fc38538
	s_mov_b32 s9, 0x3fc3ab76
	v_fmac_f64_e32 v[64:65], s[8:9], v[54:55]
	v_mov_b32_e32 v66, 0xd7f4df2e
	v_mov_b32_e32 v67, 0x3fc7474d
	v_fmac_f64_e32 v[66:67], v[54:55], v[64:65]
	v_mov_b32_e32 v64, 0x16291751
	v_mov_b32_e32 v65, 0x3fcc71c0
	;; [unrolled: 3-line block ×5, first 2 shown]
	v_fmac_f64_e32 v[66:67], v[54:55], v[64:65]
	v_ldexp_f64 v[64:65], v[52:53], 1
	v_mul_f64 v[52:53], v[52:53], v[54:55]
	v_mul_f64 v[52:53], v[52:53], v[66:67]
	v_add_f64 v[54:55], v[64:65], v[52:53]
	v_add_f64 v[64:65], v[54:55], -v[64:65]
	v_ldexp_f64 v[38:39], v[38:39], 1
	v_add_f64 v[52:53], v[52:53], -v[64:65]
	v_add_f64 v[38:39], v[38:39], v[52:53]
	v_add_f64 v[52:53], v[54:55], v[38:39]
	v_subbrev_co_u32_e32 v49, vcc, 0, v49, vcc
	v_add_f64 v[54:55], v[52:53], -v[54:55]
	s_mov_b32 s8, 0xfefa39ef
	v_add_f64 v[38:39], v[38:39], -v[54:55]
	v_cvt_f64_i32_e32 v[54:55], v49
	s_mov_b32 s9, 0x3fe62e42
	v_mul_f64 v[64:65], v[54:55], s[8:9]
	v_fma_f64 v[66:67], v[54:55], s[8:9], -v[64:65]
	s_mov_b32 s8, 0x3b39803f
	s_mov_b32 s9, 0x3c7abc9e
	v_fmac_f64_e32 v[66:67], s[8:9], v[54:55]
	v_add_f64 v[54:55], v[64:65], v[66:67]
	v_add_f64 v[64:65], v[54:55], -v[64:65]
	v_add_f64 v[64:65], v[66:67], -v[64:65]
	v_add_f64 v[66:67], v[54:55], v[52:53]
	v_add_f64 v[68:69], v[66:67], -v[54:55]
	v_add_f64 v[70:71], v[66:67], -v[68:69]
	;; [unrolled: 1-line block ×4, first 2 shown]
	v_add_f64 v[52:53], v[52:53], v[54:55]
	v_add_f64 v[54:55], v[64:65], v[38:39]
	v_add_f64 v[68:69], v[54:55], -v[64:65]
	v_add_f64 v[70:71], v[54:55], -v[68:69]
	v_add_f64 v[52:53], v[54:55], v[52:53]
	v_add_f64 v[64:65], v[64:65], -v[70:71]
	v_add_f64 v[38:39], v[38:39], -v[68:69]
	v_add_f64 v[54:55], v[66:67], v[52:53]
	v_add_f64 v[38:39], v[38:39], v[64:65]
	v_add_f64 v[64:65], v[54:55], -v[66:67]
	v_add_f64 v[52:53], v[52:53], -v[64:65]
	v_add_f64 v[38:39], v[38:39], v[52:53]
	s_mov_b32 s8, 0x6dc9c883
	v_add_f64 v[38:39], v[54:55], v[38:39]
	s_mov_b32 s9, 0x3fe45f30
	v_mul_f64 v[38:39], v[38:39], s[8:9]
	v_fmac_f64_e32 v[26:27], v[38:39], v[28:29]
.LBB5_208:
	s_or_b64 exec, exec, s[6:7]
.LBB5_209:
	s_or_b64 exec, exec, s[4:5]
.LBB5_210:
	s_andn2_saveexec_b64 s[4:5], s[0:1]
	s_cbranch_execz .LBB5_220
; %bb.211:
	s_mov_b32 s9, 0xbfe921fb
	s_mov_b32 s8, 0x54442d18
	;; [unrolled: 1-line block ×3, first 2 shown]
	v_add_f64 v[26:27], v[18:19], s[8:9]
	s_mov_b32 s1, 0x41d00000
	v_cmp_nlt_f64_e64 s[6:7], |v[26:27]|, s[0:1]
	v_trig_preop_f64 v[68:69], |v[26:27]|, 0
	v_trig_preop_f64 v[66:67], |v[26:27]|, 1
	;; [unrolled: 1-line block ×3, first 2 shown]
                                        ; implicit-def: $vgpr49
                                        ; implicit-def: $vgpr28_vgpr29
                                        ; implicit-def: $vgpr38_vgpr39
	s_and_saveexec_b64 s[0:1], s[6:7]
	s_xor_b64 s[10:11], exec, s[0:1]
	s_cbranch_execz .LBB5_213
; %bb.212:
	s_mov_b32 s0, 0
	s_mov_b32 s1, 0x7b000000
	s_movk_i32 s9, 0xff80
	v_and_b32_e32 v38, 0x7fffffff, v27
	v_ldexp_f64 v[28:29], |v[26:27]|, s9
	v_cmp_ge_f64_e64 vcc, |v[26:27]|, s[0:1]
	s_mov_b32 s0, 0
	s_mov_b32 s1, 0x7ff00000
	v_cndmask_b32_e32 v29, v38, v29, vcc
	v_cndmask_b32_e32 v28, v26, v28, vcc
	v_mul_f64 v[52:53], v[68:69], v[28:29]
	v_mul_f64 v[38:39], v[66:67], v[28:29]
	v_fma_f64 v[54:55], v[68:69], v[28:29], -v[52:53]
	v_add_f64 v[70:71], v[38:39], v[54:55]
	v_add_f64 v[80:81], v[52:53], v[70:71]
	v_ldexp_f64 v[82:83], v[80:81], -2
	v_fract_f64_e32 v[84:85], v[82:83]
	v_cmp_neq_f64_e64 vcc, |v[82:83]|, s[0:1]
	v_add_f64 v[52:53], v[80:81], -v[52:53]
	v_add_f64 v[52:53], v[70:71], -v[52:53]
	v_cndmask_b32_e32 v83, 0, v85, vcc
	v_cndmask_b32_e32 v82, 0, v84, vcc
	v_add_f64 v[84:85], v[70:71], -v[38:39]
	v_add_f64 v[54:55], v[54:55], -v[84:85]
	;; [unrolled: 1-line block ×4, first 2 shown]
	v_add_f64 v[54:55], v[54:55], v[84:85]
	v_fma_f64 v[38:39], v[66:67], v[28:29], -v[38:39]
	v_mul_f64 v[84:85], v[64:65], v[28:29]
	v_add_f64 v[96:97], v[84:85], v[38:39]
	v_add_f64 v[98:99], v[96:97], v[54:55]
	v_add_f64 v[80:81], v[98:99], -v[96:97]
	v_add_f64 v[54:55], v[54:55], -v[80:81]
	;; [unrolled: 1-line block ×4, first 2 shown]
	v_add_f64 v[54:55], v[54:55], v[80:81]
	v_add_f64 v[80:81], v[96:97], -v[84:85]
	v_add_f64 v[38:39], v[38:39], -v[80:81]
	;; [unrolled: 1-line block ×4, first 2 shown]
	v_add_f64 v[70:71], v[52:53], v[98:99]
	v_add_f64 v[38:39], v[38:39], v[80:81]
	v_add_f64 v[52:53], v[70:71], -v[52:53]
	v_add_f64 v[38:39], v[38:39], v[54:55]
	v_fma_f64 v[28:29], v[64:65], v[28:29], -v[84:85]
	v_add_f64 v[52:53], v[98:99], -v[52:53]
	v_add_f64 v[28:29], v[28:29], v[38:39]
	v_ldexp_f64 v[38:39], v[82:83], 2
	v_add_f64 v[28:29], v[52:53], v[28:29]
	v_add_f64 v[52:53], v[70:71], v[38:39]
	v_mov_b32_e32 v49, 0x40100000
	v_cmp_gt_f64_e32 vcc, 0, v[52:53]
	v_mov_b32_e32 v86, 0
	s_mov_b32 s9, 0x3ff921fb
	v_cndmask_b32_e32 v87, 0, v49, vcc
	v_add_f64 v[38:39], v[38:39], v[86:87]
	v_add_f64 v[52:53], v[70:71], v[38:39]
	v_cvt_i32_f64_e32 v49, v[52:53]
	v_cvt_f64_i32_e32 v[52:53], v49
	v_add_f64 v[38:39], v[38:39], -v[52:53]
	v_add_f64 v[52:53], v[70:71], v[38:39]
	v_add_f64 v[38:39], v[52:53], -v[38:39]
	v_add_f64 v[38:39], v[70:71], -v[38:39]
	v_add_f64 v[28:29], v[28:29], v[38:39]
	v_cmp_le_f64_e32 vcc, 0.5, v[52:53]
	v_mov_b32_e32 v38, 0x3ff00000
	s_nop 0
	v_cndmask_b32_e32 v87, 0, v38, vcc
	v_add_f64 v[38:39], v[52:53], -v[86:87]
	v_add_f64 v[52:53], v[38:39], v[28:29]
	v_addc_co_u32_e64 v49, s[0:1], 0, v49, vcc
	v_add_f64 v[38:39], v[52:53], -v[38:39]
	v_add_f64 v[28:29], v[28:29], -v[38:39]
	v_mul_f64 v[38:39], v[52:53], s[8:9]
	s_mov_b32 s0, 0x33145c07
	v_fma_f64 v[54:55], v[52:53], s[8:9], -v[38:39]
	s_mov_b32 s1, 0x3c91a626
	v_fmac_f64_e32 v[54:55], s[0:1], v[52:53]
	v_fmac_f64_e32 v[54:55], s[8:9], v[28:29]
	v_add_f64 v[28:29], v[38:39], v[54:55]
	v_add_f64 v[38:39], v[28:29], -v[38:39]
	v_add_f64 v[38:39], v[54:55], -v[38:39]
	s_andn2_saveexec_b64 s[0:1], s[10:11]
	s_cbranch_execz .LBB5_215
	s_branch .LBB5_214
.LBB5_213:
	s_andn2_saveexec_b64 s[0:1], s[10:11]
	s_cbranch_execz .LBB5_215
.LBB5_214:
	s_mov_b32 s8, 0x6dc9c883
	s_mov_b32 s9, 0x3fe45f30
	v_mul_f64 v[28:29], |v[26:27]|, s[8:9]
	s_mov_b32 s8, 0x54442d18
	v_rndne_f64_e32 v[52:53], v[28:29]
	s_mov_b32 s9, 0xbff921fb
	v_fma_f64 v[28:29], v[52:53], s[8:9], |v[26:27]|
	s_mov_b32 s9, 0xbc91a626
	s_mov_b32 s8, 0x33145c00
	v_mul_f64 v[54:55], v[52:53], s[8:9]
	v_add_f64 v[80:81], v[28:29], v[54:55]
	v_fma_f64 v[38:39], s[8:9], v[52:53], v[28:29]
	s_mov_b32 s9, 0x3c91a626
	v_add_f64 v[28:29], v[28:29], -v[80:81]
	v_fma_f64 v[70:71], s[8:9], v[52:53], v[54:55]
	v_add_f64 v[28:29], v[28:29], v[54:55]
	v_add_f64 v[54:55], v[80:81], -v[38:39]
	v_add_f64 v[28:29], v[54:55], v[28:29]
	s_mov_b32 s8, 0x252049c0
	v_add_f64 v[54:55], v[28:29], -v[70:71]
	s_mov_b32 s9, 0xb97b839a
	v_fmac_f64_e32 v[54:55], s[8:9], v[52:53]
	v_add_f64 v[28:29], v[38:39], v[54:55]
	v_add_f64 v[38:39], v[28:29], -v[38:39]
	v_add_f64 v[38:39], v[54:55], -v[38:39]
	v_cvt_i32_f64_e32 v49, v[52:53]
.LBB5_215:
	s_or_b64 exec, exec, s[0:1]
                                        ; implicit-def: $vgpr51
                                        ; implicit-def: $vgpr52_vgpr53
                                        ; implicit-def: $vgpr54_vgpr55
	s_and_saveexec_b64 s[0:1], s[6:7]
	s_xor_b64 s[6:7], exec, s[0:1]
	s_cbranch_execz .LBB5_217
; %bb.216:
	s_mov_b32 s0, 0
	s_mov_b32 s1, 0x7b000000
	s_movk_i32 s8, 0xff80
	v_and_b32_e32 v51, 0x7fffffff, v27
	v_ldexp_f64 v[52:53], |v[26:27]|, s8
	v_cmp_ge_f64_e64 vcc, |v[26:27]|, s[0:1]
	s_mov_b32 s0, 0
	s_mov_b32 s1, 0x7ff00000
	v_cndmask_b32_e32 v53, v51, v53, vcc
	v_cndmask_b32_e32 v52, v26, v52, vcc
	v_mul_f64 v[70:71], v[68:69], v[52:53]
	v_mul_f64 v[54:55], v[66:67], v[52:53]
	v_fma_f64 v[68:69], v[68:69], v[52:53], -v[70:71]
	v_add_f64 v[80:81], v[54:55], v[68:69]
	v_add_f64 v[82:83], v[70:71], v[80:81]
	v_ldexp_f64 v[84:85], v[82:83], -2
	v_fract_f64_e32 v[86:87], v[84:85]
	v_cmp_neq_f64_e64 vcc, |v[84:85]|, s[0:1]
	v_add_f64 v[70:71], v[82:83], -v[70:71]
	v_add_f64 v[70:71], v[80:81], -v[70:71]
	v_cndmask_b32_e32 v85, 0, v87, vcc
	v_cndmask_b32_e32 v84, 0, v86, vcc
	v_add_f64 v[86:87], v[80:81], -v[54:55]
	v_add_f64 v[68:69], v[68:69], -v[86:87]
	;; [unrolled: 1-line block ×4, first 2 shown]
	v_fma_f64 v[54:55], v[66:67], v[52:53], -v[54:55]
	v_mul_f64 v[66:67], v[64:65], v[52:53]
	v_add_f64 v[68:69], v[68:69], v[86:87]
	v_add_f64 v[86:87], v[66:67], v[54:55]
	;; [unrolled: 1-line block ×3, first 2 shown]
	v_add_f64 v[82:83], v[98:99], -v[86:87]
	v_add_f64 v[68:69], v[68:69], -v[82:83]
	;; [unrolled: 1-line block ×4, first 2 shown]
	v_add_f64 v[68:69], v[68:69], v[82:83]
	v_add_f64 v[82:83], v[86:87], -v[66:67]
	v_add_f64 v[54:55], v[54:55], -v[82:83]
	;; [unrolled: 1-line block ×4, first 2 shown]
	v_add_f64 v[54:55], v[54:55], v[82:83]
	v_add_f64 v[54:55], v[54:55], v[68:69]
	v_fma_f64 v[52:53], v[64:65], v[52:53], -v[66:67]
	v_add_f64 v[80:81], v[70:71], v[98:99]
	v_add_f64 v[52:53], v[52:53], v[54:55]
	v_ldexp_f64 v[54:55], v[84:85], 2
	v_add_f64 v[64:65], v[80:81], v[54:55]
	v_mov_b32_e32 v51, 0x40100000
	v_cmp_gt_f64_e32 vcc, 0, v[64:65]
	v_mov_b32_e32 v96, 0
	v_add_f64 v[70:71], v[80:81], -v[70:71]
	v_cndmask_b32_e32 v97, 0, v51, vcc
	v_add_f64 v[54:55], v[54:55], v[96:97]
	v_add_f64 v[64:65], v[80:81], v[54:55]
	v_cvt_i32_f64_e32 v51, v[64:65]
	v_cvt_f64_i32_e32 v[64:65], v51
	v_add_f64 v[54:55], v[54:55], -v[64:65]
	v_add_f64 v[64:65], v[80:81], v[54:55]
	v_add_f64 v[70:71], v[98:99], -v[70:71]
	v_add_f64 v[54:55], v[64:65], -v[54:55]
	v_add_f64 v[52:53], v[70:71], v[52:53]
	v_add_f64 v[54:55], v[80:81], -v[54:55]
	v_add_f64 v[52:53], v[52:53], v[54:55]
	v_cmp_le_f64_e32 vcc, 0.5, v[64:65]
	v_mov_b32_e32 v54, 0x3ff00000
	s_mov_b32 s8, 0x33145c07
	v_cndmask_b32_e32 v97, 0, v54, vcc
	v_addc_co_u32_e64 v51, s[0:1], 0, v51, vcc
	v_add_f64 v[54:55], v[64:65], -v[96:97]
	v_add_f64 v[64:65], v[54:55], v[52:53]
	s_mov_b32 s0, 0x54442d18
	v_add_f64 v[54:55], v[64:65], -v[54:55]
	s_mov_b32 s1, 0x3ff921fb
	v_add_f64 v[52:53], v[52:53], -v[54:55]
	v_mul_f64 v[54:55], v[64:65], s[0:1]
	v_fma_f64 v[66:67], v[64:65], s[0:1], -v[54:55]
	s_mov_b32 s9, 0x3c91a626
	v_fmac_f64_e32 v[66:67], s[8:9], v[64:65]
	v_fmac_f64_e32 v[66:67], s[0:1], v[52:53]
	v_add_f64 v[52:53], v[54:55], v[66:67]
	v_add_f64 v[54:55], v[52:53], -v[54:55]
	v_add_f64 v[54:55], v[66:67], -v[54:55]
	s_andn2_saveexec_b64 s[0:1], s[6:7]
	s_cbranch_execnz .LBB5_218
	s_branch .LBB5_219
.LBB5_217:
	s_andn2_saveexec_b64 s[0:1], s[6:7]
	s_cbranch_execz .LBB5_219
.LBB5_218:
	s_mov_b32 s6, 0x6dc9c883
	s_mov_b32 s7, 0x3fe45f30
	v_mul_f64 v[52:53], |v[26:27]|, s[6:7]
	s_mov_b32 s6, 0x54442d18
	v_rndne_f64_e32 v[64:65], v[52:53]
	s_mov_b32 s7, 0xbff921fb
	v_fma_f64 v[52:53], v[64:65], s[6:7], |v[26:27]|
	s_mov_b32 s7, 0xbc91a626
	s_mov_b32 s6, 0x33145c00
	v_mul_f64 v[66:67], v[64:65], s[6:7]
	v_add_f64 v[70:71], v[52:53], v[66:67]
	v_fma_f64 v[54:55], s[6:7], v[64:65], v[52:53]
	s_mov_b32 s7, 0x3c91a626
	v_add_f64 v[52:53], v[52:53], -v[70:71]
	v_fma_f64 v[68:69], s[6:7], v[64:65], v[66:67]
	v_add_f64 v[52:53], v[52:53], v[66:67]
	v_add_f64 v[66:67], v[70:71], -v[54:55]
	v_add_f64 v[52:53], v[66:67], v[52:53]
	s_mov_b32 s6, 0x252049c0
	v_add_f64 v[66:67], v[52:53], -v[68:69]
	s_mov_b32 s7, 0xb97b839a
	v_fmac_f64_e32 v[66:67], s[6:7], v[64:65]
	v_add_f64 v[52:53], v[54:55], v[66:67]
	v_add_f64 v[54:55], v[52:53], -v[54:55]
	v_add_f64 v[54:55], v[66:67], -v[54:55]
	v_cvt_i32_f64_e32 v51, v[64:65]
.LBB5_219:
	s_or_b64 exec, exec, s[0:1]
	s_mov_b32 s0, 0
	v_mul_f64 v[64:65], v[18:19], v[18:19]
	s_mov_b32 s1, 0x40390000
	v_div_scale_f64 v[66:67], s[6:7], v[64:65], v[64:65], s[0:1]
	v_rcp_f64_e32 v[68:69], v[66:67]
	v_mov_b32_e32 v82, 0xb1759c7f
	v_mov_b32_e32 v83, 0x408ac370
	;; [unrolled: 1-line block ×3, first 2 shown]
	v_fma_f64 v[70:71], -v[66:67], v[68:69], 1.0
	v_fmac_f64_e32 v[68:69], v[68:69], v[70:71]
	v_fma_f64 v[70:71], -v[66:67], v[68:69], 1.0
	v_fmac_f64_e32 v[68:69], v[68:69], v[70:71]
	v_div_scale_f64 v[70:71], vcc, s[0:1], v[64:65], s[0:1]
	v_mul_f64 v[80:81], v[70:71], v[68:69]
	v_fma_f64 v[66:67], -v[66:67], v[80:81], v[70:71]
	v_mov_b32_e32 v70, 0xab5454e3
	s_nop 0
	v_div_fmas_f64 v[66:67], v[66:67], v[68:69], v[80:81]
	v_div_fixup_f64 v[64:65], v[66:67], v[64:65], s[0:1]
	v_mov_b32_e32 v66, 0x983b6b27
	v_mov_b32_e32 v67, 0x3f4a1d30
	v_fmac_f64_e32 v[66:67], 0, v[64:65]
	v_mov_b32_e32 v68, 0xb35dd1cf
	v_mov_b32_e32 v69, 0x3fb534b0
	v_fmac_f64_e32 v[68:69], v[64:65], v[66:67]
	;; [unrolled: 3-line block ×7, first 2 shown]
	v_mov_b32_e32 v71, 0x3fb5ebc5
	v_fmac_f64_e32 v[70:71], v[64:65], v[66:67]
	v_mov_b32_e32 v66, 0xc9b3069f
	v_mov_b32_e32 v67, 0x3ff40e72
	v_fmac_f64_e32 v[66:67], v[64:65], v[70:71]
	v_mov_b32_e32 v70, 0xe68162bb
	;; [unrolled: 3-line block ×4, first 2 shown]
	v_mov_b32_e32 v71, 0x40153965
	v_fmac_f64_e32 v[70:71], v[64:65], v[66:67]
	v_fma_f64 v[66:67], v[64:65], v[70:71], 1.0
	v_mov_b32_e32 v70, 0x38a5384a
	v_mov_b32_e32 v71, 0xbf874742
	v_fmac_f64_e32 v[70:71], 0, v[64:65]
	v_mov_b32_e32 v80, 0x3a321174
	v_mov_b32_e32 v81, 0xbff4853b
	v_fmac_f64_e32 v[80:81], v[64:65], v[70:71]
	;; [unrolled: 3-line block ×9, first 2 shown]
	v_fmac_f64_e32 v[82:83], v[64:65], v[70:71]
	v_mov_b32_e32 v70, 0xbd748cb5
	v_mov_b32_e32 v71, 0x40ae54cd
	v_fmac_f64_e32 v[70:71], v[64:65], v[82:83]
	v_mov_b32_e32 v82, 0xbdefd63e
	v_mov_b32_e32 v83, 0x40bc4877
	;; [unrolled: 3-line block ×4, first 2 shown]
	v_fma_f64 v[68:69], v[64:65], v[68:69], 1.0
	v_fmac_f64_e32 v[82:83], v[64:65], v[70:71]
	v_div_scale_f64 v[70:71], s[0:1], v[66:67], v[66:67], v[68:69]
	v_rcp_f64_e32 v[84:85], v[70:71]
	v_mov_b32_e32 v87, 0x406e402f
	v_fmac_f64_e32 v[86:87], v[64:65], v[82:83]
	s_mov_b32 s0, 0x9037ab78
	v_fma_f64 v[64:65], -v[70:71], v[84:85], 1.0
	v_fmac_f64_e32 v[84:85], v[84:85], v[64:65]
	v_fma_f64 v[64:65], -v[70:71], v[84:85], 1.0
	v_fmac_f64_e32 v[84:85], v[84:85], v[64:65]
	v_div_scale_f64 v[64:65], vcc, v[68:69], v[66:67], v[68:69]
	v_mul_f64 v[82:83], v[64:65], v[84:85]
	v_fma_f64 v[64:65], -v[70:71], v[82:83], v[64:65]
	s_mov_b32 s1, 0x3e21eeb6
	s_nop 0
	v_div_fmas_f64 v[64:65], v[64:65], v[84:85], v[82:83]
	s_mov_b32 s6, 0x46cc5e42
	v_div_fixup_f64 v[64:65], v[64:65], v[66:67], v[68:69]
	v_mul_f64 v[66:67], v[28:29], v[28:29]
	s_mov_b32 s7, 0xbda907db
	v_mov_b64_e32 v[84:85], s[0:1]
	s_mov_b32 s8, 0xa17f65f6
	v_mul_f64 v[68:69], v[66:67], 0.5
	v_fma_f64 v[96:97], s[6:7], v[66:67], v[84:85]
	s_mov_b32 s9, 0xbe927e4f
	s_mov_b32 s10, 0x19f4ec90
	v_add_f64 v[70:71], -v[68:69], 1.0
	v_fma_f64 v[96:97], v[66:67], v[96:97], s[8:9]
	s_mov_b32 s11, 0x3efa01a0
	s_mov_b32 s12, 0x16c16967
	v_add_f64 v[82:83], -v[70:71], 1.0
	v_fma_f64 v[96:97], v[66:67], v[96:97], s[10:11]
	s_mov_b32 s13, 0xbf56c16c
	s_mov_b32 s14, 0x55555555
	v_add_f64 v[68:69], v[82:83], -v[68:69]
	v_fma_f64 v[96:97], v[66:67], v[96:97], s[12:13]
	s_mov_b32 s15, 0x3fa55555
	v_mul_f64 v[82:83], v[66:67], v[66:67]
	v_fma_f64 v[96:97], v[66:67], v[96:97], s[14:15]
	v_fma_f64 v[68:69], v[28:29], -v[38:39], v[68:69]
	s_mov_b32 s0, 0xb42fdfa7
	v_fmac_f64_e32 v[68:69], v[82:83], v[96:97]
	s_mov_b32 s1, 0xbe5ae600
	s_mov_b32 s16, 0xf9a43bb8
	v_add_f64 v[68:69], v[70:71], v[68:69]
	s_mov_b32 s17, 0x3de5e0b2
	v_mov_b64_e32 v[70:71], s[0:1]
	s_mov_b32 s18, 0x796cde01
	v_fma_f64 v[82:83], s[16:17], v[66:67], v[70:71]
	s_mov_b32 s19, 0x3ec71de3
	s_mov_b32 s20, 0x19e83e5c
	v_fma_f64 v[82:83], v[66:67], v[82:83], s[18:19]
	s_mov_b32 s21, 0xbf2a01a0
	s_mov_b32 s22, 0x11110bb3
	v_fma_f64 v[82:83], v[66:67], v[82:83], s[20:21]
	s_mov_b32 s23, 0x3f811111
	v_fma_f64 v[82:83], v[66:67], v[82:83], s[22:23]
	v_mul_f64 v[96:97], v[28:29], -v[66:67]
	v_mul_f64 v[98:99], v[38:39], 0.5
	v_fmac_f64_e32 v[98:99], v[96:97], v[82:83]
	v_fma_f64 v[38:39], v[66:67], v[98:99], -v[38:39]
	s_mov_b32 s25, 0xbfc55555
	s_mov_b32 s24, s14
	v_fmac_f64_e32 v[38:39], s[24:25], v[96:97]
	v_add_f64 v[28:29], v[28:29], -v[38:39]
	v_and_b32_e32 v38, 1, v49
	v_cmp_eq_u32_e32 vcc, 0, v38
	s_mov_b32 s26, 0
	s_mov_b32 s27, 0x40140000
	v_cndmask_b32_e32 v66, v68, v28, vcc
	v_cndmask_b32_e32 v28, v69, v29, vcc
	v_lshlrev_b32_e32 v29, 30, v49
	v_xor_b32_e32 v29, v29, v27
	v_and_b32_e32 v29, 0x80000000, v29
	v_xor_b32_e32 v49, v28, v29
	v_div_scale_f64 v[28:29], s[0:1], v[18:19], v[18:19], s[26:27]
	v_rcp_f64_e32 v[38:39], v[28:29]
	s_movk_i32 s28, 0x1f8
	v_cmp_class_f64_e64 s[0:1], v[26:27], s28
	v_mov_b32_e32 v96, 0x7ff80000
	s_nop 0
	v_cndmask_b32_e64 v26, 0, v66, s[0:1]
	v_fma_f64 v[66:67], -v[28:29], v[38:39], 1.0
	v_fmac_f64_e32 v[38:39], v[38:39], v[66:67]
	v_fma_f64 v[66:67], -v[28:29], v[38:39], 1.0
	v_fmac_f64_e32 v[38:39], v[38:39], v[66:67]
	v_div_scale_f64 v[66:67], vcc, s[26:27], v[18:19], s[26:27]
	v_mul_f64 v[68:69], v[66:67], v[38:39]
	v_fma_f64 v[28:29], -v[28:29], v[68:69], v[66:67]
	v_div_scale_f64 v[66:67], s[28:29], v[86:87], v[86:87], v[80:81]
	v_rcp_f64_e32 v[82:83], v[66:67]
	v_div_fmas_f64 v[28:29], v[28:29], v[38:39], v[68:69]
	v_div_fixup_f64 v[28:29], v[28:29], v[18:19], s[26:27]
	v_cndmask_b32_e64 v27, v96, v49, s[0:1]
	v_fma_f64 v[38:39], -v[66:67], v[82:83], 1.0
	v_fmac_f64_e32 v[82:83], v[82:83], v[38:39]
	v_fma_f64 v[38:39], -v[66:67], v[82:83], 1.0
	v_fmac_f64_e32 v[82:83], v[82:83], v[38:39]
	v_div_scale_f64 v[38:39], vcc, v[80:81], v[86:87], v[80:81]
	v_mul_f64 v[68:69], v[38:39], v[82:83]
	v_fma_f64 v[38:39], -v[66:67], v[68:69], v[38:39]
	v_and_b32_e32 v49, 1, v51
	s_nop 0
	v_div_fmas_f64 v[38:39], v[38:39], v[82:83], v[68:69]
	v_div_fixup_f64 v[38:39], v[38:39], v[86:87], v[80:81]
	v_mul_f64 v[28:29], v[28:29], v[38:39]
	v_mul_f64 v[38:39], v[52:53], v[52:53]
	v_mul_f64 v[66:67], v[38:39], 0.5
	v_fmac_f64_e32 v[84:85], s[6:7], v[38:39]
	v_add_f64 v[68:69], -v[66:67], 1.0
	v_fma_f64 v[82:83], v[38:39], v[84:85], s[8:9]
	v_add_f64 v[80:81], -v[68:69], 1.0
	v_fma_f64 v[82:83], v[38:39], v[82:83], s[10:11]
	v_add_f64 v[66:67], v[80:81], -v[66:67]
	v_fma_f64 v[82:83], v[38:39], v[82:83], s[12:13]
	v_mul_f64 v[80:81], v[38:39], v[38:39]
	v_fma_f64 v[82:83], v[38:39], v[82:83], s[14:15]
	v_fma_f64 v[66:67], v[52:53], -v[54:55], v[66:67]
	v_fmac_f64_e32 v[66:67], v[80:81], v[82:83]
	v_fmac_f64_e32 v[70:71], s[16:17], v[38:39]
	v_add_f64 v[66:67], v[68:69], v[66:67]
	v_fma_f64 v[68:69], v[38:39], v[70:71], s[18:19]
	v_fma_f64 v[68:69], v[38:39], v[68:69], s[20:21]
	;; [unrolled: 1-line block ×3, first 2 shown]
	v_mul_f64 v[70:71], v[52:53], -v[38:39]
	v_mul_f64 v[80:81], v[54:55], 0.5
	v_fmac_f64_e32 v[80:81], v[70:71], v[68:69]
	v_fma_f64 v[38:39], v[38:39], v[80:81], -v[54:55]
	v_fmac_f64_e32 v[38:39], s[24:25], v[70:71]
	v_add_f64 v[38:39], v[52:53], -v[38:39]
	v_xor_b32_e32 v39, 0x80000000, v39
	v_cmp_eq_u32_e32 vcc, 0, v49
	v_lshlrev_b32_e32 v49, 30, v51
	v_and_b32_e32 v49, 0x80000000, v49
	v_cndmask_b32_e32 v39, v39, v67, vcc
	v_cndmask_b32_e32 v38, v38, v66, vcc
	v_xor_b32_e32 v39, v39, v49
	v_cndmask_b32_e64 v38, 0, v38, s[0:1]
	v_cndmask_b32_e64 v39, v96, v39, s[0:1]
	s_mov_b32 s0, 0
	s_brev_b32 s1, 8
	v_mul_f64 v[28:29], v[28:29], v[38:39]
	v_cmp_gt_f64_e32 vcc, s[0:1], v[18:19]
	v_fmac_f64_e32 v[28:29], v[64:65], v[26:27]
	s_mov_b32 s0, 0x33d43651
	v_cndmask_b32_e64 v26, 0, 1, vcc
	v_lshlrev_b32_e32 v26, 8, v26
	v_ldexp_f64 v[18:19], v[18:19], v26
	v_rsq_f64_e32 v[26:27], v[18:19]
	s_mov_b32 s1, 0x3fe98845
	v_mul_f64 v[28:29], v[28:29], s[0:1]
	v_mul_f64 v[38:39], v[18:19], v[26:27]
	v_mul_f64 v[26:27], v[26:27], 0.5
	v_fma_f64 v[52:53], -v[26:27], v[38:39], 0.5
	v_fmac_f64_e32 v[38:39], v[38:39], v[52:53]
	v_fma_f64 v[54:55], -v[38:39], v[38:39], v[18:19]
	v_fmac_f64_e32 v[26:27], v[26:27], v[52:53]
	v_fmac_f64_e32 v[38:39], v[54:55], v[26:27]
	v_fma_f64 v[52:53], -v[38:39], v[38:39], v[18:19]
	v_fmac_f64_e32 v[38:39], v[52:53], v[26:27]
	v_mov_b32_e32 v26, 0xffffff80
	v_cndmask_b32_e32 v26, 0, v26, vcc
	v_ldexp_f64 v[26:27], v[38:39], v26
	v_mov_b32_e32 v38, 0x260
	v_cmp_class_f64_e32 vcc, v[18:19], v38
	s_nop 1
	v_cndmask_b32_e32 v19, v27, v19, vcc
	v_cndmask_b32_e32 v18, v26, v18, vcc
	v_div_scale_f64 v[26:27], s[0:1], v[18:19], v[18:19], v[28:29]
	v_rcp_f64_e32 v[38:39], v[26:27]
	s_nop 0
	v_fma_f64 v[52:53], -v[26:27], v[38:39], 1.0
	v_fmac_f64_e32 v[38:39], v[38:39], v[52:53]
	v_fma_f64 v[52:53], -v[26:27], v[38:39], 1.0
	v_fmac_f64_e32 v[38:39], v[38:39], v[52:53]
	v_div_scale_f64 v[52:53], vcc, v[28:29], v[18:19], v[28:29]
	v_mul_f64 v[54:55], v[52:53], v[38:39]
	v_fma_f64 v[26:27], -v[26:27], v[54:55], v[52:53]
	s_nop 1
	v_div_fmas_f64 v[26:27], v[26:27], v[38:39], v[54:55]
	v_div_fixup_f64 v[26:27], v[26:27], v[18:19], v[28:29]
.LBB5_220:
	s_or_b64 exec, exec, s[4:5]
	s_mov_b32 s0, 0
	s_mov_b32 s1, 0x40140000
	v_cmp_ge_f64_e32 vcc, s[0:1], v[20:21]
	s_and_saveexec_b64 s[0:1], vcc
	s_xor_b64 s[0:1], exec, s[0:1]
	s_cbranch_execz .LBB5_230
; %bb.221:
	v_mov_b32_e32 v28, 0
	v_cmp_neq_f64_e32 vcc, 0, v[20:21]
	v_mov_b32_e32 v29, 0xfff00000
	s_and_saveexec_b64 s[4:5], vcc
	s_cbranch_execz .LBB5_229
; %bb.222:
	v_mov_b32_e32 v28, 0
	v_cmp_ngt_f64_e32 vcc, 0, v[20:21]
	v_mov_b32_e32 v29, 0x7ff80000
	s_and_saveexec_b64 s[6:7], vcc
	s_cbranch_execz .LBB5_228
; %bb.223:
	s_mov_b32 s8, 0x88e368f1
	v_mul_f64 v[28:29], v[20:21], v[20:21]
	s_mov_b32 s9, 0x3ee4f8b5
	v_mul_f64 v[38:39], v[28:29], 0
	v_cmp_ngt_f64_e32 vcc, s[8:9], v[20:21]
                                        ; implicit-def: $vgpr18_vgpr19
	s_and_saveexec_b64 s[8:9], vcc
	s_xor_b64 s[8:9], exec, s[8:9]
	s_cbranch_execz .LBB5_225
; %bb.224:
	s_mov_b32 s10, 0xad1c8325
	s_mov_b32 s11, 0xc1f1dc53
	v_add_f64 v[18:19], v[38:39], s[10:11]
	v_mov_b32_e32 v52, 0xc772990d
	v_mov_b32_e32 v53, 0x427c7751
	s_mov_b32 s10, 0xa696b78c
	v_fmac_f64_e32 v[52:53], v[28:29], v[18:19]
	v_mov_b32_e32 v18, 0xe0d900f7
	v_mov_b32_e32 v19, 0xc2ec5614
	s_mov_b32 s11, 0x407f3902
	v_fmac_f64_e32 v[18:19], v[28:29], v[52:53]
	v_add_f64 v[52:53], v[38:39], s[10:11]
	v_mov_b32_e32 v54, 0x36a21a67
	v_mov_b32_e32 v55, 0x410536cb
	v_fmac_f64_e32 v[54:55], v[28:29], v[52:53]
	v_mov_b32_e32 v52, 0x2eac0634
	v_mov_b32_e32 v53, 0x41871934
	v_fmac_f64_e32 v[52:53], v[28:29], v[54:55]
	v_mov_b32_e32 v54, 0x9444914
	v_mov_b32_e32 v55, 0x4204d5b0
	v_fmac_f64_e32 v[54:55], v[28:29], v[52:53]
	v_mov_b32_e32 v52, 0x72182e46
	v_mov_b32_e32 v53, 0x427ebeb3
	v_fmac_f64_e32 v[52:53], v[28:29], v[54:55]
	v_mov_b32_e32 v54, 0x8c9748e9
	v_mov_b32_e32 v55, 0x42f1a6a2
	v_fmac_f64_e32 v[54:55], v[28:29], v[52:53]
	v_mov_b32_e32 v52, 0x7e7b2e9c
	v_mov_b32_e32 v53, 0x435c4141
	v_fmac_f64_e32 v[52:53], v[28:29], v[54:55]
	v_mov_b32_e32 v54, 0xc7b662cc
	v_mov_b32_e32 v55, 0x43b7be34
	s_mov_b32 s10, 0x80462bbb
	v_fmac_f64_e32 v[54:55], v[28:29], v[52:53]
	v_mov_b32_e32 v52, 0x69ff5fb4
	v_mov_b32_e32 v53, 0x43413ef8
	s_mov_b32 s11, 0xc01721fb
	v_fmac_f64_e32 v[52:53], v[28:29], v[18:19]
	v_add_f64 v[18:19], v[28:29], s[10:11]
	s_mov_b32 s10, 0xa621dd6f
	s_mov_b32 s11, 0xc03e78a4
	v_add_f64 v[64:65], v[28:29], s[10:11]
	v_mul_f64 v[18:19], v[18:19], v[64:65]
	v_mul_f64 v[18:19], v[18:19], v[52:53]
	v_div_scale_f64 v[52:53], s[10:11], v[54:55], v[54:55], v[18:19]
	v_rcp_f64_e32 v[64:65], v[52:53]
	s_nop 0
	v_fma_f64 v[66:67], -v[52:53], v[64:65], 1.0
	v_fmac_f64_e32 v[64:65], v[64:65], v[66:67]
	v_fma_f64 v[66:67], -v[52:53], v[64:65], 1.0
	v_fmac_f64_e32 v[64:65], v[64:65], v[66:67]
	v_div_scale_f64 v[66:67], vcc, v[18:19], v[54:55], v[18:19]
	v_mul_f64 v[68:69], v[66:67], v[64:65]
	v_fma_f64 v[52:53], -v[52:53], v[68:69], v[66:67]
	s_nop 1
	v_div_fmas_f64 v[52:53], v[52:53], v[64:65], v[68:69]
	v_div_fixup_f64 v[18:19], v[52:53], v[54:55], v[18:19]
.LBB5_225:
	s_andn2_saveexec_b64 s[8:9], s[8:9]
; %bb.226:
	s_mov_b32 s10, 0
	s_mov_b32 s11, 0xbfd00000
	v_fma_f64 v[18:19], v[28:29], s[10:11], 1.0
; %bb.227:
	s_or_b64 exec, exec, s[8:9]
	s_mov_b32 s8, 0xe896898f
	s_mov_b32 s9, 0x40ce7437
	v_add_f64 v[52:53], v[38:39], s[8:9]
	v_mov_b32_e32 v54, 0x32e48896
	v_mov_b32_e32 v55, 0xc16bf81f
	v_fmac_f64_e32 v[54:55], v[28:29], v[52:53]
	v_mov_b32_e32 v52, 0xf0284cdd
	v_mov_b32_e32 v53, 0x41f43f78
	v_fmac_f64_e32 v[52:53], v[28:29], v[54:55]
	v_mov_b32_e32 v54, 0xe1d6bd2b
	v_mov_b32_e32 v55, 0xc26c957b
	v_fmac_f64_e32 v[54:55], v[28:29], v[52:53]
	v_mov_b32_e32 v52, 0x3cc3ac2d
	v_mov_b32_e32 v53, 0x42d3ea72
	v_fmac_f64_e32 v[52:53], v[28:29], v[54:55]
	v_mov_b32_e32 v54, 0xd1d8cc02
	v_mov_b32_e32 v55, 0xc328a121
	s_mov_b32 s8, 0x576dfcb6
	v_fmac_f64_e32 v[54:55], v[28:29], v[52:53]
	v_mov_b32_e32 v52, 0x660b4003
	v_mov_b32_e32 v53, 0x4363a94b
	s_mov_b32 s9, 0x40904522
	v_fmac_f64_e32 v[52:53], v[28:29], v[54:55]
	v_add_f64 v[38:39], v[38:39], s[8:9]
	v_mov_b32_e32 v54, 0xa907bc0c
	v_mov_b32_e32 v55, 0x41231b76
	v_fmac_f64_e32 v[54:55], v[28:29], v[38:39]
	v_mov_b32_e32 v38, 0x5164d101
	v_mov_b32_e32 v39, 0x41b00763
	v_fmac_f64_e32 v[38:39], v[28:29], v[54:55]
	;; [unrolled: 3-line block ×7, first 2 shown]
	v_div_scale_f64 v[28:29], s[8:9], v[38:39], v[38:39], v[54:55]
	v_rcp_f64_e32 v[52:53], v[28:29]
	s_mov_b32 s8, 0x55555555
	v_frexp_exp_i32_f64_e32 v49, v[20:21]
	v_frexp_mant_f64_e32 v[20:21], v[20:21]
	v_fma_f64 v[64:65], -v[28:29], v[52:53], 1.0
	v_fmac_f64_e32 v[52:53], v[52:53], v[64:65]
	v_fma_f64 v[64:65], -v[28:29], v[52:53], 1.0
	v_fmac_f64_e32 v[52:53], v[52:53], v[64:65]
	v_div_scale_f64 v[64:65], vcc, v[54:55], v[38:39], v[54:55]
	v_mul_f64 v[66:67], v[64:65], v[52:53]
	v_fma_f64 v[28:29], -v[28:29], v[66:67], v[64:65]
	s_mov_b32 s9, 0x3fe55555
	s_nop 0
	v_div_fmas_f64 v[28:29], v[28:29], v[52:53], v[66:67]
	v_div_fixup_f64 v[28:29], v[28:29], v[38:39], v[54:55]
	v_mov_b32_e32 v38, 0x3ff00000
	v_cmp_gt_f64_e32 vcc, s[8:9], v[20:21]
	s_mov_b32 s8, 0xbf559e2b
	s_mov_b32 s9, 0x3fc3ab76
	v_cndmask_b32_e64 v39, v38, 2.0, vcc
	v_mov_b32_e32 v38, 0
	v_mul_f64 v[20:21], v[20:21], v[38:39]
	v_add_f64 v[38:39], v[20:21], 1.0
	v_rcp_f64_e32 v[52:53], v[38:39]
	v_add_f64 v[64:65], v[38:39], -1.0
	v_add_f64 v[54:55], v[20:21], -1.0
	v_add_f64 v[20:21], v[20:21], -v[64:65]
	v_fma_f64 v[64:65], -v[38:39], v[52:53], 1.0
	v_fmac_f64_e32 v[52:53], v[64:65], v[52:53]
	v_fma_f64 v[64:65], -v[38:39], v[52:53], 1.0
	v_fmac_f64_e32 v[52:53], v[64:65], v[52:53]
	v_mul_f64 v[64:65], v[54:55], v[52:53]
	v_mul_f64 v[66:67], v[38:39], v[64:65]
	v_fma_f64 v[38:39], v[64:65], v[38:39], -v[66:67]
	v_fmac_f64_e32 v[38:39], v[64:65], v[20:21]
	v_add_f64 v[20:21], v[66:67], v[38:39]
	v_add_f64 v[68:69], v[54:55], -v[20:21]
	v_add_f64 v[66:67], v[20:21], -v[66:67]
	;; [unrolled: 1-line block ×5, first 2 shown]
	v_add_f64 v[20:21], v[38:39], v[20:21]
	v_add_f64 v[20:21], v[68:69], v[20:21]
	v_mul_f64 v[20:21], v[52:53], v[20:21]
	v_add_f64 v[38:39], v[64:65], v[20:21]
	v_add_f64 v[52:53], v[38:39], -v[64:65]
	v_add_f64 v[20:21], v[20:21], -v[52:53]
	v_mul_f64 v[52:53], v[38:39], v[38:39]
	v_mov_b32_e32 v54, 0x6b47b09a
	v_mov_b32_e32 v55, 0x3fc38538
	v_fmac_f64_e32 v[54:55], s[8:9], v[52:53]
	v_mov_b32_e32 v64, 0xd7f4df2e
	v_mov_b32_e32 v65, 0x3fc7474d
	v_fmac_f64_e32 v[64:65], v[52:53], v[54:55]
	;; [unrolled: 3-line block ×6, first 2 shown]
	v_ldexp_f64 v[54:55], v[38:39], 1
	v_mul_f64 v[38:39], v[38:39], v[52:53]
	v_mul_f64 v[38:39], v[38:39], v[64:65]
	v_add_f64 v[52:53], v[54:55], v[38:39]
	v_add_f64 v[54:55], v[52:53], -v[54:55]
	v_ldexp_f64 v[20:21], v[20:21], 1
	v_add_f64 v[38:39], v[38:39], -v[54:55]
	v_add_f64 v[20:21], v[20:21], v[38:39]
	v_add_f64 v[38:39], v[52:53], v[20:21]
	v_subbrev_co_u32_e32 v49, vcc, 0, v49, vcc
	v_add_f64 v[52:53], v[38:39], -v[52:53]
	s_mov_b32 s8, 0xfefa39ef
	v_add_f64 v[20:21], v[20:21], -v[52:53]
	v_cvt_f64_i32_e32 v[52:53], v49
	s_mov_b32 s9, 0x3fe62e42
	v_mul_f64 v[54:55], v[52:53], s[8:9]
	v_fma_f64 v[64:65], v[52:53], s[8:9], -v[54:55]
	s_mov_b32 s8, 0x3b39803f
	s_mov_b32 s9, 0x3c7abc9e
	v_fmac_f64_e32 v[64:65], s[8:9], v[52:53]
	v_add_f64 v[52:53], v[54:55], v[64:65]
	v_add_f64 v[54:55], v[52:53], -v[54:55]
	v_add_f64 v[54:55], v[64:65], -v[54:55]
	v_add_f64 v[64:65], v[52:53], v[38:39]
	v_add_f64 v[66:67], v[64:65], -v[52:53]
	v_add_f64 v[68:69], v[64:65], -v[66:67]
	;; [unrolled: 1-line block ×4, first 2 shown]
	v_add_f64 v[38:39], v[38:39], v[52:53]
	v_add_f64 v[52:53], v[54:55], v[20:21]
	v_add_f64 v[66:67], v[52:53], -v[54:55]
	v_add_f64 v[68:69], v[52:53], -v[66:67]
	v_add_f64 v[38:39], v[52:53], v[38:39]
	v_add_f64 v[54:55], v[54:55], -v[68:69]
	v_add_f64 v[20:21], v[20:21], -v[66:67]
	v_add_f64 v[52:53], v[64:65], v[38:39]
	v_add_f64 v[20:21], v[20:21], v[54:55]
	v_add_f64 v[54:55], v[52:53], -v[64:65]
	v_add_f64 v[38:39], v[38:39], -v[54:55]
	v_add_f64 v[20:21], v[20:21], v[38:39]
	s_mov_b32 s8, 0x6dc9c883
	v_add_f64 v[20:21], v[52:53], v[20:21]
	s_mov_b32 s9, 0x3fe45f30
	v_mul_f64 v[20:21], v[20:21], s[8:9]
	v_fmac_f64_e32 v[28:29], v[20:21], v[18:19]
.LBB5_228:
	s_or_b64 exec, exec, s[6:7]
.LBB5_229:
	s_or_b64 exec, exec, s[4:5]
                                        ; implicit-def: $vgpr20_vgpr21
.LBB5_230:
	s_andn2_saveexec_b64 s[4:5], s[0:1]
	s_cbranch_execz .LBB5_240
; %bb.231:
	s_mov_b32 s9, 0xbfe921fb
	s_mov_b32 s8, 0x54442d18
	;; [unrolled: 1-line block ×3, first 2 shown]
	v_add_f64 v[18:19], v[20:21], s[8:9]
	s_mov_b32 s1, 0x41d00000
	v_cmp_nlt_f64_e64 s[6:7], |v[18:19]|, s[0:1]
	v_trig_preop_f64 v[68:69], |v[18:19]|, 0
	v_trig_preop_f64 v[66:67], |v[18:19]|, 1
	;; [unrolled: 1-line block ×3, first 2 shown]
                                        ; implicit-def: $vgpr49
                                        ; implicit-def: $vgpr28_vgpr29
                                        ; implicit-def: $vgpr38_vgpr39
	s_and_saveexec_b64 s[0:1], s[6:7]
	s_xor_b64 s[10:11], exec, s[0:1]
	s_cbranch_execz .LBB5_233
; %bb.232:
	s_mov_b32 s0, 0
	s_mov_b32 s1, 0x7b000000
	s_movk_i32 s9, 0xff80
	v_and_b32_e32 v38, 0x7fffffff, v19
	v_ldexp_f64 v[28:29], |v[18:19]|, s9
	v_cmp_ge_f64_e64 vcc, |v[18:19]|, s[0:1]
	s_mov_b32 s0, 0
	s_mov_b32 s1, 0x7ff00000
	v_cndmask_b32_e32 v29, v38, v29, vcc
	v_cndmask_b32_e32 v28, v18, v28, vcc
	v_mul_f64 v[52:53], v[68:69], v[28:29]
	v_mul_f64 v[38:39], v[66:67], v[28:29]
	v_fma_f64 v[54:55], v[68:69], v[28:29], -v[52:53]
	v_add_f64 v[70:71], v[38:39], v[54:55]
	v_add_f64 v[80:81], v[52:53], v[70:71]
	v_ldexp_f64 v[82:83], v[80:81], -2
	v_fract_f64_e32 v[84:85], v[82:83]
	v_cmp_neq_f64_e64 vcc, |v[82:83]|, s[0:1]
	v_add_f64 v[52:53], v[80:81], -v[52:53]
	v_add_f64 v[52:53], v[70:71], -v[52:53]
	v_cndmask_b32_e32 v83, 0, v85, vcc
	v_cndmask_b32_e32 v82, 0, v84, vcc
	v_add_f64 v[84:85], v[70:71], -v[38:39]
	v_add_f64 v[54:55], v[54:55], -v[84:85]
	;; [unrolled: 1-line block ×4, first 2 shown]
	v_add_f64 v[54:55], v[54:55], v[84:85]
	v_fma_f64 v[38:39], v[66:67], v[28:29], -v[38:39]
	v_mul_f64 v[84:85], v[64:65], v[28:29]
	v_add_f64 v[96:97], v[84:85], v[38:39]
	v_add_f64 v[98:99], v[96:97], v[54:55]
	v_add_f64 v[80:81], v[98:99], -v[96:97]
	v_add_f64 v[54:55], v[54:55], -v[80:81]
	;; [unrolled: 1-line block ×4, first 2 shown]
	v_add_f64 v[54:55], v[54:55], v[80:81]
	v_add_f64 v[80:81], v[96:97], -v[84:85]
	v_add_f64 v[38:39], v[38:39], -v[80:81]
	;; [unrolled: 1-line block ×4, first 2 shown]
	v_add_f64 v[70:71], v[52:53], v[98:99]
	v_add_f64 v[38:39], v[38:39], v[80:81]
	v_add_f64 v[52:53], v[70:71], -v[52:53]
	v_add_f64 v[38:39], v[38:39], v[54:55]
	v_fma_f64 v[28:29], v[64:65], v[28:29], -v[84:85]
	v_add_f64 v[52:53], v[98:99], -v[52:53]
	v_add_f64 v[28:29], v[28:29], v[38:39]
	v_ldexp_f64 v[38:39], v[82:83], 2
	v_add_f64 v[28:29], v[52:53], v[28:29]
	v_add_f64 v[52:53], v[70:71], v[38:39]
	v_mov_b32_e32 v49, 0x40100000
	v_cmp_gt_f64_e32 vcc, 0, v[52:53]
	v_mov_b32_e32 v86, 0
	s_mov_b32 s9, 0x3ff921fb
	v_cndmask_b32_e32 v87, 0, v49, vcc
	v_add_f64 v[38:39], v[38:39], v[86:87]
	v_add_f64 v[52:53], v[70:71], v[38:39]
	v_cvt_i32_f64_e32 v49, v[52:53]
	v_cvt_f64_i32_e32 v[52:53], v49
	v_add_f64 v[38:39], v[38:39], -v[52:53]
	v_add_f64 v[52:53], v[70:71], v[38:39]
	v_add_f64 v[38:39], v[52:53], -v[38:39]
	v_add_f64 v[38:39], v[70:71], -v[38:39]
	v_add_f64 v[28:29], v[28:29], v[38:39]
	v_cmp_le_f64_e32 vcc, 0.5, v[52:53]
	v_mov_b32_e32 v38, 0x3ff00000
	s_nop 0
	v_cndmask_b32_e32 v87, 0, v38, vcc
	v_add_f64 v[38:39], v[52:53], -v[86:87]
	v_add_f64 v[52:53], v[38:39], v[28:29]
	v_addc_co_u32_e64 v49, s[0:1], 0, v49, vcc
	v_add_f64 v[38:39], v[52:53], -v[38:39]
	v_add_f64 v[28:29], v[28:29], -v[38:39]
	v_mul_f64 v[38:39], v[52:53], s[8:9]
	s_mov_b32 s0, 0x33145c07
	v_fma_f64 v[54:55], v[52:53], s[8:9], -v[38:39]
	s_mov_b32 s1, 0x3c91a626
	v_fmac_f64_e32 v[54:55], s[0:1], v[52:53]
	v_fmac_f64_e32 v[54:55], s[8:9], v[28:29]
	v_add_f64 v[28:29], v[38:39], v[54:55]
	v_add_f64 v[38:39], v[28:29], -v[38:39]
	v_add_f64 v[38:39], v[54:55], -v[38:39]
	s_andn2_saveexec_b64 s[0:1], s[10:11]
	s_cbranch_execz .LBB5_235
	s_branch .LBB5_234
.LBB5_233:
	s_andn2_saveexec_b64 s[0:1], s[10:11]
	s_cbranch_execz .LBB5_235
.LBB5_234:
	s_mov_b32 s8, 0x6dc9c883
	s_mov_b32 s9, 0x3fe45f30
	v_mul_f64 v[28:29], |v[18:19]|, s[8:9]
	s_mov_b32 s8, 0x54442d18
	v_rndne_f64_e32 v[52:53], v[28:29]
	s_mov_b32 s9, 0xbff921fb
	v_fma_f64 v[28:29], v[52:53], s[8:9], |v[18:19]|
	s_mov_b32 s9, 0xbc91a626
	s_mov_b32 s8, 0x33145c00
	v_mul_f64 v[54:55], v[52:53], s[8:9]
	v_add_f64 v[80:81], v[28:29], v[54:55]
	v_fma_f64 v[38:39], s[8:9], v[52:53], v[28:29]
	s_mov_b32 s9, 0x3c91a626
	v_add_f64 v[28:29], v[28:29], -v[80:81]
	v_fma_f64 v[70:71], s[8:9], v[52:53], v[54:55]
	v_add_f64 v[28:29], v[28:29], v[54:55]
	v_add_f64 v[54:55], v[80:81], -v[38:39]
	v_add_f64 v[28:29], v[54:55], v[28:29]
	s_mov_b32 s8, 0x252049c0
	v_add_f64 v[54:55], v[28:29], -v[70:71]
	s_mov_b32 s9, 0xb97b839a
	v_fmac_f64_e32 v[54:55], s[8:9], v[52:53]
	v_add_f64 v[28:29], v[38:39], v[54:55]
	v_add_f64 v[38:39], v[28:29], -v[38:39]
	v_add_f64 v[38:39], v[54:55], -v[38:39]
	v_cvt_i32_f64_e32 v49, v[52:53]
.LBB5_235:
	s_or_b64 exec, exec, s[0:1]
                                        ; implicit-def: $vgpr51
                                        ; implicit-def: $vgpr52_vgpr53
                                        ; implicit-def: $vgpr54_vgpr55
	s_and_saveexec_b64 s[0:1], s[6:7]
	s_xor_b64 s[6:7], exec, s[0:1]
	s_cbranch_execz .LBB5_237
; %bb.236:
	s_mov_b32 s0, 0
	s_mov_b32 s1, 0x7b000000
	s_movk_i32 s8, 0xff80
	v_and_b32_e32 v51, 0x7fffffff, v19
	v_ldexp_f64 v[52:53], |v[18:19]|, s8
	v_cmp_ge_f64_e64 vcc, |v[18:19]|, s[0:1]
	s_mov_b32 s0, 0
	s_mov_b32 s1, 0x7ff00000
	v_cndmask_b32_e32 v53, v51, v53, vcc
	v_cndmask_b32_e32 v52, v18, v52, vcc
	v_mul_f64 v[70:71], v[68:69], v[52:53]
	v_mul_f64 v[54:55], v[66:67], v[52:53]
	v_fma_f64 v[68:69], v[68:69], v[52:53], -v[70:71]
	v_add_f64 v[80:81], v[54:55], v[68:69]
	v_add_f64 v[82:83], v[70:71], v[80:81]
	v_ldexp_f64 v[84:85], v[82:83], -2
	v_fract_f64_e32 v[86:87], v[84:85]
	v_cmp_neq_f64_e64 vcc, |v[84:85]|, s[0:1]
	v_add_f64 v[70:71], v[82:83], -v[70:71]
	v_add_f64 v[70:71], v[80:81], -v[70:71]
	v_cndmask_b32_e32 v85, 0, v87, vcc
	v_cndmask_b32_e32 v84, 0, v86, vcc
	v_add_f64 v[86:87], v[80:81], -v[54:55]
	v_add_f64 v[68:69], v[68:69], -v[86:87]
	;; [unrolled: 1-line block ×4, first 2 shown]
	v_fma_f64 v[54:55], v[66:67], v[52:53], -v[54:55]
	v_mul_f64 v[66:67], v[64:65], v[52:53]
	v_add_f64 v[68:69], v[68:69], v[86:87]
	v_add_f64 v[86:87], v[66:67], v[54:55]
	;; [unrolled: 1-line block ×3, first 2 shown]
	v_add_f64 v[82:83], v[98:99], -v[86:87]
	v_add_f64 v[68:69], v[68:69], -v[82:83]
	;; [unrolled: 1-line block ×4, first 2 shown]
	v_add_f64 v[68:69], v[68:69], v[82:83]
	v_add_f64 v[82:83], v[86:87], -v[66:67]
	v_add_f64 v[54:55], v[54:55], -v[82:83]
	;; [unrolled: 1-line block ×4, first 2 shown]
	v_add_f64 v[54:55], v[54:55], v[82:83]
	v_add_f64 v[54:55], v[54:55], v[68:69]
	v_fma_f64 v[52:53], v[64:65], v[52:53], -v[66:67]
	v_add_f64 v[80:81], v[70:71], v[98:99]
	v_add_f64 v[52:53], v[52:53], v[54:55]
	v_ldexp_f64 v[54:55], v[84:85], 2
	v_add_f64 v[64:65], v[80:81], v[54:55]
	v_mov_b32_e32 v51, 0x40100000
	v_cmp_gt_f64_e32 vcc, 0, v[64:65]
	v_mov_b32_e32 v96, 0
	v_add_f64 v[70:71], v[80:81], -v[70:71]
	v_cndmask_b32_e32 v97, 0, v51, vcc
	v_add_f64 v[54:55], v[54:55], v[96:97]
	v_add_f64 v[64:65], v[80:81], v[54:55]
	v_cvt_i32_f64_e32 v51, v[64:65]
	v_cvt_f64_i32_e32 v[64:65], v51
	v_add_f64 v[54:55], v[54:55], -v[64:65]
	v_add_f64 v[64:65], v[80:81], v[54:55]
	v_add_f64 v[70:71], v[98:99], -v[70:71]
	v_add_f64 v[54:55], v[64:65], -v[54:55]
	v_add_f64 v[52:53], v[70:71], v[52:53]
	v_add_f64 v[54:55], v[80:81], -v[54:55]
	v_add_f64 v[52:53], v[52:53], v[54:55]
	v_cmp_le_f64_e32 vcc, 0.5, v[64:65]
	v_mov_b32_e32 v54, 0x3ff00000
	s_mov_b32 s8, 0x33145c07
	v_cndmask_b32_e32 v97, 0, v54, vcc
	v_addc_co_u32_e64 v51, s[0:1], 0, v51, vcc
	v_add_f64 v[54:55], v[64:65], -v[96:97]
	v_add_f64 v[64:65], v[54:55], v[52:53]
	s_mov_b32 s0, 0x54442d18
	v_add_f64 v[54:55], v[64:65], -v[54:55]
	s_mov_b32 s1, 0x3ff921fb
	v_add_f64 v[52:53], v[52:53], -v[54:55]
	v_mul_f64 v[54:55], v[64:65], s[0:1]
	v_fma_f64 v[66:67], v[64:65], s[0:1], -v[54:55]
	s_mov_b32 s9, 0x3c91a626
	v_fmac_f64_e32 v[66:67], s[8:9], v[64:65]
	v_fmac_f64_e32 v[66:67], s[0:1], v[52:53]
	v_add_f64 v[52:53], v[54:55], v[66:67]
	v_add_f64 v[54:55], v[52:53], -v[54:55]
	v_add_f64 v[54:55], v[66:67], -v[54:55]
	s_andn2_saveexec_b64 s[0:1], s[6:7]
	s_cbranch_execnz .LBB5_238
	s_branch .LBB5_239
.LBB5_237:
	s_andn2_saveexec_b64 s[0:1], s[6:7]
	s_cbranch_execz .LBB5_239
.LBB5_238:
	s_mov_b32 s6, 0x6dc9c883
	s_mov_b32 s7, 0x3fe45f30
	v_mul_f64 v[52:53], |v[18:19]|, s[6:7]
	s_mov_b32 s6, 0x54442d18
	v_rndne_f64_e32 v[64:65], v[52:53]
	s_mov_b32 s7, 0xbff921fb
	v_fma_f64 v[52:53], v[64:65], s[6:7], |v[18:19]|
	s_mov_b32 s7, 0xbc91a626
	s_mov_b32 s6, 0x33145c00
	v_mul_f64 v[66:67], v[64:65], s[6:7]
	v_add_f64 v[70:71], v[52:53], v[66:67]
	v_fma_f64 v[54:55], s[6:7], v[64:65], v[52:53]
	s_mov_b32 s7, 0x3c91a626
	v_add_f64 v[52:53], v[52:53], -v[70:71]
	v_fma_f64 v[68:69], s[6:7], v[64:65], v[66:67]
	v_add_f64 v[52:53], v[52:53], v[66:67]
	v_add_f64 v[66:67], v[70:71], -v[54:55]
	v_add_f64 v[52:53], v[66:67], v[52:53]
	s_mov_b32 s6, 0x252049c0
	v_add_f64 v[66:67], v[52:53], -v[68:69]
	s_mov_b32 s7, 0xb97b839a
	v_fmac_f64_e32 v[66:67], s[6:7], v[64:65]
	v_add_f64 v[52:53], v[54:55], v[66:67]
	v_add_f64 v[54:55], v[52:53], -v[54:55]
	v_add_f64 v[54:55], v[66:67], -v[54:55]
	v_cvt_i32_f64_e32 v51, v[64:65]
.LBB5_239:
	s_or_b64 exec, exec, s[0:1]
	s_mov_b32 s0, 0
	v_mul_f64 v[64:65], v[20:21], v[20:21]
	s_mov_b32 s1, 0x40390000
	v_div_scale_f64 v[66:67], s[6:7], v[64:65], v[64:65], s[0:1]
	v_rcp_f64_e32 v[68:69], v[66:67]
	v_mov_b32_e32 v82, 0xb1759c7f
	v_mov_b32_e32 v83, 0x408ac370
	;; [unrolled: 1-line block ×3, first 2 shown]
	v_fma_f64 v[70:71], -v[66:67], v[68:69], 1.0
	v_fmac_f64_e32 v[68:69], v[68:69], v[70:71]
	v_fma_f64 v[70:71], -v[66:67], v[68:69], 1.0
	v_fmac_f64_e32 v[68:69], v[68:69], v[70:71]
	v_div_scale_f64 v[70:71], vcc, s[0:1], v[64:65], s[0:1]
	v_mul_f64 v[80:81], v[70:71], v[68:69]
	v_fma_f64 v[66:67], -v[66:67], v[80:81], v[70:71]
	v_mov_b32_e32 v70, 0xab5454e3
	s_nop 0
	v_div_fmas_f64 v[66:67], v[66:67], v[68:69], v[80:81]
	v_div_fixup_f64 v[64:65], v[66:67], v[64:65], s[0:1]
	v_mov_b32_e32 v66, 0x983b6b27
	v_mov_b32_e32 v67, 0x3f4a1d30
	v_fmac_f64_e32 v[66:67], 0, v[64:65]
	v_mov_b32_e32 v68, 0xb35dd1cf
	v_mov_b32_e32 v69, 0x3fb534b0
	v_fmac_f64_e32 v[68:69], v[64:65], v[66:67]
	;; [unrolled: 3-line block ×7, first 2 shown]
	v_mov_b32_e32 v71, 0x3fb5ebc5
	v_fmac_f64_e32 v[70:71], v[64:65], v[66:67]
	v_mov_b32_e32 v66, 0xc9b3069f
	v_mov_b32_e32 v67, 0x3ff40e72
	v_fmac_f64_e32 v[66:67], v[64:65], v[70:71]
	v_mov_b32_e32 v70, 0xe68162bb
	;; [unrolled: 3-line block ×4, first 2 shown]
	v_mov_b32_e32 v71, 0x40153965
	v_fmac_f64_e32 v[70:71], v[64:65], v[66:67]
	v_fma_f64 v[66:67], v[64:65], v[70:71], 1.0
	v_mov_b32_e32 v70, 0x38a5384a
	v_mov_b32_e32 v71, 0xbf874742
	v_fmac_f64_e32 v[70:71], 0, v[64:65]
	v_mov_b32_e32 v80, 0x3a321174
	v_mov_b32_e32 v81, 0xbff4853b
	v_fmac_f64_e32 v[80:81], v[64:65], v[70:71]
	;; [unrolled: 3-line block ×9, first 2 shown]
	v_fmac_f64_e32 v[82:83], v[64:65], v[70:71]
	v_mov_b32_e32 v70, 0xbd748cb5
	v_mov_b32_e32 v71, 0x40ae54cd
	v_fmac_f64_e32 v[70:71], v[64:65], v[82:83]
	v_mov_b32_e32 v82, 0xbdefd63e
	v_mov_b32_e32 v83, 0x40bc4877
	;; [unrolled: 3-line block ×4, first 2 shown]
	v_fma_f64 v[68:69], v[64:65], v[68:69], 1.0
	v_fmac_f64_e32 v[82:83], v[64:65], v[70:71]
	v_div_scale_f64 v[70:71], s[0:1], v[66:67], v[66:67], v[68:69]
	v_rcp_f64_e32 v[84:85], v[70:71]
	v_mov_b32_e32 v87, 0x406e402f
	v_fmac_f64_e32 v[86:87], v[64:65], v[82:83]
	s_mov_b32 s0, 0x9037ab78
	v_fma_f64 v[64:65], -v[70:71], v[84:85], 1.0
	v_fmac_f64_e32 v[84:85], v[84:85], v[64:65]
	v_fma_f64 v[64:65], -v[70:71], v[84:85], 1.0
	v_fmac_f64_e32 v[84:85], v[84:85], v[64:65]
	v_div_scale_f64 v[64:65], vcc, v[68:69], v[66:67], v[68:69]
	v_mul_f64 v[82:83], v[64:65], v[84:85]
	v_fma_f64 v[64:65], -v[70:71], v[82:83], v[64:65]
	s_mov_b32 s1, 0x3e21eeb6
	s_nop 0
	v_div_fmas_f64 v[64:65], v[64:65], v[84:85], v[82:83]
	s_mov_b32 s6, 0x46cc5e42
	v_div_fixup_f64 v[64:65], v[64:65], v[66:67], v[68:69]
	v_mul_f64 v[66:67], v[28:29], v[28:29]
	s_mov_b32 s7, 0xbda907db
	v_mov_b64_e32 v[84:85], s[0:1]
	s_mov_b32 s8, 0xa17f65f6
	v_mul_f64 v[68:69], v[66:67], 0.5
	v_fma_f64 v[96:97], s[6:7], v[66:67], v[84:85]
	s_mov_b32 s9, 0xbe927e4f
	s_mov_b32 s10, 0x19f4ec90
	v_add_f64 v[70:71], -v[68:69], 1.0
	v_fma_f64 v[96:97], v[66:67], v[96:97], s[8:9]
	s_mov_b32 s11, 0x3efa01a0
	s_mov_b32 s12, 0x16c16967
	v_add_f64 v[82:83], -v[70:71], 1.0
	v_fma_f64 v[96:97], v[66:67], v[96:97], s[10:11]
	s_mov_b32 s13, 0xbf56c16c
	s_mov_b32 s14, 0x55555555
	v_add_f64 v[68:69], v[82:83], -v[68:69]
	v_fma_f64 v[96:97], v[66:67], v[96:97], s[12:13]
	s_mov_b32 s15, 0x3fa55555
	v_mul_f64 v[82:83], v[66:67], v[66:67]
	v_fma_f64 v[96:97], v[66:67], v[96:97], s[14:15]
	v_fma_f64 v[68:69], v[28:29], -v[38:39], v[68:69]
	s_mov_b32 s0, 0xb42fdfa7
	v_fmac_f64_e32 v[68:69], v[82:83], v[96:97]
	s_mov_b32 s1, 0xbe5ae600
	s_mov_b32 s16, 0xf9a43bb8
	v_add_f64 v[68:69], v[70:71], v[68:69]
	s_mov_b32 s17, 0x3de5e0b2
	v_mov_b64_e32 v[70:71], s[0:1]
	s_mov_b32 s18, 0x796cde01
	v_fma_f64 v[82:83], s[16:17], v[66:67], v[70:71]
	s_mov_b32 s19, 0x3ec71de3
	s_mov_b32 s20, 0x19e83e5c
	v_fma_f64 v[82:83], v[66:67], v[82:83], s[18:19]
	s_mov_b32 s21, 0xbf2a01a0
	;; [unrolled: 3-line block ×3, first 2 shown]
	v_fma_f64 v[82:83], v[66:67], v[82:83], s[22:23]
	v_mul_f64 v[96:97], v[28:29], -v[66:67]
	v_mul_f64 v[98:99], v[38:39], 0.5
	v_fmac_f64_e32 v[98:99], v[96:97], v[82:83]
	v_fma_f64 v[38:39], v[66:67], v[98:99], -v[38:39]
	s_mov_b32 s25, 0xbfc55555
	s_mov_b32 s24, s14
	v_fmac_f64_e32 v[38:39], s[24:25], v[96:97]
	v_add_f64 v[28:29], v[28:29], -v[38:39]
	v_and_b32_e32 v38, 1, v49
	v_cmp_eq_u32_e32 vcc, 0, v38
	s_mov_b32 s26, 0
	s_mov_b32 s27, 0x40140000
	v_cndmask_b32_e32 v66, v68, v28, vcc
	v_cndmask_b32_e32 v28, v69, v29, vcc
	v_lshlrev_b32_e32 v29, 30, v49
	v_xor_b32_e32 v29, v29, v19
	v_and_b32_e32 v29, 0x80000000, v29
	v_xor_b32_e32 v49, v28, v29
	v_div_scale_f64 v[28:29], s[0:1], v[20:21], v[20:21], s[26:27]
	v_rcp_f64_e32 v[38:39], v[28:29]
	s_movk_i32 s28, 0x1f8
	v_cmp_class_f64_e64 s[0:1], v[18:19], s28
	v_mov_b32_e32 v96, 0x7ff80000
	s_nop 0
	v_cndmask_b32_e64 v18, 0, v66, s[0:1]
	v_fma_f64 v[66:67], -v[28:29], v[38:39], 1.0
	v_fmac_f64_e32 v[38:39], v[38:39], v[66:67]
	v_fma_f64 v[66:67], -v[28:29], v[38:39], 1.0
	v_fmac_f64_e32 v[38:39], v[38:39], v[66:67]
	v_div_scale_f64 v[66:67], vcc, s[26:27], v[20:21], s[26:27]
	v_mul_f64 v[68:69], v[66:67], v[38:39]
	v_fma_f64 v[28:29], -v[28:29], v[68:69], v[66:67]
	v_div_scale_f64 v[66:67], s[28:29], v[86:87], v[86:87], v[80:81]
	v_rcp_f64_e32 v[82:83], v[66:67]
	v_div_fmas_f64 v[28:29], v[28:29], v[38:39], v[68:69]
	v_div_fixup_f64 v[28:29], v[28:29], v[20:21], s[26:27]
	v_cndmask_b32_e64 v19, v96, v49, s[0:1]
	v_fma_f64 v[38:39], -v[66:67], v[82:83], 1.0
	v_fmac_f64_e32 v[82:83], v[82:83], v[38:39]
	v_fma_f64 v[38:39], -v[66:67], v[82:83], 1.0
	v_fmac_f64_e32 v[82:83], v[82:83], v[38:39]
	v_div_scale_f64 v[38:39], vcc, v[80:81], v[86:87], v[80:81]
	v_mul_f64 v[68:69], v[38:39], v[82:83]
	v_fma_f64 v[38:39], -v[66:67], v[68:69], v[38:39]
	v_and_b32_e32 v49, 1, v51
	s_nop 0
	v_div_fmas_f64 v[38:39], v[38:39], v[82:83], v[68:69]
	v_div_fixup_f64 v[38:39], v[38:39], v[86:87], v[80:81]
	v_mul_f64 v[28:29], v[28:29], v[38:39]
	v_mul_f64 v[38:39], v[52:53], v[52:53]
	v_mul_f64 v[66:67], v[38:39], 0.5
	v_fmac_f64_e32 v[84:85], s[6:7], v[38:39]
	v_add_f64 v[68:69], -v[66:67], 1.0
	v_fma_f64 v[82:83], v[38:39], v[84:85], s[8:9]
	v_add_f64 v[80:81], -v[68:69], 1.0
	v_fma_f64 v[82:83], v[38:39], v[82:83], s[10:11]
	v_add_f64 v[66:67], v[80:81], -v[66:67]
	v_fma_f64 v[82:83], v[38:39], v[82:83], s[12:13]
	v_mul_f64 v[80:81], v[38:39], v[38:39]
	v_fma_f64 v[82:83], v[38:39], v[82:83], s[14:15]
	v_fma_f64 v[66:67], v[52:53], -v[54:55], v[66:67]
	v_fmac_f64_e32 v[66:67], v[80:81], v[82:83]
	v_fmac_f64_e32 v[70:71], s[16:17], v[38:39]
	v_add_f64 v[66:67], v[68:69], v[66:67]
	v_fma_f64 v[68:69], v[38:39], v[70:71], s[18:19]
	v_fma_f64 v[68:69], v[38:39], v[68:69], s[20:21]
	;; [unrolled: 1-line block ×3, first 2 shown]
	v_mul_f64 v[70:71], v[52:53], -v[38:39]
	v_mul_f64 v[80:81], v[54:55], 0.5
	v_fmac_f64_e32 v[80:81], v[70:71], v[68:69]
	v_fma_f64 v[38:39], v[38:39], v[80:81], -v[54:55]
	v_fmac_f64_e32 v[38:39], s[24:25], v[70:71]
	v_add_f64 v[38:39], v[52:53], -v[38:39]
	v_xor_b32_e32 v39, 0x80000000, v39
	v_cmp_eq_u32_e32 vcc, 0, v49
	v_lshlrev_b32_e32 v49, 30, v51
	v_and_b32_e32 v49, 0x80000000, v49
	v_cndmask_b32_e32 v39, v39, v67, vcc
	v_cndmask_b32_e32 v38, v38, v66, vcc
	v_xor_b32_e32 v39, v39, v49
	v_cndmask_b32_e64 v38, 0, v38, s[0:1]
	v_cndmask_b32_e64 v39, v96, v39, s[0:1]
	s_mov_b32 s0, 0
	s_brev_b32 s1, 8
	v_mul_f64 v[28:29], v[28:29], v[38:39]
	v_cmp_gt_f64_e32 vcc, s[0:1], v[20:21]
	v_fmac_f64_e32 v[28:29], v[64:65], v[18:19]
	s_mov_b32 s0, 0x33d43651
	v_cndmask_b32_e64 v18, 0, 1, vcc
	v_lshlrev_b32_e32 v18, 8, v18
	v_ldexp_f64 v[18:19], v[20:21], v18
	v_rsq_f64_e32 v[20:21], v[18:19]
	s_mov_b32 s1, 0x3fe98845
	v_mul_f64 v[28:29], v[28:29], s[0:1]
	v_mul_f64 v[38:39], v[18:19], v[20:21]
	v_mul_f64 v[20:21], v[20:21], 0.5
	v_fma_f64 v[52:53], -v[20:21], v[38:39], 0.5
	v_fmac_f64_e32 v[38:39], v[38:39], v[52:53]
	v_fma_f64 v[54:55], -v[38:39], v[38:39], v[18:19]
	v_fmac_f64_e32 v[20:21], v[20:21], v[52:53]
	v_fmac_f64_e32 v[38:39], v[54:55], v[20:21]
	v_fma_f64 v[52:53], -v[38:39], v[38:39], v[18:19]
	v_fmac_f64_e32 v[38:39], v[52:53], v[20:21]
	v_mov_b32_e32 v20, 0xffffff80
	v_cndmask_b32_e32 v20, 0, v20, vcc
	v_ldexp_f64 v[20:21], v[38:39], v20
	v_mov_b32_e32 v38, 0x260
	v_cmp_class_f64_e32 vcc, v[18:19], v38
	s_nop 1
	v_cndmask_b32_e32 v19, v21, v19, vcc
	v_cndmask_b32_e32 v18, v20, v18, vcc
	v_div_scale_f64 v[20:21], s[0:1], v[18:19], v[18:19], v[28:29]
	v_rcp_f64_e32 v[38:39], v[20:21]
	s_nop 0
	v_fma_f64 v[52:53], -v[20:21], v[38:39], 1.0
	v_fmac_f64_e32 v[38:39], v[38:39], v[52:53]
	v_fma_f64 v[52:53], -v[20:21], v[38:39], 1.0
	v_fmac_f64_e32 v[38:39], v[38:39], v[52:53]
	v_div_scale_f64 v[52:53], vcc, v[28:29], v[18:19], v[28:29]
	v_mul_f64 v[54:55], v[52:53], v[38:39]
	v_fma_f64 v[20:21], -v[20:21], v[54:55], v[52:53]
	s_nop 1
	v_div_fmas_f64 v[20:21], v[20:21], v[38:39], v[54:55]
	v_div_fixup_f64 v[28:29], v[20:21], v[18:19], v[28:29]
.LBB5_240:
	s_or_b64 exec, exec, s[4:5]
	s_mov_b32 s0, 0
	s_mov_b32 s1, 0x40140000
	v_cmp_ge_f64_e32 vcc, s[0:1], v[10:11]
                                        ; implicit-def: $vgpr18_vgpr19
	s_and_saveexec_b64 s[0:1], vcc
	s_xor_b64 s[0:1], exec, s[0:1]
	s_cbranch_execz .LBB5_250
; %bb.241:
	v_mov_b32_e32 v18, 0
	v_cmp_neq_f64_e32 vcc, 0, v[10:11]
	v_mov_b32_e32 v19, 0xfff00000
	s_and_saveexec_b64 s[4:5], vcc
	s_cbranch_execz .LBB5_249
; %bb.242:
	v_mov_b32_e32 v18, 0
	v_cmp_ngt_f64_e32 vcc, 0, v[10:11]
	v_mov_b32_e32 v19, 0x7ff80000
	s_and_saveexec_b64 s[6:7], vcc
	s_cbranch_execz .LBB5_248
; %bb.243:
	s_mov_b32 s8, 0x88e368f1
	v_mul_f64 v[18:19], v[10:11], v[10:11]
	s_mov_b32 s9, 0x3ee4f8b5
	v_mul_f64 v[38:39], v[18:19], 0
	v_cmp_ngt_f64_e32 vcc, s[8:9], v[10:11]
                                        ; implicit-def: $vgpr20_vgpr21
	s_and_saveexec_b64 s[8:9], vcc
	s_xor_b64 s[8:9], exec, s[8:9]
	s_cbranch_execz .LBB5_245
; %bb.244:
	s_mov_b32 s10, 0xad1c8325
	s_mov_b32 s11, 0xc1f1dc53
	v_add_f64 v[20:21], v[38:39], s[10:11]
	v_mov_b32_e32 v52, 0xc772990d
	v_mov_b32_e32 v53, 0x427c7751
	s_mov_b32 s10, 0xa696b78c
	v_fmac_f64_e32 v[52:53], v[18:19], v[20:21]
	v_mov_b32_e32 v20, 0xe0d900f7
	v_mov_b32_e32 v21, 0xc2ec5614
	s_mov_b32 s11, 0x407f3902
	v_fmac_f64_e32 v[20:21], v[18:19], v[52:53]
	v_add_f64 v[52:53], v[38:39], s[10:11]
	v_mov_b32_e32 v54, 0x36a21a67
	v_mov_b32_e32 v55, 0x410536cb
	v_fmac_f64_e32 v[54:55], v[18:19], v[52:53]
	v_mov_b32_e32 v52, 0x2eac0634
	v_mov_b32_e32 v53, 0x41871934
	v_fmac_f64_e32 v[52:53], v[18:19], v[54:55]
	;; [unrolled: 3-line block ×6, first 2 shown]
	v_mov_b32_e32 v54, 0xc7b662cc
	v_mov_b32_e32 v55, 0x43b7be34
	s_mov_b32 s10, 0x80462bbb
	v_fmac_f64_e32 v[54:55], v[18:19], v[52:53]
	v_mov_b32_e32 v52, 0x69ff5fb4
	v_mov_b32_e32 v53, 0x43413ef8
	s_mov_b32 s11, 0xc01721fb
	v_fmac_f64_e32 v[52:53], v[18:19], v[20:21]
	v_add_f64 v[20:21], v[18:19], s[10:11]
	s_mov_b32 s10, 0xa621dd6f
	s_mov_b32 s11, 0xc03e78a4
	v_add_f64 v[64:65], v[18:19], s[10:11]
	v_mul_f64 v[20:21], v[20:21], v[64:65]
	v_mul_f64 v[20:21], v[20:21], v[52:53]
	v_div_scale_f64 v[52:53], s[10:11], v[54:55], v[54:55], v[20:21]
	v_rcp_f64_e32 v[64:65], v[52:53]
	s_nop 0
	v_fma_f64 v[66:67], -v[52:53], v[64:65], 1.0
	v_fmac_f64_e32 v[64:65], v[64:65], v[66:67]
	v_fma_f64 v[66:67], -v[52:53], v[64:65], 1.0
	v_fmac_f64_e32 v[64:65], v[64:65], v[66:67]
	v_div_scale_f64 v[66:67], vcc, v[20:21], v[54:55], v[20:21]
	v_mul_f64 v[68:69], v[66:67], v[64:65]
	v_fma_f64 v[52:53], -v[52:53], v[68:69], v[66:67]
	s_nop 1
	v_div_fmas_f64 v[52:53], v[52:53], v[64:65], v[68:69]
	v_div_fixup_f64 v[20:21], v[52:53], v[54:55], v[20:21]
.LBB5_245:
	s_andn2_saveexec_b64 s[8:9], s[8:9]
; %bb.246:
	s_mov_b32 s10, 0
	s_mov_b32 s11, 0xbfd00000
	v_fma_f64 v[20:21], v[18:19], s[10:11], 1.0
; %bb.247:
	s_or_b64 exec, exec, s[8:9]
	s_mov_b32 s8, 0xe896898f
	s_mov_b32 s9, 0x40ce7437
	v_add_f64 v[52:53], v[38:39], s[8:9]
	v_mov_b32_e32 v54, 0x32e48896
	v_mov_b32_e32 v55, 0xc16bf81f
	v_fmac_f64_e32 v[54:55], v[18:19], v[52:53]
	v_mov_b32_e32 v52, 0xf0284cdd
	v_mov_b32_e32 v53, 0x41f43f78
	v_fmac_f64_e32 v[52:53], v[18:19], v[54:55]
	;; [unrolled: 3-line block ×4, first 2 shown]
	v_mov_b32_e32 v54, 0xd1d8cc02
	v_mov_b32_e32 v55, 0xc328a121
	s_mov_b32 s8, 0x576dfcb6
	v_fmac_f64_e32 v[54:55], v[18:19], v[52:53]
	v_mov_b32_e32 v52, 0x660b4003
	v_mov_b32_e32 v53, 0x4363a94b
	s_mov_b32 s9, 0x40904522
	v_fmac_f64_e32 v[52:53], v[18:19], v[54:55]
	v_add_f64 v[38:39], v[38:39], s[8:9]
	v_mov_b32_e32 v54, 0xa907bc0c
	v_mov_b32_e32 v55, 0x41231b76
	v_fmac_f64_e32 v[54:55], v[18:19], v[38:39]
	v_mov_b32_e32 v38, 0x5164d101
	v_mov_b32_e32 v39, 0x41b00763
	v_fmac_f64_e32 v[38:39], v[18:19], v[54:55]
	;; [unrolled: 3-line block ×7, first 2 shown]
	v_div_scale_f64 v[18:19], s[8:9], v[38:39], v[38:39], v[54:55]
	v_rcp_f64_e32 v[52:53], v[18:19]
	s_mov_b32 s8, 0x55555555
	s_mov_b32 s9, 0x3fe55555
	v_mov_b32_e32 v51, 0x3ff00000
	v_fma_f64 v[64:65], -v[18:19], v[52:53], 1.0
	v_fmac_f64_e32 v[52:53], v[52:53], v[64:65]
	v_fma_f64 v[64:65], -v[18:19], v[52:53], 1.0
	v_fmac_f64_e32 v[52:53], v[52:53], v[64:65]
	v_div_scale_f64 v[64:65], vcc, v[54:55], v[38:39], v[54:55]
	v_mul_f64 v[66:67], v[64:65], v[52:53]
	v_fma_f64 v[18:19], -v[18:19], v[66:67], v[64:65]
	v_frexp_exp_i32_f64_e32 v49, v[10:11]
	s_nop 0
	v_div_fmas_f64 v[18:19], v[18:19], v[52:53], v[66:67]
	v_div_fixup_f64 v[18:19], v[18:19], v[38:39], v[54:55]
	v_frexp_mant_f64_e32 v[38:39], v[10:11]
	v_cmp_gt_f64_e32 vcc, s[8:9], v[38:39]
	v_mov_b32_e32 v52, 0
	s_mov_b32 s8, 0xbf559e2b
	v_cndmask_b32_e64 v53, v51, 2.0, vcc
	v_mul_f64 v[38:39], v[38:39], v[52:53]
	v_add_f64 v[52:53], v[38:39], 1.0
	v_rcp_f64_e32 v[54:55], v[52:53]
	v_add_f64 v[66:67], v[52:53], -1.0
	v_add_f64 v[64:65], v[38:39], -1.0
	v_add_f64 v[38:39], v[38:39], -v[66:67]
	v_fma_f64 v[66:67], -v[52:53], v[54:55], 1.0
	v_fmac_f64_e32 v[54:55], v[66:67], v[54:55]
	v_fma_f64 v[66:67], -v[52:53], v[54:55], 1.0
	v_fmac_f64_e32 v[54:55], v[66:67], v[54:55]
	v_mul_f64 v[66:67], v[64:65], v[54:55]
	v_mul_f64 v[68:69], v[52:53], v[66:67]
	v_fma_f64 v[52:53], v[66:67], v[52:53], -v[68:69]
	v_fmac_f64_e32 v[52:53], v[66:67], v[38:39]
	v_add_f64 v[38:39], v[68:69], v[52:53]
	v_add_f64 v[70:71], v[64:65], -v[38:39]
	v_add_f64 v[68:69], v[38:39], -v[68:69]
	;; [unrolled: 1-line block ×5, first 2 shown]
	v_add_f64 v[38:39], v[52:53], v[38:39]
	v_add_f64 v[38:39], v[70:71], v[38:39]
	v_mul_f64 v[38:39], v[54:55], v[38:39]
	v_add_f64 v[52:53], v[66:67], v[38:39]
	v_add_f64 v[54:55], v[52:53], -v[66:67]
	v_add_f64 v[38:39], v[38:39], -v[54:55]
	v_mul_f64 v[54:55], v[52:53], v[52:53]
	v_mov_b32_e32 v64, 0x6b47b09a
	v_mov_b32_e32 v65, 0x3fc38538
	s_mov_b32 s9, 0x3fc3ab76
	v_fmac_f64_e32 v[64:65], s[8:9], v[54:55]
	v_mov_b32_e32 v66, 0xd7f4df2e
	v_mov_b32_e32 v67, 0x3fc7474d
	v_fmac_f64_e32 v[66:67], v[54:55], v[64:65]
	v_mov_b32_e32 v64, 0x16291751
	v_mov_b32_e32 v65, 0x3fcc71c0
	;; [unrolled: 3-line block ×5, first 2 shown]
	v_fmac_f64_e32 v[66:67], v[54:55], v[64:65]
	v_ldexp_f64 v[64:65], v[52:53], 1
	v_mul_f64 v[52:53], v[52:53], v[54:55]
	v_mul_f64 v[52:53], v[52:53], v[66:67]
	v_add_f64 v[54:55], v[64:65], v[52:53]
	v_add_f64 v[64:65], v[54:55], -v[64:65]
	v_ldexp_f64 v[38:39], v[38:39], 1
	v_add_f64 v[52:53], v[52:53], -v[64:65]
	v_add_f64 v[38:39], v[38:39], v[52:53]
	v_add_f64 v[52:53], v[54:55], v[38:39]
	v_subbrev_co_u32_e32 v49, vcc, 0, v49, vcc
	v_add_f64 v[54:55], v[52:53], -v[54:55]
	s_mov_b32 s8, 0xfefa39ef
	v_add_f64 v[38:39], v[38:39], -v[54:55]
	v_cvt_f64_i32_e32 v[54:55], v49
	s_mov_b32 s9, 0x3fe62e42
	v_mul_f64 v[64:65], v[54:55], s[8:9]
	v_fma_f64 v[66:67], v[54:55], s[8:9], -v[64:65]
	s_mov_b32 s8, 0x3b39803f
	s_mov_b32 s9, 0x3c7abc9e
	v_fmac_f64_e32 v[66:67], s[8:9], v[54:55]
	v_add_f64 v[54:55], v[64:65], v[66:67]
	v_add_f64 v[64:65], v[54:55], -v[64:65]
	v_add_f64 v[64:65], v[66:67], -v[64:65]
	v_add_f64 v[66:67], v[54:55], v[52:53]
	v_add_f64 v[68:69], v[66:67], -v[54:55]
	v_add_f64 v[70:71], v[66:67], -v[68:69]
	;; [unrolled: 1-line block ×4, first 2 shown]
	v_add_f64 v[52:53], v[52:53], v[54:55]
	v_add_f64 v[54:55], v[64:65], v[38:39]
	v_add_f64 v[68:69], v[54:55], -v[64:65]
	v_add_f64 v[70:71], v[54:55], -v[68:69]
	v_add_f64 v[52:53], v[54:55], v[52:53]
	v_add_f64 v[64:65], v[64:65], -v[70:71]
	v_add_f64 v[38:39], v[38:39], -v[68:69]
	v_add_f64 v[54:55], v[66:67], v[52:53]
	v_add_f64 v[38:39], v[38:39], v[64:65]
	v_add_f64 v[64:65], v[54:55], -v[66:67]
	v_add_f64 v[52:53], v[52:53], -v[64:65]
	v_add_f64 v[38:39], v[38:39], v[52:53]
	s_mov_b32 s8, 0x6dc9c883
	v_add_f64 v[38:39], v[54:55], v[38:39]
	s_mov_b32 s9, 0x3fe45f30
	v_mul_f64 v[38:39], v[38:39], s[8:9]
	v_fmac_f64_e32 v[18:19], v[38:39], v[20:21]
.LBB5_248:
	s_or_b64 exec, exec, s[6:7]
.LBB5_249:
	s_or_b64 exec, exec, s[4:5]
.LBB5_250:
	s_andn2_saveexec_b64 s[4:5], s[0:1]
	s_cbranch_execz .LBB5_260
; %bb.251:
	s_mov_b32 s9, 0xbfe921fb
	s_mov_b32 s8, 0x54442d18
	s_mov_b32 s0, 0
	v_add_f64 v[18:19], v[10:11], s[8:9]
	s_mov_b32 s1, 0x41d00000
	v_cmp_nlt_f64_e64 s[6:7], |v[18:19]|, s[0:1]
	v_trig_preop_f64 v[68:69], |v[18:19]|, 0
	v_trig_preop_f64 v[66:67], |v[18:19]|, 1
	;; [unrolled: 1-line block ×3, first 2 shown]
                                        ; implicit-def: $vgpr49
                                        ; implicit-def: $vgpr20_vgpr21
                                        ; implicit-def: $vgpr38_vgpr39
	s_and_saveexec_b64 s[0:1], s[6:7]
	s_xor_b64 s[10:11], exec, s[0:1]
	s_cbranch_execz .LBB5_253
; %bb.252:
	s_mov_b32 s0, 0
	s_mov_b32 s1, 0x7b000000
	s_movk_i32 s9, 0xff80
	v_and_b32_e32 v38, 0x7fffffff, v19
	v_ldexp_f64 v[20:21], |v[18:19]|, s9
	v_cmp_ge_f64_e64 vcc, |v[18:19]|, s[0:1]
	s_mov_b32 s0, 0
	s_mov_b32 s1, 0x7ff00000
	v_cndmask_b32_e32 v21, v38, v21, vcc
	v_cndmask_b32_e32 v20, v18, v20, vcc
	v_mul_f64 v[52:53], v[68:69], v[20:21]
	v_mul_f64 v[38:39], v[66:67], v[20:21]
	v_fma_f64 v[54:55], v[68:69], v[20:21], -v[52:53]
	v_add_f64 v[70:71], v[38:39], v[54:55]
	v_add_f64 v[80:81], v[52:53], v[70:71]
	v_ldexp_f64 v[82:83], v[80:81], -2
	v_fract_f64_e32 v[84:85], v[82:83]
	v_cmp_neq_f64_e64 vcc, |v[82:83]|, s[0:1]
	v_add_f64 v[52:53], v[80:81], -v[52:53]
	v_add_f64 v[52:53], v[70:71], -v[52:53]
	v_cndmask_b32_e32 v83, 0, v85, vcc
	v_cndmask_b32_e32 v82, 0, v84, vcc
	v_add_f64 v[84:85], v[70:71], -v[38:39]
	v_add_f64 v[54:55], v[54:55], -v[84:85]
	;; [unrolled: 1-line block ×4, first 2 shown]
	v_add_f64 v[54:55], v[54:55], v[84:85]
	v_fma_f64 v[38:39], v[66:67], v[20:21], -v[38:39]
	v_mul_f64 v[84:85], v[64:65], v[20:21]
	v_add_f64 v[96:97], v[84:85], v[38:39]
	v_add_f64 v[98:99], v[96:97], v[54:55]
	v_add_f64 v[80:81], v[98:99], -v[96:97]
	v_add_f64 v[54:55], v[54:55], -v[80:81]
	;; [unrolled: 1-line block ×4, first 2 shown]
	v_add_f64 v[54:55], v[54:55], v[80:81]
	v_add_f64 v[80:81], v[96:97], -v[84:85]
	v_add_f64 v[38:39], v[38:39], -v[80:81]
	;; [unrolled: 1-line block ×4, first 2 shown]
	v_add_f64 v[70:71], v[52:53], v[98:99]
	v_add_f64 v[38:39], v[38:39], v[80:81]
	v_add_f64 v[52:53], v[70:71], -v[52:53]
	v_add_f64 v[38:39], v[38:39], v[54:55]
	v_fma_f64 v[20:21], v[64:65], v[20:21], -v[84:85]
	v_add_f64 v[52:53], v[98:99], -v[52:53]
	v_add_f64 v[20:21], v[20:21], v[38:39]
	v_ldexp_f64 v[38:39], v[82:83], 2
	v_add_f64 v[20:21], v[52:53], v[20:21]
	v_add_f64 v[52:53], v[70:71], v[38:39]
	v_mov_b32_e32 v49, 0x40100000
	v_cmp_gt_f64_e32 vcc, 0, v[52:53]
	v_mov_b32_e32 v86, 0
	s_mov_b32 s9, 0x3ff921fb
	v_cndmask_b32_e32 v87, 0, v49, vcc
	v_add_f64 v[38:39], v[38:39], v[86:87]
	v_add_f64 v[52:53], v[70:71], v[38:39]
	v_cvt_i32_f64_e32 v49, v[52:53]
	v_cvt_f64_i32_e32 v[52:53], v49
	v_add_f64 v[38:39], v[38:39], -v[52:53]
	v_add_f64 v[52:53], v[70:71], v[38:39]
	v_add_f64 v[38:39], v[52:53], -v[38:39]
	v_add_f64 v[38:39], v[70:71], -v[38:39]
	v_add_f64 v[20:21], v[20:21], v[38:39]
	v_cmp_le_f64_e32 vcc, 0.5, v[52:53]
	v_mov_b32_e32 v38, 0x3ff00000
	s_nop 0
	v_cndmask_b32_e32 v87, 0, v38, vcc
	v_add_f64 v[38:39], v[52:53], -v[86:87]
	v_add_f64 v[52:53], v[38:39], v[20:21]
	v_addc_co_u32_e64 v49, s[0:1], 0, v49, vcc
	v_add_f64 v[38:39], v[52:53], -v[38:39]
	v_add_f64 v[20:21], v[20:21], -v[38:39]
	v_mul_f64 v[38:39], v[52:53], s[8:9]
	s_mov_b32 s0, 0x33145c07
	v_fma_f64 v[54:55], v[52:53], s[8:9], -v[38:39]
	s_mov_b32 s1, 0x3c91a626
	v_fmac_f64_e32 v[54:55], s[0:1], v[52:53]
	v_fmac_f64_e32 v[54:55], s[8:9], v[20:21]
	v_add_f64 v[20:21], v[38:39], v[54:55]
	v_add_f64 v[38:39], v[20:21], -v[38:39]
	v_add_f64 v[38:39], v[54:55], -v[38:39]
	s_andn2_saveexec_b64 s[0:1], s[10:11]
	s_cbranch_execz .LBB5_255
	s_branch .LBB5_254
.LBB5_253:
	s_andn2_saveexec_b64 s[0:1], s[10:11]
	s_cbranch_execz .LBB5_255
.LBB5_254:
	s_mov_b32 s8, 0x6dc9c883
	s_mov_b32 s9, 0x3fe45f30
	v_mul_f64 v[20:21], |v[18:19]|, s[8:9]
	s_mov_b32 s8, 0x54442d18
	v_rndne_f64_e32 v[52:53], v[20:21]
	s_mov_b32 s9, 0xbff921fb
	v_fma_f64 v[20:21], v[52:53], s[8:9], |v[18:19]|
	s_mov_b32 s9, 0xbc91a626
	s_mov_b32 s8, 0x33145c00
	v_mul_f64 v[54:55], v[52:53], s[8:9]
	v_add_f64 v[80:81], v[20:21], v[54:55]
	v_fma_f64 v[38:39], s[8:9], v[52:53], v[20:21]
	s_mov_b32 s9, 0x3c91a626
	v_add_f64 v[20:21], v[20:21], -v[80:81]
	v_fma_f64 v[70:71], s[8:9], v[52:53], v[54:55]
	v_add_f64 v[20:21], v[20:21], v[54:55]
	v_add_f64 v[54:55], v[80:81], -v[38:39]
	v_add_f64 v[20:21], v[54:55], v[20:21]
	s_mov_b32 s8, 0x252049c0
	v_add_f64 v[54:55], v[20:21], -v[70:71]
	s_mov_b32 s9, 0xb97b839a
	v_fmac_f64_e32 v[54:55], s[8:9], v[52:53]
	v_add_f64 v[20:21], v[38:39], v[54:55]
	v_add_f64 v[38:39], v[20:21], -v[38:39]
	v_add_f64 v[38:39], v[54:55], -v[38:39]
	v_cvt_i32_f64_e32 v49, v[52:53]
.LBB5_255:
	s_or_b64 exec, exec, s[0:1]
                                        ; implicit-def: $vgpr51
                                        ; implicit-def: $vgpr52_vgpr53
                                        ; implicit-def: $vgpr54_vgpr55
	s_and_saveexec_b64 s[0:1], s[6:7]
	s_xor_b64 s[6:7], exec, s[0:1]
	s_cbranch_execz .LBB5_257
; %bb.256:
	s_mov_b32 s0, 0
	s_mov_b32 s1, 0x7b000000
	s_movk_i32 s8, 0xff80
	v_and_b32_e32 v51, 0x7fffffff, v19
	v_ldexp_f64 v[52:53], |v[18:19]|, s8
	v_cmp_ge_f64_e64 vcc, |v[18:19]|, s[0:1]
	s_mov_b32 s0, 0
	s_mov_b32 s1, 0x7ff00000
	v_cndmask_b32_e32 v53, v51, v53, vcc
	v_cndmask_b32_e32 v52, v18, v52, vcc
	v_mul_f64 v[70:71], v[68:69], v[52:53]
	v_mul_f64 v[54:55], v[66:67], v[52:53]
	v_fma_f64 v[68:69], v[68:69], v[52:53], -v[70:71]
	v_add_f64 v[80:81], v[54:55], v[68:69]
	v_add_f64 v[82:83], v[70:71], v[80:81]
	v_ldexp_f64 v[84:85], v[82:83], -2
	v_fract_f64_e32 v[86:87], v[84:85]
	v_cmp_neq_f64_e64 vcc, |v[84:85]|, s[0:1]
	v_add_f64 v[70:71], v[82:83], -v[70:71]
	v_add_f64 v[70:71], v[80:81], -v[70:71]
	v_cndmask_b32_e32 v85, 0, v87, vcc
	v_cndmask_b32_e32 v84, 0, v86, vcc
	v_add_f64 v[86:87], v[80:81], -v[54:55]
	v_add_f64 v[68:69], v[68:69], -v[86:87]
	v_add_f64 v[86:87], v[80:81], -v[86:87]
	v_add_f64 v[86:87], v[54:55], -v[86:87]
	v_fma_f64 v[54:55], v[66:67], v[52:53], -v[54:55]
	v_mul_f64 v[66:67], v[64:65], v[52:53]
	v_add_f64 v[68:69], v[68:69], v[86:87]
	v_add_f64 v[86:87], v[66:67], v[54:55]
	;; [unrolled: 1-line block ×3, first 2 shown]
	v_add_f64 v[82:83], v[98:99], -v[86:87]
	v_add_f64 v[68:69], v[68:69], -v[82:83]
	;; [unrolled: 1-line block ×4, first 2 shown]
	v_add_f64 v[68:69], v[68:69], v[82:83]
	v_add_f64 v[82:83], v[86:87], -v[66:67]
	v_add_f64 v[54:55], v[54:55], -v[82:83]
	;; [unrolled: 1-line block ×4, first 2 shown]
	v_add_f64 v[54:55], v[54:55], v[82:83]
	v_add_f64 v[54:55], v[54:55], v[68:69]
	v_fma_f64 v[52:53], v[64:65], v[52:53], -v[66:67]
	v_add_f64 v[80:81], v[70:71], v[98:99]
	v_add_f64 v[52:53], v[52:53], v[54:55]
	v_ldexp_f64 v[54:55], v[84:85], 2
	v_add_f64 v[64:65], v[80:81], v[54:55]
	v_mov_b32_e32 v51, 0x40100000
	v_cmp_gt_f64_e32 vcc, 0, v[64:65]
	v_mov_b32_e32 v96, 0
	v_add_f64 v[70:71], v[80:81], -v[70:71]
	v_cndmask_b32_e32 v97, 0, v51, vcc
	v_add_f64 v[54:55], v[54:55], v[96:97]
	v_add_f64 v[64:65], v[80:81], v[54:55]
	v_cvt_i32_f64_e32 v51, v[64:65]
	v_cvt_f64_i32_e32 v[64:65], v51
	v_add_f64 v[54:55], v[54:55], -v[64:65]
	v_add_f64 v[64:65], v[80:81], v[54:55]
	v_add_f64 v[70:71], v[98:99], -v[70:71]
	v_add_f64 v[54:55], v[64:65], -v[54:55]
	v_add_f64 v[52:53], v[70:71], v[52:53]
	v_add_f64 v[54:55], v[80:81], -v[54:55]
	v_add_f64 v[52:53], v[52:53], v[54:55]
	v_cmp_le_f64_e32 vcc, 0.5, v[64:65]
	v_mov_b32_e32 v54, 0x3ff00000
	s_mov_b32 s8, 0x33145c07
	v_cndmask_b32_e32 v97, 0, v54, vcc
	v_addc_co_u32_e64 v51, s[0:1], 0, v51, vcc
	v_add_f64 v[54:55], v[64:65], -v[96:97]
	v_add_f64 v[64:65], v[54:55], v[52:53]
	s_mov_b32 s0, 0x54442d18
	v_add_f64 v[54:55], v[64:65], -v[54:55]
	s_mov_b32 s1, 0x3ff921fb
	v_add_f64 v[52:53], v[52:53], -v[54:55]
	v_mul_f64 v[54:55], v[64:65], s[0:1]
	v_fma_f64 v[66:67], v[64:65], s[0:1], -v[54:55]
	s_mov_b32 s9, 0x3c91a626
	v_fmac_f64_e32 v[66:67], s[8:9], v[64:65]
	v_fmac_f64_e32 v[66:67], s[0:1], v[52:53]
	v_add_f64 v[52:53], v[54:55], v[66:67]
	v_add_f64 v[54:55], v[52:53], -v[54:55]
	v_add_f64 v[54:55], v[66:67], -v[54:55]
	s_andn2_saveexec_b64 s[0:1], s[6:7]
	s_cbranch_execnz .LBB5_258
	s_branch .LBB5_259
.LBB5_257:
	s_andn2_saveexec_b64 s[0:1], s[6:7]
	s_cbranch_execz .LBB5_259
.LBB5_258:
	s_mov_b32 s6, 0x6dc9c883
	s_mov_b32 s7, 0x3fe45f30
	v_mul_f64 v[52:53], |v[18:19]|, s[6:7]
	s_mov_b32 s6, 0x54442d18
	v_rndne_f64_e32 v[64:65], v[52:53]
	s_mov_b32 s7, 0xbff921fb
	v_fma_f64 v[52:53], v[64:65], s[6:7], |v[18:19]|
	s_mov_b32 s7, 0xbc91a626
	s_mov_b32 s6, 0x33145c00
	v_mul_f64 v[66:67], v[64:65], s[6:7]
	v_add_f64 v[70:71], v[52:53], v[66:67]
	v_fma_f64 v[54:55], s[6:7], v[64:65], v[52:53]
	s_mov_b32 s7, 0x3c91a626
	v_add_f64 v[52:53], v[52:53], -v[70:71]
	v_fma_f64 v[68:69], s[6:7], v[64:65], v[66:67]
	v_add_f64 v[52:53], v[52:53], v[66:67]
	v_add_f64 v[66:67], v[70:71], -v[54:55]
	v_add_f64 v[52:53], v[66:67], v[52:53]
	s_mov_b32 s6, 0x252049c0
	v_add_f64 v[66:67], v[52:53], -v[68:69]
	s_mov_b32 s7, 0xb97b839a
	v_fmac_f64_e32 v[66:67], s[6:7], v[64:65]
	v_add_f64 v[52:53], v[54:55], v[66:67]
	v_add_f64 v[54:55], v[52:53], -v[54:55]
	v_add_f64 v[54:55], v[66:67], -v[54:55]
	v_cvt_i32_f64_e32 v51, v[64:65]
.LBB5_259:
	s_or_b64 exec, exec, s[0:1]
	s_mov_b32 s0, 0
	v_mul_f64 v[64:65], v[10:11], v[10:11]
	s_mov_b32 s1, 0x40390000
	v_div_scale_f64 v[66:67], s[6:7], v[64:65], v[64:65], s[0:1]
	v_rcp_f64_e32 v[68:69], v[66:67]
	v_mov_b32_e32 v82, 0xb1759c7f
	v_mov_b32_e32 v83, 0x408ac370
	;; [unrolled: 1-line block ×3, first 2 shown]
	v_fma_f64 v[70:71], -v[66:67], v[68:69], 1.0
	v_fmac_f64_e32 v[68:69], v[68:69], v[70:71]
	v_fma_f64 v[70:71], -v[66:67], v[68:69], 1.0
	v_fmac_f64_e32 v[68:69], v[68:69], v[70:71]
	v_div_scale_f64 v[70:71], vcc, s[0:1], v[64:65], s[0:1]
	v_mul_f64 v[80:81], v[70:71], v[68:69]
	v_fma_f64 v[66:67], -v[66:67], v[80:81], v[70:71]
	v_mov_b32_e32 v70, 0xab5454e3
	s_nop 0
	v_div_fmas_f64 v[66:67], v[66:67], v[68:69], v[80:81]
	v_div_fixup_f64 v[64:65], v[66:67], v[64:65], s[0:1]
	v_mov_b32_e32 v66, 0x983b6b27
	v_mov_b32_e32 v67, 0x3f4a1d30
	v_fmac_f64_e32 v[66:67], 0, v[64:65]
	v_mov_b32_e32 v68, 0xb35dd1cf
	v_mov_b32_e32 v69, 0x3fb534b0
	v_fmac_f64_e32 v[68:69], v[64:65], v[66:67]
	;; [unrolled: 3-line block ×7, first 2 shown]
	v_mov_b32_e32 v71, 0x3fb5ebc5
	v_fmac_f64_e32 v[70:71], v[64:65], v[66:67]
	v_mov_b32_e32 v66, 0xc9b3069f
	v_mov_b32_e32 v67, 0x3ff40e72
	v_fmac_f64_e32 v[66:67], v[64:65], v[70:71]
	v_mov_b32_e32 v70, 0xe68162bb
	;; [unrolled: 3-line block ×4, first 2 shown]
	v_mov_b32_e32 v71, 0x40153965
	v_fmac_f64_e32 v[70:71], v[64:65], v[66:67]
	v_fma_f64 v[66:67], v[64:65], v[70:71], 1.0
	v_mov_b32_e32 v70, 0x38a5384a
	v_mov_b32_e32 v71, 0xbf874742
	v_fmac_f64_e32 v[70:71], 0, v[64:65]
	v_mov_b32_e32 v80, 0x3a321174
	v_mov_b32_e32 v81, 0xbff4853b
	v_fmac_f64_e32 v[80:81], v[64:65], v[70:71]
	;; [unrolled: 3-line block ×9, first 2 shown]
	v_fmac_f64_e32 v[82:83], v[64:65], v[70:71]
	v_mov_b32_e32 v70, 0xbd748cb5
	v_mov_b32_e32 v71, 0x40ae54cd
	v_fmac_f64_e32 v[70:71], v[64:65], v[82:83]
	v_mov_b32_e32 v82, 0xbdefd63e
	v_mov_b32_e32 v83, 0x40bc4877
	;; [unrolled: 3-line block ×4, first 2 shown]
	v_fma_f64 v[68:69], v[64:65], v[68:69], 1.0
	v_fmac_f64_e32 v[82:83], v[64:65], v[70:71]
	v_div_scale_f64 v[70:71], s[0:1], v[66:67], v[66:67], v[68:69]
	v_rcp_f64_e32 v[84:85], v[70:71]
	v_mov_b32_e32 v87, 0x406e402f
	v_fmac_f64_e32 v[86:87], v[64:65], v[82:83]
	s_mov_b32 s0, 0x9037ab78
	v_fma_f64 v[64:65], -v[70:71], v[84:85], 1.0
	v_fmac_f64_e32 v[84:85], v[84:85], v[64:65]
	v_fma_f64 v[64:65], -v[70:71], v[84:85], 1.0
	v_fmac_f64_e32 v[84:85], v[84:85], v[64:65]
	v_div_scale_f64 v[64:65], vcc, v[68:69], v[66:67], v[68:69]
	v_mul_f64 v[82:83], v[64:65], v[84:85]
	v_fma_f64 v[64:65], -v[70:71], v[82:83], v[64:65]
	s_mov_b32 s1, 0x3e21eeb6
	s_nop 0
	v_div_fmas_f64 v[64:65], v[64:65], v[84:85], v[82:83]
	s_mov_b32 s6, 0x46cc5e42
	v_div_fixup_f64 v[64:65], v[64:65], v[66:67], v[68:69]
	v_mul_f64 v[66:67], v[20:21], v[20:21]
	s_mov_b32 s7, 0xbda907db
	v_mov_b64_e32 v[84:85], s[0:1]
	s_mov_b32 s8, 0xa17f65f6
	v_mul_f64 v[68:69], v[66:67], 0.5
	v_fma_f64 v[96:97], s[6:7], v[66:67], v[84:85]
	s_mov_b32 s9, 0xbe927e4f
	s_mov_b32 s10, 0x19f4ec90
	v_add_f64 v[70:71], -v[68:69], 1.0
	v_fma_f64 v[96:97], v[66:67], v[96:97], s[8:9]
	s_mov_b32 s11, 0x3efa01a0
	s_mov_b32 s12, 0x16c16967
	v_add_f64 v[82:83], -v[70:71], 1.0
	v_fma_f64 v[96:97], v[66:67], v[96:97], s[10:11]
	s_mov_b32 s13, 0xbf56c16c
	s_mov_b32 s14, 0x55555555
	v_add_f64 v[68:69], v[82:83], -v[68:69]
	v_fma_f64 v[96:97], v[66:67], v[96:97], s[12:13]
	s_mov_b32 s15, 0x3fa55555
	v_mul_f64 v[82:83], v[66:67], v[66:67]
	v_fma_f64 v[96:97], v[66:67], v[96:97], s[14:15]
	v_fma_f64 v[68:69], v[20:21], -v[38:39], v[68:69]
	s_mov_b32 s0, 0xb42fdfa7
	v_fmac_f64_e32 v[68:69], v[82:83], v[96:97]
	s_mov_b32 s1, 0xbe5ae600
	s_mov_b32 s16, 0xf9a43bb8
	v_add_f64 v[68:69], v[70:71], v[68:69]
	s_mov_b32 s17, 0x3de5e0b2
	v_mov_b64_e32 v[70:71], s[0:1]
	s_mov_b32 s18, 0x796cde01
	v_fma_f64 v[82:83], s[16:17], v[66:67], v[70:71]
	s_mov_b32 s19, 0x3ec71de3
	s_mov_b32 s20, 0x19e83e5c
	v_fma_f64 v[82:83], v[66:67], v[82:83], s[18:19]
	s_mov_b32 s21, 0xbf2a01a0
	;; [unrolled: 3-line block ×3, first 2 shown]
	v_fma_f64 v[82:83], v[66:67], v[82:83], s[22:23]
	v_mul_f64 v[96:97], v[20:21], -v[66:67]
	v_mul_f64 v[98:99], v[38:39], 0.5
	v_fmac_f64_e32 v[98:99], v[96:97], v[82:83]
	v_fma_f64 v[38:39], v[66:67], v[98:99], -v[38:39]
	s_mov_b32 s25, 0xbfc55555
	s_mov_b32 s24, s14
	v_fmac_f64_e32 v[38:39], s[24:25], v[96:97]
	v_add_f64 v[20:21], v[20:21], -v[38:39]
	v_and_b32_e32 v38, 1, v49
	v_cmp_eq_u32_e32 vcc, 0, v38
	s_mov_b32 s26, 0
	s_mov_b32 s27, 0x40140000
	v_cndmask_b32_e32 v66, v68, v20, vcc
	v_cndmask_b32_e32 v20, v69, v21, vcc
	v_lshlrev_b32_e32 v21, 30, v49
	v_xor_b32_e32 v21, v21, v19
	v_and_b32_e32 v21, 0x80000000, v21
	v_xor_b32_e32 v49, v20, v21
	v_div_scale_f64 v[20:21], s[0:1], v[10:11], v[10:11], s[26:27]
	v_rcp_f64_e32 v[38:39], v[20:21]
	s_movk_i32 s28, 0x1f8
	v_cmp_class_f64_e64 s[0:1], v[18:19], s28
	v_mov_b32_e32 v96, 0x7ff80000
	s_nop 0
	v_cndmask_b32_e64 v18, 0, v66, s[0:1]
	v_fma_f64 v[66:67], -v[20:21], v[38:39], 1.0
	v_fmac_f64_e32 v[38:39], v[38:39], v[66:67]
	v_fma_f64 v[66:67], -v[20:21], v[38:39], 1.0
	v_fmac_f64_e32 v[38:39], v[38:39], v[66:67]
	v_div_scale_f64 v[66:67], vcc, s[26:27], v[10:11], s[26:27]
	v_mul_f64 v[68:69], v[66:67], v[38:39]
	v_fma_f64 v[20:21], -v[20:21], v[68:69], v[66:67]
	v_div_scale_f64 v[66:67], s[28:29], v[86:87], v[86:87], v[80:81]
	v_rcp_f64_e32 v[82:83], v[66:67]
	v_div_fmas_f64 v[20:21], v[20:21], v[38:39], v[68:69]
	v_div_fixup_f64 v[20:21], v[20:21], v[10:11], s[26:27]
	v_cndmask_b32_e64 v19, v96, v49, s[0:1]
	v_fma_f64 v[38:39], -v[66:67], v[82:83], 1.0
	v_fmac_f64_e32 v[82:83], v[82:83], v[38:39]
	v_fma_f64 v[38:39], -v[66:67], v[82:83], 1.0
	v_fmac_f64_e32 v[82:83], v[82:83], v[38:39]
	v_div_scale_f64 v[38:39], vcc, v[80:81], v[86:87], v[80:81]
	v_mul_f64 v[68:69], v[38:39], v[82:83]
	v_fma_f64 v[38:39], -v[66:67], v[68:69], v[38:39]
	v_and_b32_e32 v49, 1, v51
	s_nop 0
	v_div_fmas_f64 v[38:39], v[38:39], v[82:83], v[68:69]
	v_div_fixup_f64 v[38:39], v[38:39], v[86:87], v[80:81]
	v_mul_f64 v[20:21], v[20:21], v[38:39]
	v_mul_f64 v[38:39], v[52:53], v[52:53]
	v_mul_f64 v[66:67], v[38:39], 0.5
	v_fmac_f64_e32 v[84:85], s[6:7], v[38:39]
	v_add_f64 v[68:69], -v[66:67], 1.0
	v_fma_f64 v[82:83], v[38:39], v[84:85], s[8:9]
	v_add_f64 v[80:81], -v[68:69], 1.0
	v_fma_f64 v[82:83], v[38:39], v[82:83], s[10:11]
	v_add_f64 v[66:67], v[80:81], -v[66:67]
	v_fma_f64 v[82:83], v[38:39], v[82:83], s[12:13]
	v_mul_f64 v[80:81], v[38:39], v[38:39]
	v_fma_f64 v[82:83], v[38:39], v[82:83], s[14:15]
	v_fma_f64 v[66:67], v[52:53], -v[54:55], v[66:67]
	v_fmac_f64_e32 v[66:67], v[80:81], v[82:83]
	v_fmac_f64_e32 v[70:71], s[16:17], v[38:39]
	v_add_f64 v[66:67], v[68:69], v[66:67]
	v_fma_f64 v[68:69], v[38:39], v[70:71], s[18:19]
	v_fma_f64 v[68:69], v[38:39], v[68:69], s[20:21]
	;; [unrolled: 1-line block ×3, first 2 shown]
	v_mul_f64 v[70:71], v[52:53], -v[38:39]
	v_mul_f64 v[80:81], v[54:55], 0.5
	v_fmac_f64_e32 v[80:81], v[70:71], v[68:69]
	v_fma_f64 v[38:39], v[38:39], v[80:81], -v[54:55]
	v_fmac_f64_e32 v[38:39], s[24:25], v[70:71]
	v_add_f64 v[38:39], v[52:53], -v[38:39]
	v_xor_b32_e32 v39, 0x80000000, v39
	v_cmp_eq_u32_e32 vcc, 0, v49
	v_lshlrev_b32_e32 v49, 30, v51
	v_and_b32_e32 v49, 0x80000000, v49
	v_cndmask_b32_e32 v39, v39, v67, vcc
	v_cndmask_b32_e32 v38, v38, v66, vcc
	v_xor_b32_e32 v39, v39, v49
	v_cndmask_b32_e64 v38, 0, v38, s[0:1]
	v_cndmask_b32_e64 v39, v96, v39, s[0:1]
	s_mov_b32 s0, 0
	s_brev_b32 s1, 8
	v_mul_f64 v[20:21], v[20:21], v[38:39]
	v_cmp_gt_f64_e32 vcc, s[0:1], v[10:11]
	v_fmac_f64_e32 v[20:21], v[64:65], v[18:19]
	s_mov_b32 s0, 0x33d43651
	v_cndmask_b32_e64 v18, 0, 1, vcc
	v_lshlrev_b32_e32 v18, 8, v18
	v_ldexp_f64 v[10:11], v[10:11], v18
	v_rsq_f64_e32 v[18:19], v[10:11]
	s_mov_b32 s1, 0x3fe98845
	v_mul_f64 v[20:21], v[20:21], s[0:1]
	v_mul_f64 v[38:39], v[10:11], v[18:19]
	v_mul_f64 v[18:19], v[18:19], 0.5
	v_fma_f64 v[52:53], -v[18:19], v[38:39], 0.5
	v_fmac_f64_e32 v[38:39], v[38:39], v[52:53]
	v_fma_f64 v[54:55], -v[38:39], v[38:39], v[10:11]
	v_fmac_f64_e32 v[18:19], v[18:19], v[52:53]
	v_fmac_f64_e32 v[38:39], v[54:55], v[18:19]
	v_fma_f64 v[52:53], -v[38:39], v[38:39], v[10:11]
	v_fmac_f64_e32 v[38:39], v[52:53], v[18:19]
	v_mov_b32_e32 v18, 0xffffff80
	v_cndmask_b32_e32 v18, 0, v18, vcc
	v_ldexp_f64 v[18:19], v[38:39], v18
	v_mov_b32_e32 v38, 0x260
	v_cmp_class_f64_e32 vcc, v[10:11], v38
	s_nop 1
	v_cndmask_b32_e32 v11, v19, v11, vcc
	v_cndmask_b32_e32 v10, v18, v10, vcc
	v_div_scale_f64 v[18:19], s[0:1], v[10:11], v[10:11], v[20:21]
	v_rcp_f64_e32 v[38:39], v[18:19]
	s_nop 0
	v_fma_f64 v[52:53], -v[18:19], v[38:39], 1.0
	v_fmac_f64_e32 v[38:39], v[38:39], v[52:53]
	v_fma_f64 v[52:53], -v[18:19], v[38:39], 1.0
	v_fmac_f64_e32 v[38:39], v[38:39], v[52:53]
	v_div_scale_f64 v[52:53], vcc, v[20:21], v[10:11], v[20:21]
	v_mul_f64 v[54:55], v[52:53], v[38:39]
	v_fma_f64 v[18:19], -v[18:19], v[54:55], v[52:53]
	s_nop 1
	v_div_fmas_f64 v[18:19], v[18:19], v[38:39], v[54:55]
	v_div_fixup_f64 v[18:19], v[18:19], v[10:11], v[20:21]
.LBB5_260:
	s_or_b64 exec, exec, s[4:5]
	s_mov_b32 s0, 0
	s_mov_b32 s1, 0x40140000
	v_cmp_ge_f64_e32 vcc, s[0:1], v[12:13]
	s_and_saveexec_b64 s[0:1], vcc
	s_xor_b64 s[0:1], exec, s[0:1]
	s_cbranch_execz .LBB5_270
; %bb.261:
	v_mov_b32_e32 v20, 0
	v_cmp_neq_f64_e32 vcc, 0, v[12:13]
	v_mov_b32_e32 v21, 0xfff00000
	s_and_saveexec_b64 s[4:5], vcc
	s_cbranch_execz .LBB5_269
; %bb.262:
	v_mov_b32_e32 v20, 0
	v_cmp_ngt_f64_e32 vcc, 0, v[12:13]
	v_mov_b32_e32 v21, 0x7ff80000
	s_and_saveexec_b64 s[6:7], vcc
	s_cbranch_execz .LBB5_268
; %bb.263:
	s_mov_b32 s8, 0x88e368f1
	v_mul_f64 v[20:21], v[12:13], v[12:13]
	s_mov_b32 s9, 0x3ee4f8b5
	v_mul_f64 v[38:39], v[20:21], 0
	v_cmp_ngt_f64_e32 vcc, s[8:9], v[12:13]
                                        ; implicit-def: $vgpr10_vgpr11
	s_and_saveexec_b64 s[8:9], vcc
	s_xor_b64 s[8:9], exec, s[8:9]
	s_cbranch_execz .LBB5_265
; %bb.264:
	s_mov_b32 s10, 0xad1c8325
	s_mov_b32 s11, 0xc1f1dc53
	v_add_f64 v[10:11], v[38:39], s[10:11]
	v_mov_b32_e32 v52, 0xc772990d
	v_mov_b32_e32 v53, 0x427c7751
	s_mov_b32 s10, 0xa696b78c
	v_fmac_f64_e32 v[52:53], v[20:21], v[10:11]
	v_mov_b32_e32 v10, 0xe0d900f7
	v_mov_b32_e32 v11, 0xc2ec5614
	s_mov_b32 s11, 0x407f3902
	v_fmac_f64_e32 v[10:11], v[20:21], v[52:53]
	v_add_f64 v[52:53], v[38:39], s[10:11]
	v_mov_b32_e32 v54, 0x36a21a67
	v_mov_b32_e32 v55, 0x410536cb
	v_fmac_f64_e32 v[54:55], v[20:21], v[52:53]
	v_mov_b32_e32 v52, 0x2eac0634
	v_mov_b32_e32 v53, 0x41871934
	v_fmac_f64_e32 v[52:53], v[20:21], v[54:55]
	v_mov_b32_e32 v54, 0x9444914
	v_mov_b32_e32 v55, 0x4204d5b0
	v_fmac_f64_e32 v[54:55], v[20:21], v[52:53]
	v_mov_b32_e32 v52, 0x72182e46
	v_mov_b32_e32 v53, 0x427ebeb3
	v_fmac_f64_e32 v[52:53], v[20:21], v[54:55]
	v_mov_b32_e32 v54, 0x8c9748e9
	v_mov_b32_e32 v55, 0x42f1a6a2
	v_fmac_f64_e32 v[54:55], v[20:21], v[52:53]
	v_mov_b32_e32 v52, 0x7e7b2e9c
	v_mov_b32_e32 v53, 0x435c4141
	v_fmac_f64_e32 v[52:53], v[20:21], v[54:55]
	v_mov_b32_e32 v54, 0xc7b662cc
	v_mov_b32_e32 v55, 0x43b7be34
	s_mov_b32 s10, 0x80462bbb
	v_fmac_f64_e32 v[54:55], v[20:21], v[52:53]
	v_mov_b32_e32 v52, 0x69ff5fb4
	v_mov_b32_e32 v53, 0x43413ef8
	s_mov_b32 s11, 0xc01721fb
	v_fmac_f64_e32 v[52:53], v[20:21], v[10:11]
	v_add_f64 v[10:11], v[20:21], s[10:11]
	s_mov_b32 s10, 0xa621dd6f
	s_mov_b32 s11, 0xc03e78a4
	v_add_f64 v[64:65], v[20:21], s[10:11]
	v_mul_f64 v[10:11], v[10:11], v[64:65]
	v_mul_f64 v[10:11], v[10:11], v[52:53]
	v_div_scale_f64 v[52:53], s[10:11], v[54:55], v[54:55], v[10:11]
	v_rcp_f64_e32 v[64:65], v[52:53]
	s_nop 0
	v_fma_f64 v[66:67], -v[52:53], v[64:65], 1.0
	v_fmac_f64_e32 v[64:65], v[64:65], v[66:67]
	v_fma_f64 v[66:67], -v[52:53], v[64:65], 1.0
	v_fmac_f64_e32 v[64:65], v[64:65], v[66:67]
	v_div_scale_f64 v[66:67], vcc, v[10:11], v[54:55], v[10:11]
	v_mul_f64 v[68:69], v[66:67], v[64:65]
	v_fma_f64 v[52:53], -v[52:53], v[68:69], v[66:67]
	s_nop 1
	v_div_fmas_f64 v[52:53], v[52:53], v[64:65], v[68:69]
	v_div_fixup_f64 v[10:11], v[52:53], v[54:55], v[10:11]
.LBB5_265:
	s_andn2_saveexec_b64 s[8:9], s[8:9]
; %bb.266:
	s_mov_b32 s10, 0
	s_mov_b32 s11, 0xbfd00000
	v_fma_f64 v[10:11], v[20:21], s[10:11], 1.0
; %bb.267:
	s_or_b64 exec, exec, s[8:9]
	s_mov_b32 s8, 0xe896898f
	s_mov_b32 s9, 0x40ce7437
	v_add_f64 v[52:53], v[38:39], s[8:9]
	v_mov_b32_e32 v54, 0x32e48896
	v_mov_b32_e32 v55, 0xc16bf81f
	v_fmac_f64_e32 v[54:55], v[20:21], v[52:53]
	v_mov_b32_e32 v52, 0xf0284cdd
	v_mov_b32_e32 v53, 0x41f43f78
	v_fmac_f64_e32 v[52:53], v[20:21], v[54:55]
	;; [unrolled: 3-line block ×4, first 2 shown]
	v_mov_b32_e32 v54, 0xd1d8cc02
	v_mov_b32_e32 v55, 0xc328a121
	s_mov_b32 s8, 0x576dfcb6
	v_fmac_f64_e32 v[54:55], v[20:21], v[52:53]
	v_mov_b32_e32 v52, 0x660b4003
	v_mov_b32_e32 v53, 0x4363a94b
	s_mov_b32 s9, 0x40904522
	v_fmac_f64_e32 v[52:53], v[20:21], v[54:55]
	v_add_f64 v[38:39], v[38:39], s[8:9]
	v_mov_b32_e32 v54, 0xa907bc0c
	v_mov_b32_e32 v55, 0x41231b76
	v_fmac_f64_e32 v[54:55], v[20:21], v[38:39]
	v_mov_b32_e32 v38, 0x5164d101
	v_mov_b32_e32 v39, 0x41b00763
	v_fmac_f64_e32 v[38:39], v[20:21], v[54:55]
	;; [unrolled: 3-line block ×7, first 2 shown]
	v_div_scale_f64 v[20:21], s[8:9], v[38:39], v[38:39], v[54:55]
	v_rcp_f64_e32 v[52:53], v[20:21]
	s_mov_b32 s8, 0x55555555
	v_frexp_exp_i32_f64_e32 v49, v[12:13]
	v_frexp_mant_f64_e32 v[12:13], v[12:13]
	v_fma_f64 v[64:65], -v[20:21], v[52:53], 1.0
	v_fmac_f64_e32 v[52:53], v[52:53], v[64:65]
	v_fma_f64 v[64:65], -v[20:21], v[52:53], 1.0
	v_fmac_f64_e32 v[52:53], v[52:53], v[64:65]
	v_div_scale_f64 v[64:65], vcc, v[54:55], v[38:39], v[54:55]
	v_mul_f64 v[66:67], v[64:65], v[52:53]
	v_fma_f64 v[20:21], -v[20:21], v[66:67], v[64:65]
	s_mov_b32 s9, 0x3fe55555
	s_nop 0
	v_div_fmas_f64 v[20:21], v[20:21], v[52:53], v[66:67]
	v_div_fixup_f64 v[20:21], v[20:21], v[38:39], v[54:55]
	v_mov_b32_e32 v38, 0x3ff00000
	v_cmp_gt_f64_e32 vcc, s[8:9], v[12:13]
	s_mov_b32 s8, 0xbf559e2b
	s_mov_b32 s9, 0x3fc3ab76
	v_cndmask_b32_e64 v39, v38, 2.0, vcc
	v_mov_b32_e32 v38, 0
	v_mul_f64 v[12:13], v[12:13], v[38:39]
	v_add_f64 v[38:39], v[12:13], 1.0
	v_rcp_f64_e32 v[52:53], v[38:39]
	v_add_f64 v[64:65], v[38:39], -1.0
	v_add_f64 v[54:55], v[12:13], -1.0
	v_add_f64 v[12:13], v[12:13], -v[64:65]
	v_fma_f64 v[64:65], -v[38:39], v[52:53], 1.0
	v_fmac_f64_e32 v[52:53], v[64:65], v[52:53]
	v_fma_f64 v[64:65], -v[38:39], v[52:53], 1.0
	v_fmac_f64_e32 v[52:53], v[64:65], v[52:53]
	v_mul_f64 v[64:65], v[54:55], v[52:53]
	v_mul_f64 v[66:67], v[38:39], v[64:65]
	v_fma_f64 v[38:39], v[64:65], v[38:39], -v[66:67]
	v_fmac_f64_e32 v[38:39], v[64:65], v[12:13]
	v_add_f64 v[12:13], v[66:67], v[38:39]
	v_add_f64 v[68:69], v[54:55], -v[12:13]
	v_add_f64 v[66:67], v[12:13], -v[66:67]
	;; [unrolled: 1-line block ×5, first 2 shown]
	v_add_f64 v[12:13], v[38:39], v[12:13]
	v_add_f64 v[12:13], v[68:69], v[12:13]
	v_mul_f64 v[12:13], v[52:53], v[12:13]
	v_add_f64 v[38:39], v[64:65], v[12:13]
	v_add_f64 v[52:53], v[38:39], -v[64:65]
	v_add_f64 v[12:13], v[12:13], -v[52:53]
	v_mul_f64 v[52:53], v[38:39], v[38:39]
	v_mov_b32_e32 v54, 0x6b47b09a
	v_mov_b32_e32 v55, 0x3fc38538
	v_fmac_f64_e32 v[54:55], s[8:9], v[52:53]
	v_mov_b32_e32 v64, 0xd7f4df2e
	v_mov_b32_e32 v65, 0x3fc7474d
	v_fmac_f64_e32 v[64:65], v[52:53], v[54:55]
	;; [unrolled: 3-line block ×6, first 2 shown]
	v_ldexp_f64 v[54:55], v[38:39], 1
	v_mul_f64 v[38:39], v[38:39], v[52:53]
	v_mul_f64 v[38:39], v[38:39], v[64:65]
	v_add_f64 v[52:53], v[54:55], v[38:39]
	v_add_f64 v[54:55], v[52:53], -v[54:55]
	v_ldexp_f64 v[12:13], v[12:13], 1
	v_add_f64 v[38:39], v[38:39], -v[54:55]
	v_add_f64 v[12:13], v[12:13], v[38:39]
	v_add_f64 v[38:39], v[52:53], v[12:13]
	v_subbrev_co_u32_e32 v49, vcc, 0, v49, vcc
	v_add_f64 v[52:53], v[38:39], -v[52:53]
	s_mov_b32 s8, 0xfefa39ef
	v_add_f64 v[12:13], v[12:13], -v[52:53]
	v_cvt_f64_i32_e32 v[52:53], v49
	s_mov_b32 s9, 0x3fe62e42
	v_mul_f64 v[54:55], v[52:53], s[8:9]
	v_fma_f64 v[64:65], v[52:53], s[8:9], -v[54:55]
	s_mov_b32 s8, 0x3b39803f
	s_mov_b32 s9, 0x3c7abc9e
	v_fmac_f64_e32 v[64:65], s[8:9], v[52:53]
	v_add_f64 v[52:53], v[54:55], v[64:65]
	v_add_f64 v[54:55], v[52:53], -v[54:55]
	v_add_f64 v[54:55], v[64:65], -v[54:55]
	v_add_f64 v[64:65], v[52:53], v[38:39]
	v_add_f64 v[66:67], v[64:65], -v[52:53]
	v_add_f64 v[68:69], v[64:65], -v[66:67]
	v_add_f64 v[52:53], v[52:53], -v[68:69]
	v_add_f64 v[38:39], v[38:39], -v[66:67]
	v_add_f64 v[38:39], v[38:39], v[52:53]
	v_add_f64 v[52:53], v[54:55], v[12:13]
	v_add_f64 v[66:67], v[52:53], -v[54:55]
	v_add_f64 v[68:69], v[52:53], -v[66:67]
	v_add_f64 v[38:39], v[52:53], v[38:39]
	v_add_f64 v[54:55], v[54:55], -v[68:69]
	v_add_f64 v[12:13], v[12:13], -v[66:67]
	v_add_f64 v[52:53], v[64:65], v[38:39]
	v_add_f64 v[12:13], v[12:13], v[54:55]
	v_add_f64 v[54:55], v[52:53], -v[64:65]
	v_add_f64 v[38:39], v[38:39], -v[54:55]
	v_add_f64 v[12:13], v[12:13], v[38:39]
	s_mov_b32 s8, 0x6dc9c883
	v_add_f64 v[12:13], v[52:53], v[12:13]
	s_mov_b32 s9, 0x3fe45f30
	v_mul_f64 v[12:13], v[12:13], s[8:9]
	v_fmac_f64_e32 v[20:21], v[12:13], v[10:11]
.LBB5_268:
	s_or_b64 exec, exec, s[6:7]
.LBB5_269:
	s_or_b64 exec, exec, s[4:5]
                                        ; implicit-def: $vgpr12_vgpr13
.LBB5_270:
	s_andn2_saveexec_b64 s[4:5], s[0:1]
	s_cbranch_execz .LBB5_280
; %bb.271:
	s_mov_b32 s9, 0xbfe921fb
	s_mov_b32 s8, 0x54442d18
	;; [unrolled: 1-line block ×3, first 2 shown]
	v_add_f64 v[10:11], v[12:13], s[8:9]
	s_mov_b32 s1, 0x41d00000
	v_cmp_nlt_f64_e64 s[6:7], |v[10:11]|, s[0:1]
	v_trig_preop_f64 v[68:69], |v[10:11]|, 0
	v_trig_preop_f64 v[66:67], |v[10:11]|, 1
	;; [unrolled: 1-line block ×3, first 2 shown]
                                        ; implicit-def: $vgpr49
                                        ; implicit-def: $vgpr20_vgpr21
                                        ; implicit-def: $vgpr38_vgpr39
	s_and_saveexec_b64 s[0:1], s[6:7]
	s_xor_b64 s[10:11], exec, s[0:1]
	s_cbranch_execz .LBB5_273
; %bb.272:
	s_mov_b32 s0, 0
	s_mov_b32 s1, 0x7b000000
	s_movk_i32 s9, 0xff80
	v_and_b32_e32 v38, 0x7fffffff, v11
	v_ldexp_f64 v[20:21], |v[10:11]|, s9
	v_cmp_ge_f64_e64 vcc, |v[10:11]|, s[0:1]
	s_mov_b32 s0, 0
	s_mov_b32 s1, 0x7ff00000
	v_cndmask_b32_e32 v21, v38, v21, vcc
	v_cndmask_b32_e32 v20, v10, v20, vcc
	v_mul_f64 v[52:53], v[68:69], v[20:21]
	v_mul_f64 v[38:39], v[66:67], v[20:21]
	v_fma_f64 v[54:55], v[68:69], v[20:21], -v[52:53]
	v_add_f64 v[70:71], v[38:39], v[54:55]
	v_add_f64 v[80:81], v[52:53], v[70:71]
	v_ldexp_f64 v[82:83], v[80:81], -2
	v_fract_f64_e32 v[84:85], v[82:83]
	v_cmp_neq_f64_e64 vcc, |v[82:83]|, s[0:1]
	v_add_f64 v[52:53], v[80:81], -v[52:53]
	v_add_f64 v[52:53], v[70:71], -v[52:53]
	v_cndmask_b32_e32 v83, 0, v85, vcc
	v_cndmask_b32_e32 v82, 0, v84, vcc
	v_add_f64 v[84:85], v[70:71], -v[38:39]
	v_add_f64 v[54:55], v[54:55], -v[84:85]
	;; [unrolled: 1-line block ×4, first 2 shown]
	v_add_f64 v[54:55], v[54:55], v[84:85]
	v_fma_f64 v[38:39], v[66:67], v[20:21], -v[38:39]
	v_mul_f64 v[84:85], v[64:65], v[20:21]
	v_add_f64 v[96:97], v[84:85], v[38:39]
	v_add_f64 v[98:99], v[96:97], v[54:55]
	v_add_f64 v[80:81], v[98:99], -v[96:97]
	v_add_f64 v[54:55], v[54:55], -v[80:81]
	;; [unrolled: 1-line block ×4, first 2 shown]
	v_add_f64 v[54:55], v[54:55], v[80:81]
	v_add_f64 v[80:81], v[96:97], -v[84:85]
	v_add_f64 v[38:39], v[38:39], -v[80:81]
	;; [unrolled: 1-line block ×4, first 2 shown]
	v_add_f64 v[70:71], v[52:53], v[98:99]
	v_add_f64 v[38:39], v[38:39], v[80:81]
	v_add_f64 v[52:53], v[70:71], -v[52:53]
	v_add_f64 v[38:39], v[38:39], v[54:55]
	v_fma_f64 v[20:21], v[64:65], v[20:21], -v[84:85]
	v_add_f64 v[52:53], v[98:99], -v[52:53]
	v_add_f64 v[20:21], v[20:21], v[38:39]
	v_ldexp_f64 v[38:39], v[82:83], 2
	v_add_f64 v[20:21], v[52:53], v[20:21]
	v_add_f64 v[52:53], v[70:71], v[38:39]
	v_mov_b32_e32 v49, 0x40100000
	v_cmp_gt_f64_e32 vcc, 0, v[52:53]
	v_mov_b32_e32 v86, 0
	s_mov_b32 s9, 0x3ff921fb
	v_cndmask_b32_e32 v87, 0, v49, vcc
	v_add_f64 v[38:39], v[38:39], v[86:87]
	v_add_f64 v[52:53], v[70:71], v[38:39]
	v_cvt_i32_f64_e32 v49, v[52:53]
	v_cvt_f64_i32_e32 v[52:53], v49
	v_add_f64 v[38:39], v[38:39], -v[52:53]
	v_add_f64 v[52:53], v[70:71], v[38:39]
	v_add_f64 v[38:39], v[52:53], -v[38:39]
	v_add_f64 v[38:39], v[70:71], -v[38:39]
	v_add_f64 v[20:21], v[20:21], v[38:39]
	v_cmp_le_f64_e32 vcc, 0.5, v[52:53]
	v_mov_b32_e32 v38, 0x3ff00000
	s_nop 0
	v_cndmask_b32_e32 v87, 0, v38, vcc
	v_add_f64 v[38:39], v[52:53], -v[86:87]
	v_add_f64 v[52:53], v[38:39], v[20:21]
	v_addc_co_u32_e64 v49, s[0:1], 0, v49, vcc
	v_add_f64 v[38:39], v[52:53], -v[38:39]
	v_add_f64 v[20:21], v[20:21], -v[38:39]
	v_mul_f64 v[38:39], v[52:53], s[8:9]
	s_mov_b32 s0, 0x33145c07
	v_fma_f64 v[54:55], v[52:53], s[8:9], -v[38:39]
	s_mov_b32 s1, 0x3c91a626
	v_fmac_f64_e32 v[54:55], s[0:1], v[52:53]
	v_fmac_f64_e32 v[54:55], s[8:9], v[20:21]
	v_add_f64 v[20:21], v[38:39], v[54:55]
	v_add_f64 v[38:39], v[20:21], -v[38:39]
	v_add_f64 v[38:39], v[54:55], -v[38:39]
	s_andn2_saveexec_b64 s[0:1], s[10:11]
	s_cbranch_execz .LBB5_275
	s_branch .LBB5_274
.LBB5_273:
	s_andn2_saveexec_b64 s[0:1], s[10:11]
	s_cbranch_execz .LBB5_275
.LBB5_274:
	s_mov_b32 s8, 0x6dc9c883
	s_mov_b32 s9, 0x3fe45f30
	v_mul_f64 v[20:21], |v[10:11]|, s[8:9]
	s_mov_b32 s8, 0x54442d18
	v_rndne_f64_e32 v[52:53], v[20:21]
	s_mov_b32 s9, 0xbff921fb
	v_fma_f64 v[20:21], v[52:53], s[8:9], |v[10:11]|
	s_mov_b32 s9, 0xbc91a626
	s_mov_b32 s8, 0x33145c00
	v_mul_f64 v[54:55], v[52:53], s[8:9]
	v_add_f64 v[80:81], v[20:21], v[54:55]
	v_fma_f64 v[38:39], s[8:9], v[52:53], v[20:21]
	s_mov_b32 s9, 0x3c91a626
	v_add_f64 v[20:21], v[20:21], -v[80:81]
	v_fma_f64 v[70:71], s[8:9], v[52:53], v[54:55]
	v_add_f64 v[20:21], v[20:21], v[54:55]
	v_add_f64 v[54:55], v[80:81], -v[38:39]
	v_add_f64 v[20:21], v[54:55], v[20:21]
	s_mov_b32 s8, 0x252049c0
	v_add_f64 v[54:55], v[20:21], -v[70:71]
	s_mov_b32 s9, 0xb97b839a
	v_fmac_f64_e32 v[54:55], s[8:9], v[52:53]
	v_add_f64 v[20:21], v[38:39], v[54:55]
	v_add_f64 v[38:39], v[20:21], -v[38:39]
	v_add_f64 v[38:39], v[54:55], -v[38:39]
	v_cvt_i32_f64_e32 v49, v[52:53]
.LBB5_275:
	s_or_b64 exec, exec, s[0:1]
                                        ; implicit-def: $vgpr51
                                        ; implicit-def: $vgpr52_vgpr53
                                        ; implicit-def: $vgpr54_vgpr55
	s_and_saveexec_b64 s[0:1], s[6:7]
	s_xor_b64 s[6:7], exec, s[0:1]
	s_cbranch_execz .LBB5_277
; %bb.276:
	s_mov_b32 s0, 0
	s_mov_b32 s1, 0x7b000000
	s_movk_i32 s8, 0xff80
	v_and_b32_e32 v51, 0x7fffffff, v11
	v_ldexp_f64 v[52:53], |v[10:11]|, s8
	v_cmp_ge_f64_e64 vcc, |v[10:11]|, s[0:1]
	s_mov_b32 s0, 0
	s_mov_b32 s1, 0x7ff00000
	v_cndmask_b32_e32 v53, v51, v53, vcc
	v_cndmask_b32_e32 v52, v10, v52, vcc
	v_mul_f64 v[70:71], v[68:69], v[52:53]
	v_mul_f64 v[54:55], v[66:67], v[52:53]
	v_fma_f64 v[68:69], v[68:69], v[52:53], -v[70:71]
	v_add_f64 v[80:81], v[54:55], v[68:69]
	v_add_f64 v[82:83], v[70:71], v[80:81]
	v_ldexp_f64 v[84:85], v[82:83], -2
	v_fract_f64_e32 v[86:87], v[84:85]
	v_cmp_neq_f64_e64 vcc, |v[84:85]|, s[0:1]
	v_add_f64 v[70:71], v[82:83], -v[70:71]
	v_add_f64 v[70:71], v[80:81], -v[70:71]
	v_cndmask_b32_e32 v85, 0, v87, vcc
	v_cndmask_b32_e32 v84, 0, v86, vcc
	v_add_f64 v[86:87], v[80:81], -v[54:55]
	v_add_f64 v[68:69], v[68:69], -v[86:87]
	;; [unrolled: 1-line block ×4, first 2 shown]
	v_fma_f64 v[54:55], v[66:67], v[52:53], -v[54:55]
	v_mul_f64 v[66:67], v[64:65], v[52:53]
	v_add_f64 v[68:69], v[68:69], v[86:87]
	v_add_f64 v[86:87], v[66:67], v[54:55]
	;; [unrolled: 1-line block ×3, first 2 shown]
	v_add_f64 v[82:83], v[98:99], -v[86:87]
	v_add_f64 v[68:69], v[68:69], -v[82:83]
	;; [unrolled: 1-line block ×4, first 2 shown]
	v_add_f64 v[68:69], v[68:69], v[82:83]
	v_add_f64 v[82:83], v[86:87], -v[66:67]
	v_add_f64 v[54:55], v[54:55], -v[82:83]
	;; [unrolled: 1-line block ×4, first 2 shown]
	v_add_f64 v[54:55], v[54:55], v[82:83]
	v_add_f64 v[54:55], v[54:55], v[68:69]
	v_fma_f64 v[52:53], v[64:65], v[52:53], -v[66:67]
	v_add_f64 v[80:81], v[70:71], v[98:99]
	v_add_f64 v[52:53], v[52:53], v[54:55]
	v_ldexp_f64 v[54:55], v[84:85], 2
	v_add_f64 v[64:65], v[80:81], v[54:55]
	v_mov_b32_e32 v51, 0x40100000
	v_cmp_gt_f64_e32 vcc, 0, v[64:65]
	v_mov_b32_e32 v96, 0
	v_add_f64 v[70:71], v[80:81], -v[70:71]
	v_cndmask_b32_e32 v97, 0, v51, vcc
	v_add_f64 v[54:55], v[54:55], v[96:97]
	v_add_f64 v[64:65], v[80:81], v[54:55]
	v_cvt_i32_f64_e32 v51, v[64:65]
	v_cvt_f64_i32_e32 v[64:65], v51
	v_add_f64 v[54:55], v[54:55], -v[64:65]
	v_add_f64 v[64:65], v[80:81], v[54:55]
	v_add_f64 v[70:71], v[98:99], -v[70:71]
	v_add_f64 v[54:55], v[64:65], -v[54:55]
	v_add_f64 v[52:53], v[70:71], v[52:53]
	v_add_f64 v[54:55], v[80:81], -v[54:55]
	v_add_f64 v[52:53], v[52:53], v[54:55]
	v_cmp_le_f64_e32 vcc, 0.5, v[64:65]
	v_mov_b32_e32 v54, 0x3ff00000
	s_mov_b32 s8, 0x33145c07
	v_cndmask_b32_e32 v97, 0, v54, vcc
	v_addc_co_u32_e64 v51, s[0:1], 0, v51, vcc
	v_add_f64 v[54:55], v[64:65], -v[96:97]
	v_add_f64 v[64:65], v[54:55], v[52:53]
	s_mov_b32 s0, 0x54442d18
	v_add_f64 v[54:55], v[64:65], -v[54:55]
	s_mov_b32 s1, 0x3ff921fb
	v_add_f64 v[52:53], v[52:53], -v[54:55]
	v_mul_f64 v[54:55], v[64:65], s[0:1]
	v_fma_f64 v[66:67], v[64:65], s[0:1], -v[54:55]
	s_mov_b32 s9, 0x3c91a626
	v_fmac_f64_e32 v[66:67], s[8:9], v[64:65]
	v_fmac_f64_e32 v[66:67], s[0:1], v[52:53]
	v_add_f64 v[52:53], v[54:55], v[66:67]
	v_add_f64 v[54:55], v[52:53], -v[54:55]
	v_add_f64 v[54:55], v[66:67], -v[54:55]
	s_andn2_saveexec_b64 s[0:1], s[6:7]
	s_cbranch_execnz .LBB5_278
	s_branch .LBB5_279
.LBB5_277:
	s_andn2_saveexec_b64 s[0:1], s[6:7]
	s_cbranch_execz .LBB5_279
.LBB5_278:
	s_mov_b32 s6, 0x6dc9c883
	s_mov_b32 s7, 0x3fe45f30
	v_mul_f64 v[52:53], |v[10:11]|, s[6:7]
	s_mov_b32 s6, 0x54442d18
	v_rndne_f64_e32 v[64:65], v[52:53]
	s_mov_b32 s7, 0xbff921fb
	v_fma_f64 v[52:53], v[64:65], s[6:7], |v[10:11]|
	s_mov_b32 s7, 0xbc91a626
	s_mov_b32 s6, 0x33145c00
	v_mul_f64 v[66:67], v[64:65], s[6:7]
	v_add_f64 v[70:71], v[52:53], v[66:67]
	v_fma_f64 v[54:55], s[6:7], v[64:65], v[52:53]
	s_mov_b32 s7, 0x3c91a626
	v_add_f64 v[52:53], v[52:53], -v[70:71]
	v_fma_f64 v[68:69], s[6:7], v[64:65], v[66:67]
	v_add_f64 v[52:53], v[52:53], v[66:67]
	v_add_f64 v[66:67], v[70:71], -v[54:55]
	v_add_f64 v[52:53], v[66:67], v[52:53]
	s_mov_b32 s6, 0x252049c0
	v_add_f64 v[66:67], v[52:53], -v[68:69]
	s_mov_b32 s7, 0xb97b839a
	v_fmac_f64_e32 v[66:67], s[6:7], v[64:65]
	v_add_f64 v[52:53], v[54:55], v[66:67]
	v_add_f64 v[54:55], v[52:53], -v[54:55]
	v_add_f64 v[54:55], v[66:67], -v[54:55]
	v_cvt_i32_f64_e32 v51, v[64:65]
.LBB5_279:
	s_or_b64 exec, exec, s[0:1]
	s_mov_b32 s0, 0
	v_mul_f64 v[64:65], v[12:13], v[12:13]
	s_mov_b32 s1, 0x40390000
	v_div_scale_f64 v[66:67], s[6:7], v[64:65], v[64:65], s[0:1]
	v_rcp_f64_e32 v[68:69], v[66:67]
	v_mov_b32_e32 v82, 0xb1759c7f
	v_mov_b32_e32 v83, 0x408ac370
	;; [unrolled: 1-line block ×3, first 2 shown]
	v_fma_f64 v[70:71], -v[66:67], v[68:69], 1.0
	v_fmac_f64_e32 v[68:69], v[68:69], v[70:71]
	v_fma_f64 v[70:71], -v[66:67], v[68:69], 1.0
	v_fmac_f64_e32 v[68:69], v[68:69], v[70:71]
	v_div_scale_f64 v[70:71], vcc, s[0:1], v[64:65], s[0:1]
	v_mul_f64 v[80:81], v[70:71], v[68:69]
	v_fma_f64 v[66:67], -v[66:67], v[80:81], v[70:71]
	v_mov_b32_e32 v70, 0xab5454e3
	s_nop 0
	v_div_fmas_f64 v[66:67], v[66:67], v[68:69], v[80:81]
	v_div_fixup_f64 v[64:65], v[66:67], v[64:65], s[0:1]
	v_mov_b32_e32 v66, 0x983b6b27
	v_mov_b32_e32 v67, 0x3f4a1d30
	v_fmac_f64_e32 v[66:67], 0, v[64:65]
	v_mov_b32_e32 v68, 0xb35dd1cf
	v_mov_b32_e32 v69, 0x3fb534b0
	v_fmac_f64_e32 v[68:69], v[64:65], v[66:67]
	;; [unrolled: 3-line block ×7, first 2 shown]
	v_mov_b32_e32 v71, 0x3fb5ebc5
	v_fmac_f64_e32 v[70:71], v[64:65], v[66:67]
	v_mov_b32_e32 v66, 0xc9b3069f
	v_mov_b32_e32 v67, 0x3ff40e72
	v_fmac_f64_e32 v[66:67], v[64:65], v[70:71]
	v_mov_b32_e32 v70, 0xe68162bb
	;; [unrolled: 3-line block ×4, first 2 shown]
	v_mov_b32_e32 v71, 0x40153965
	v_fmac_f64_e32 v[70:71], v[64:65], v[66:67]
	v_fma_f64 v[66:67], v[64:65], v[70:71], 1.0
	v_mov_b32_e32 v70, 0x38a5384a
	v_mov_b32_e32 v71, 0xbf874742
	v_fmac_f64_e32 v[70:71], 0, v[64:65]
	v_mov_b32_e32 v80, 0x3a321174
	v_mov_b32_e32 v81, 0xbff4853b
	v_fmac_f64_e32 v[80:81], v[64:65], v[70:71]
	;; [unrolled: 3-line block ×9, first 2 shown]
	v_fmac_f64_e32 v[82:83], v[64:65], v[70:71]
	v_mov_b32_e32 v70, 0xbd748cb5
	v_mov_b32_e32 v71, 0x40ae54cd
	v_fmac_f64_e32 v[70:71], v[64:65], v[82:83]
	v_mov_b32_e32 v82, 0xbdefd63e
	v_mov_b32_e32 v83, 0x40bc4877
	v_fmac_f64_e32 v[82:83], v[64:65], v[70:71]
	v_mov_b32_e32 v70, 0x1d733b11
	v_mov_b32_e32 v71, 0x40b72aba
	v_fmac_f64_e32 v[70:71], v[64:65], v[82:83]
	v_mov_b32_e32 v82, 0xc7319e82
	v_mov_b32_e32 v83, 0x40a01c2f
	v_fma_f64 v[68:69], v[64:65], v[68:69], 1.0
	v_fmac_f64_e32 v[82:83], v[64:65], v[70:71]
	v_div_scale_f64 v[70:71], s[0:1], v[66:67], v[66:67], v[68:69]
	v_rcp_f64_e32 v[84:85], v[70:71]
	v_mov_b32_e32 v87, 0x406e402f
	v_fmac_f64_e32 v[86:87], v[64:65], v[82:83]
	s_mov_b32 s0, 0x9037ab78
	v_fma_f64 v[64:65], -v[70:71], v[84:85], 1.0
	v_fmac_f64_e32 v[84:85], v[84:85], v[64:65]
	v_fma_f64 v[64:65], -v[70:71], v[84:85], 1.0
	v_fmac_f64_e32 v[84:85], v[84:85], v[64:65]
	v_div_scale_f64 v[64:65], vcc, v[68:69], v[66:67], v[68:69]
	v_mul_f64 v[82:83], v[64:65], v[84:85]
	v_fma_f64 v[64:65], -v[70:71], v[82:83], v[64:65]
	s_mov_b32 s1, 0x3e21eeb6
	s_nop 0
	v_div_fmas_f64 v[64:65], v[64:65], v[84:85], v[82:83]
	s_mov_b32 s6, 0x46cc5e42
	v_div_fixup_f64 v[64:65], v[64:65], v[66:67], v[68:69]
	v_mul_f64 v[66:67], v[20:21], v[20:21]
	s_mov_b32 s7, 0xbda907db
	v_mov_b64_e32 v[84:85], s[0:1]
	s_mov_b32 s8, 0xa17f65f6
	v_mul_f64 v[68:69], v[66:67], 0.5
	v_fma_f64 v[96:97], s[6:7], v[66:67], v[84:85]
	s_mov_b32 s9, 0xbe927e4f
	s_mov_b32 s10, 0x19f4ec90
	v_add_f64 v[70:71], -v[68:69], 1.0
	v_fma_f64 v[96:97], v[66:67], v[96:97], s[8:9]
	s_mov_b32 s11, 0x3efa01a0
	s_mov_b32 s12, 0x16c16967
	v_add_f64 v[82:83], -v[70:71], 1.0
	v_fma_f64 v[96:97], v[66:67], v[96:97], s[10:11]
	s_mov_b32 s13, 0xbf56c16c
	s_mov_b32 s14, 0x55555555
	v_add_f64 v[68:69], v[82:83], -v[68:69]
	v_fma_f64 v[96:97], v[66:67], v[96:97], s[12:13]
	s_mov_b32 s15, 0x3fa55555
	v_mul_f64 v[82:83], v[66:67], v[66:67]
	v_fma_f64 v[96:97], v[66:67], v[96:97], s[14:15]
	v_fma_f64 v[68:69], v[20:21], -v[38:39], v[68:69]
	s_mov_b32 s0, 0xb42fdfa7
	v_fmac_f64_e32 v[68:69], v[82:83], v[96:97]
	s_mov_b32 s1, 0xbe5ae600
	s_mov_b32 s16, 0xf9a43bb8
	v_add_f64 v[68:69], v[70:71], v[68:69]
	s_mov_b32 s17, 0x3de5e0b2
	v_mov_b64_e32 v[70:71], s[0:1]
	s_mov_b32 s18, 0x796cde01
	v_fma_f64 v[82:83], s[16:17], v[66:67], v[70:71]
	s_mov_b32 s19, 0x3ec71de3
	s_mov_b32 s20, 0x19e83e5c
	v_fma_f64 v[82:83], v[66:67], v[82:83], s[18:19]
	s_mov_b32 s21, 0xbf2a01a0
	;; [unrolled: 3-line block ×3, first 2 shown]
	v_fma_f64 v[82:83], v[66:67], v[82:83], s[22:23]
	v_mul_f64 v[96:97], v[20:21], -v[66:67]
	v_mul_f64 v[98:99], v[38:39], 0.5
	v_fmac_f64_e32 v[98:99], v[96:97], v[82:83]
	v_fma_f64 v[38:39], v[66:67], v[98:99], -v[38:39]
	s_mov_b32 s25, 0xbfc55555
	s_mov_b32 s24, s14
	v_fmac_f64_e32 v[38:39], s[24:25], v[96:97]
	v_add_f64 v[20:21], v[20:21], -v[38:39]
	v_and_b32_e32 v38, 1, v49
	v_cmp_eq_u32_e32 vcc, 0, v38
	s_mov_b32 s26, 0
	s_mov_b32 s27, 0x40140000
	v_cndmask_b32_e32 v66, v68, v20, vcc
	v_cndmask_b32_e32 v20, v69, v21, vcc
	v_lshlrev_b32_e32 v21, 30, v49
	v_xor_b32_e32 v21, v21, v11
	v_and_b32_e32 v21, 0x80000000, v21
	v_xor_b32_e32 v49, v20, v21
	v_div_scale_f64 v[20:21], s[0:1], v[12:13], v[12:13], s[26:27]
	v_rcp_f64_e32 v[38:39], v[20:21]
	s_movk_i32 s28, 0x1f8
	v_cmp_class_f64_e64 s[0:1], v[10:11], s28
	v_mov_b32_e32 v96, 0x7ff80000
	s_nop 0
	v_cndmask_b32_e64 v10, 0, v66, s[0:1]
	v_fma_f64 v[66:67], -v[20:21], v[38:39], 1.0
	v_fmac_f64_e32 v[38:39], v[38:39], v[66:67]
	v_fma_f64 v[66:67], -v[20:21], v[38:39], 1.0
	v_fmac_f64_e32 v[38:39], v[38:39], v[66:67]
	v_div_scale_f64 v[66:67], vcc, s[26:27], v[12:13], s[26:27]
	v_mul_f64 v[68:69], v[66:67], v[38:39]
	v_fma_f64 v[20:21], -v[20:21], v[68:69], v[66:67]
	v_div_scale_f64 v[66:67], s[28:29], v[86:87], v[86:87], v[80:81]
	v_rcp_f64_e32 v[82:83], v[66:67]
	v_div_fmas_f64 v[20:21], v[20:21], v[38:39], v[68:69]
	v_div_fixup_f64 v[20:21], v[20:21], v[12:13], s[26:27]
	v_cndmask_b32_e64 v11, v96, v49, s[0:1]
	v_fma_f64 v[38:39], -v[66:67], v[82:83], 1.0
	v_fmac_f64_e32 v[82:83], v[82:83], v[38:39]
	v_fma_f64 v[38:39], -v[66:67], v[82:83], 1.0
	v_fmac_f64_e32 v[82:83], v[82:83], v[38:39]
	v_div_scale_f64 v[38:39], vcc, v[80:81], v[86:87], v[80:81]
	v_mul_f64 v[68:69], v[38:39], v[82:83]
	v_fma_f64 v[38:39], -v[66:67], v[68:69], v[38:39]
	v_and_b32_e32 v49, 1, v51
	s_nop 0
	v_div_fmas_f64 v[38:39], v[38:39], v[82:83], v[68:69]
	v_div_fixup_f64 v[38:39], v[38:39], v[86:87], v[80:81]
	v_mul_f64 v[20:21], v[20:21], v[38:39]
	v_mul_f64 v[38:39], v[52:53], v[52:53]
	v_mul_f64 v[66:67], v[38:39], 0.5
	v_fmac_f64_e32 v[84:85], s[6:7], v[38:39]
	v_add_f64 v[68:69], -v[66:67], 1.0
	v_fma_f64 v[82:83], v[38:39], v[84:85], s[8:9]
	v_add_f64 v[80:81], -v[68:69], 1.0
	v_fma_f64 v[82:83], v[38:39], v[82:83], s[10:11]
	v_add_f64 v[66:67], v[80:81], -v[66:67]
	v_fma_f64 v[82:83], v[38:39], v[82:83], s[12:13]
	v_mul_f64 v[80:81], v[38:39], v[38:39]
	v_fma_f64 v[82:83], v[38:39], v[82:83], s[14:15]
	v_fma_f64 v[66:67], v[52:53], -v[54:55], v[66:67]
	v_fmac_f64_e32 v[66:67], v[80:81], v[82:83]
	v_fmac_f64_e32 v[70:71], s[16:17], v[38:39]
	v_add_f64 v[66:67], v[68:69], v[66:67]
	v_fma_f64 v[68:69], v[38:39], v[70:71], s[18:19]
	v_fma_f64 v[68:69], v[38:39], v[68:69], s[20:21]
	;; [unrolled: 1-line block ×3, first 2 shown]
	v_mul_f64 v[70:71], v[52:53], -v[38:39]
	v_mul_f64 v[80:81], v[54:55], 0.5
	v_fmac_f64_e32 v[80:81], v[70:71], v[68:69]
	v_fma_f64 v[38:39], v[38:39], v[80:81], -v[54:55]
	v_fmac_f64_e32 v[38:39], s[24:25], v[70:71]
	v_add_f64 v[38:39], v[52:53], -v[38:39]
	v_xor_b32_e32 v39, 0x80000000, v39
	v_cmp_eq_u32_e32 vcc, 0, v49
	v_lshlrev_b32_e32 v49, 30, v51
	v_and_b32_e32 v49, 0x80000000, v49
	v_cndmask_b32_e32 v39, v39, v67, vcc
	v_cndmask_b32_e32 v38, v38, v66, vcc
	v_xor_b32_e32 v39, v39, v49
	v_cndmask_b32_e64 v38, 0, v38, s[0:1]
	v_cndmask_b32_e64 v39, v96, v39, s[0:1]
	s_mov_b32 s0, 0
	s_brev_b32 s1, 8
	v_mul_f64 v[20:21], v[20:21], v[38:39]
	v_cmp_gt_f64_e32 vcc, s[0:1], v[12:13]
	v_fmac_f64_e32 v[20:21], v[64:65], v[10:11]
	s_mov_b32 s0, 0x33d43651
	v_cndmask_b32_e64 v10, 0, 1, vcc
	v_lshlrev_b32_e32 v10, 8, v10
	v_ldexp_f64 v[10:11], v[12:13], v10
	v_rsq_f64_e32 v[12:13], v[10:11]
	s_mov_b32 s1, 0x3fe98845
	v_mul_f64 v[20:21], v[20:21], s[0:1]
	v_mul_f64 v[38:39], v[10:11], v[12:13]
	v_mul_f64 v[12:13], v[12:13], 0.5
	v_fma_f64 v[52:53], -v[12:13], v[38:39], 0.5
	v_fmac_f64_e32 v[38:39], v[38:39], v[52:53]
	v_fma_f64 v[54:55], -v[38:39], v[38:39], v[10:11]
	v_fmac_f64_e32 v[12:13], v[12:13], v[52:53]
	v_fmac_f64_e32 v[38:39], v[54:55], v[12:13]
	v_fma_f64 v[52:53], -v[38:39], v[38:39], v[10:11]
	v_fmac_f64_e32 v[38:39], v[52:53], v[12:13]
	v_mov_b32_e32 v12, 0xffffff80
	v_cndmask_b32_e32 v12, 0, v12, vcc
	v_ldexp_f64 v[12:13], v[38:39], v12
	v_mov_b32_e32 v38, 0x260
	v_cmp_class_f64_e32 vcc, v[10:11], v38
	s_nop 1
	v_cndmask_b32_e32 v11, v13, v11, vcc
	v_cndmask_b32_e32 v10, v12, v10, vcc
	v_div_scale_f64 v[12:13], s[0:1], v[10:11], v[10:11], v[20:21]
	v_rcp_f64_e32 v[38:39], v[12:13]
	s_nop 0
	v_fma_f64 v[52:53], -v[12:13], v[38:39], 1.0
	v_fmac_f64_e32 v[38:39], v[38:39], v[52:53]
	v_fma_f64 v[52:53], -v[12:13], v[38:39], 1.0
	v_fmac_f64_e32 v[38:39], v[38:39], v[52:53]
	v_div_scale_f64 v[52:53], vcc, v[20:21], v[10:11], v[20:21]
	v_mul_f64 v[54:55], v[52:53], v[38:39]
	v_fma_f64 v[12:13], -v[12:13], v[54:55], v[52:53]
	s_nop 1
	v_div_fmas_f64 v[12:13], v[12:13], v[38:39], v[54:55]
	v_div_fixup_f64 v[20:21], v[12:13], v[10:11], v[20:21]
.LBB5_280:
	s_or_b64 exec, exec, s[4:5]
	s_mov_b32 s0, 0
	s_mov_b32 s1, 0x40140000
	v_cmp_ge_f64_e32 vcc, s[0:1], v[2:3]
                                        ; implicit-def: $vgpr10_vgpr11
	s_and_saveexec_b64 s[0:1], vcc
	s_xor_b64 s[0:1], exec, s[0:1]
	s_cbranch_execz .LBB5_290
; %bb.281:
	v_mov_b32_e32 v10, 0
	v_cmp_neq_f64_e32 vcc, 0, v[2:3]
	v_mov_b32_e32 v11, 0xfff00000
	s_and_saveexec_b64 s[4:5], vcc
	s_cbranch_execz .LBB5_289
; %bb.282:
	v_mov_b32_e32 v10, 0
	v_cmp_ngt_f64_e32 vcc, 0, v[2:3]
	v_mov_b32_e32 v11, 0x7ff80000
	s_and_saveexec_b64 s[6:7], vcc
	s_cbranch_execz .LBB5_288
; %bb.283:
	s_mov_b32 s8, 0x88e368f1
	v_mul_f64 v[10:11], v[2:3], v[2:3]
	s_mov_b32 s9, 0x3ee4f8b5
	v_mul_f64 v[38:39], v[10:11], 0
	v_cmp_ngt_f64_e32 vcc, s[8:9], v[2:3]
                                        ; implicit-def: $vgpr12_vgpr13
	s_and_saveexec_b64 s[8:9], vcc
	s_xor_b64 s[8:9], exec, s[8:9]
	s_cbranch_execz .LBB5_285
; %bb.284:
	s_mov_b32 s10, 0xad1c8325
	s_mov_b32 s11, 0xc1f1dc53
	v_add_f64 v[12:13], v[38:39], s[10:11]
	v_mov_b32_e32 v52, 0xc772990d
	v_mov_b32_e32 v53, 0x427c7751
	s_mov_b32 s10, 0xa696b78c
	v_fmac_f64_e32 v[52:53], v[10:11], v[12:13]
	v_mov_b32_e32 v12, 0xe0d900f7
	v_mov_b32_e32 v13, 0xc2ec5614
	s_mov_b32 s11, 0x407f3902
	v_fmac_f64_e32 v[12:13], v[10:11], v[52:53]
	v_add_f64 v[52:53], v[38:39], s[10:11]
	v_mov_b32_e32 v54, 0x36a21a67
	v_mov_b32_e32 v55, 0x410536cb
	v_fmac_f64_e32 v[54:55], v[10:11], v[52:53]
	v_mov_b32_e32 v52, 0x2eac0634
	v_mov_b32_e32 v53, 0x41871934
	v_fmac_f64_e32 v[52:53], v[10:11], v[54:55]
	;; [unrolled: 3-line block ×6, first 2 shown]
	v_mov_b32_e32 v54, 0xc7b662cc
	v_mov_b32_e32 v55, 0x43b7be34
	s_mov_b32 s10, 0x80462bbb
	v_fmac_f64_e32 v[54:55], v[10:11], v[52:53]
	v_mov_b32_e32 v52, 0x69ff5fb4
	v_mov_b32_e32 v53, 0x43413ef8
	s_mov_b32 s11, 0xc01721fb
	v_fmac_f64_e32 v[52:53], v[10:11], v[12:13]
	v_add_f64 v[12:13], v[10:11], s[10:11]
	s_mov_b32 s10, 0xa621dd6f
	s_mov_b32 s11, 0xc03e78a4
	v_add_f64 v[64:65], v[10:11], s[10:11]
	v_mul_f64 v[12:13], v[12:13], v[64:65]
	v_mul_f64 v[12:13], v[12:13], v[52:53]
	v_div_scale_f64 v[52:53], s[10:11], v[54:55], v[54:55], v[12:13]
	v_rcp_f64_e32 v[64:65], v[52:53]
	s_nop 0
	v_fma_f64 v[66:67], -v[52:53], v[64:65], 1.0
	v_fmac_f64_e32 v[64:65], v[64:65], v[66:67]
	v_fma_f64 v[66:67], -v[52:53], v[64:65], 1.0
	v_fmac_f64_e32 v[64:65], v[64:65], v[66:67]
	v_div_scale_f64 v[66:67], vcc, v[12:13], v[54:55], v[12:13]
	v_mul_f64 v[68:69], v[66:67], v[64:65]
	v_fma_f64 v[52:53], -v[52:53], v[68:69], v[66:67]
	s_nop 1
	v_div_fmas_f64 v[52:53], v[52:53], v[64:65], v[68:69]
	v_div_fixup_f64 v[12:13], v[52:53], v[54:55], v[12:13]
.LBB5_285:
	s_andn2_saveexec_b64 s[8:9], s[8:9]
; %bb.286:
	s_mov_b32 s10, 0
	s_mov_b32 s11, 0xbfd00000
	v_fma_f64 v[12:13], v[10:11], s[10:11], 1.0
; %bb.287:
	s_or_b64 exec, exec, s[8:9]
	s_mov_b32 s8, 0xe896898f
	s_mov_b32 s9, 0x40ce7437
	v_add_f64 v[52:53], v[38:39], s[8:9]
	v_mov_b32_e32 v54, 0x32e48896
	v_mov_b32_e32 v55, 0xc16bf81f
	v_fmac_f64_e32 v[54:55], v[10:11], v[52:53]
	v_mov_b32_e32 v52, 0xf0284cdd
	v_mov_b32_e32 v53, 0x41f43f78
	v_fmac_f64_e32 v[52:53], v[10:11], v[54:55]
	;; [unrolled: 3-line block ×4, first 2 shown]
	v_mov_b32_e32 v54, 0xd1d8cc02
	v_mov_b32_e32 v55, 0xc328a121
	s_mov_b32 s8, 0x576dfcb6
	v_fmac_f64_e32 v[54:55], v[10:11], v[52:53]
	v_mov_b32_e32 v52, 0x660b4003
	v_mov_b32_e32 v53, 0x4363a94b
	s_mov_b32 s9, 0x40904522
	v_fmac_f64_e32 v[52:53], v[10:11], v[54:55]
	v_add_f64 v[38:39], v[38:39], s[8:9]
	v_mov_b32_e32 v54, 0xa907bc0c
	v_mov_b32_e32 v55, 0x41231b76
	v_fmac_f64_e32 v[54:55], v[10:11], v[38:39]
	v_mov_b32_e32 v38, 0x5164d101
	v_mov_b32_e32 v39, 0x41b00763
	v_fmac_f64_e32 v[38:39], v[10:11], v[54:55]
	;; [unrolled: 3-line block ×7, first 2 shown]
	v_div_scale_f64 v[10:11], s[8:9], v[38:39], v[38:39], v[54:55]
	v_rcp_f64_e32 v[52:53], v[10:11]
	s_mov_b32 s8, 0x55555555
	s_mov_b32 s9, 0x3fe55555
	v_mov_b32_e32 v51, 0x3ff00000
	v_fma_f64 v[64:65], -v[10:11], v[52:53], 1.0
	v_fmac_f64_e32 v[52:53], v[52:53], v[64:65]
	v_fma_f64 v[64:65], -v[10:11], v[52:53], 1.0
	v_fmac_f64_e32 v[52:53], v[52:53], v[64:65]
	v_div_scale_f64 v[64:65], vcc, v[54:55], v[38:39], v[54:55]
	v_mul_f64 v[66:67], v[64:65], v[52:53]
	v_fma_f64 v[10:11], -v[10:11], v[66:67], v[64:65]
	v_frexp_exp_i32_f64_e32 v49, v[2:3]
	s_nop 0
	v_div_fmas_f64 v[10:11], v[10:11], v[52:53], v[66:67]
	v_div_fixup_f64 v[10:11], v[10:11], v[38:39], v[54:55]
	v_frexp_mant_f64_e32 v[38:39], v[2:3]
	v_cmp_gt_f64_e32 vcc, s[8:9], v[38:39]
	v_mov_b32_e32 v52, 0
	s_mov_b32 s8, 0xbf559e2b
	v_cndmask_b32_e64 v53, v51, 2.0, vcc
	v_mul_f64 v[38:39], v[38:39], v[52:53]
	v_add_f64 v[52:53], v[38:39], 1.0
	v_rcp_f64_e32 v[54:55], v[52:53]
	v_add_f64 v[66:67], v[52:53], -1.0
	v_add_f64 v[64:65], v[38:39], -1.0
	v_add_f64 v[38:39], v[38:39], -v[66:67]
	v_fma_f64 v[66:67], -v[52:53], v[54:55], 1.0
	v_fmac_f64_e32 v[54:55], v[66:67], v[54:55]
	v_fma_f64 v[66:67], -v[52:53], v[54:55], 1.0
	v_fmac_f64_e32 v[54:55], v[66:67], v[54:55]
	v_mul_f64 v[66:67], v[64:65], v[54:55]
	v_mul_f64 v[68:69], v[52:53], v[66:67]
	v_fma_f64 v[52:53], v[66:67], v[52:53], -v[68:69]
	v_fmac_f64_e32 v[52:53], v[66:67], v[38:39]
	v_add_f64 v[38:39], v[68:69], v[52:53]
	v_add_f64 v[70:71], v[64:65], -v[38:39]
	v_add_f64 v[68:69], v[38:39], -v[68:69]
	;; [unrolled: 1-line block ×5, first 2 shown]
	v_add_f64 v[38:39], v[52:53], v[38:39]
	v_add_f64 v[38:39], v[70:71], v[38:39]
	v_mul_f64 v[38:39], v[54:55], v[38:39]
	v_add_f64 v[52:53], v[66:67], v[38:39]
	v_add_f64 v[54:55], v[52:53], -v[66:67]
	v_add_f64 v[38:39], v[38:39], -v[54:55]
	v_mul_f64 v[54:55], v[52:53], v[52:53]
	v_mov_b32_e32 v64, 0x6b47b09a
	v_mov_b32_e32 v65, 0x3fc38538
	s_mov_b32 s9, 0x3fc3ab76
	v_fmac_f64_e32 v[64:65], s[8:9], v[54:55]
	v_mov_b32_e32 v66, 0xd7f4df2e
	v_mov_b32_e32 v67, 0x3fc7474d
	v_fmac_f64_e32 v[66:67], v[54:55], v[64:65]
	v_mov_b32_e32 v64, 0x16291751
	v_mov_b32_e32 v65, 0x3fcc71c0
	;; [unrolled: 3-line block ×5, first 2 shown]
	v_fmac_f64_e32 v[66:67], v[54:55], v[64:65]
	v_ldexp_f64 v[64:65], v[52:53], 1
	v_mul_f64 v[52:53], v[52:53], v[54:55]
	v_mul_f64 v[52:53], v[52:53], v[66:67]
	v_add_f64 v[54:55], v[64:65], v[52:53]
	v_add_f64 v[64:65], v[54:55], -v[64:65]
	v_ldexp_f64 v[38:39], v[38:39], 1
	v_add_f64 v[52:53], v[52:53], -v[64:65]
	v_add_f64 v[38:39], v[38:39], v[52:53]
	v_add_f64 v[52:53], v[54:55], v[38:39]
	v_subbrev_co_u32_e32 v49, vcc, 0, v49, vcc
	v_add_f64 v[54:55], v[52:53], -v[54:55]
	s_mov_b32 s8, 0xfefa39ef
	v_add_f64 v[38:39], v[38:39], -v[54:55]
	v_cvt_f64_i32_e32 v[54:55], v49
	s_mov_b32 s9, 0x3fe62e42
	v_mul_f64 v[64:65], v[54:55], s[8:9]
	v_fma_f64 v[66:67], v[54:55], s[8:9], -v[64:65]
	s_mov_b32 s8, 0x3b39803f
	s_mov_b32 s9, 0x3c7abc9e
	v_fmac_f64_e32 v[66:67], s[8:9], v[54:55]
	v_add_f64 v[54:55], v[64:65], v[66:67]
	v_add_f64 v[64:65], v[54:55], -v[64:65]
	v_add_f64 v[64:65], v[66:67], -v[64:65]
	v_add_f64 v[66:67], v[54:55], v[52:53]
	v_add_f64 v[68:69], v[66:67], -v[54:55]
	v_add_f64 v[70:71], v[66:67], -v[68:69]
	;; [unrolled: 1-line block ×4, first 2 shown]
	v_add_f64 v[52:53], v[52:53], v[54:55]
	v_add_f64 v[54:55], v[64:65], v[38:39]
	v_add_f64 v[68:69], v[54:55], -v[64:65]
	v_add_f64 v[70:71], v[54:55], -v[68:69]
	v_add_f64 v[52:53], v[54:55], v[52:53]
	v_add_f64 v[64:65], v[64:65], -v[70:71]
	v_add_f64 v[38:39], v[38:39], -v[68:69]
	v_add_f64 v[54:55], v[66:67], v[52:53]
	v_add_f64 v[38:39], v[38:39], v[64:65]
	v_add_f64 v[64:65], v[54:55], -v[66:67]
	v_add_f64 v[52:53], v[52:53], -v[64:65]
	v_add_f64 v[38:39], v[38:39], v[52:53]
	s_mov_b32 s8, 0x6dc9c883
	v_add_f64 v[38:39], v[54:55], v[38:39]
	s_mov_b32 s9, 0x3fe45f30
	v_mul_f64 v[38:39], v[38:39], s[8:9]
	v_fmac_f64_e32 v[10:11], v[38:39], v[12:13]
.LBB5_288:
	s_or_b64 exec, exec, s[6:7]
.LBB5_289:
	s_or_b64 exec, exec, s[4:5]
.LBB5_290:
	s_andn2_saveexec_b64 s[4:5], s[0:1]
	s_cbranch_execz .LBB5_300
; %bb.291:
	s_mov_b32 s9, 0xbfe921fb
	s_mov_b32 s8, 0x54442d18
	;; [unrolled: 1-line block ×3, first 2 shown]
	v_add_f64 v[10:11], v[2:3], s[8:9]
	s_mov_b32 s1, 0x41d00000
	v_cmp_nlt_f64_e64 s[6:7], |v[10:11]|, s[0:1]
	v_trig_preop_f64 v[68:69], |v[10:11]|, 0
	v_trig_preop_f64 v[66:67], |v[10:11]|, 1
	v_trig_preop_f64 v[64:65], |v[10:11]|, 2
                                        ; implicit-def: $vgpr49
                                        ; implicit-def: $vgpr12_vgpr13
                                        ; implicit-def: $vgpr38_vgpr39
	s_and_saveexec_b64 s[0:1], s[6:7]
	s_xor_b64 s[10:11], exec, s[0:1]
	s_cbranch_execz .LBB5_293
; %bb.292:
	s_mov_b32 s0, 0
	s_mov_b32 s1, 0x7b000000
	s_movk_i32 s9, 0xff80
	v_and_b32_e32 v38, 0x7fffffff, v11
	v_ldexp_f64 v[12:13], |v[10:11]|, s9
	v_cmp_ge_f64_e64 vcc, |v[10:11]|, s[0:1]
	s_mov_b32 s0, 0
	s_mov_b32 s1, 0x7ff00000
	v_cndmask_b32_e32 v13, v38, v13, vcc
	v_cndmask_b32_e32 v12, v10, v12, vcc
	v_mul_f64 v[52:53], v[68:69], v[12:13]
	v_mul_f64 v[38:39], v[66:67], v[12:13]
	v_fma_f64 v[54:55], v[68:69], v[12:13], -v[52:53]
	v_add_f64 v[70:71], v[38:39], v[54:55]
	v_add_f64 v[80:81], v[52:53], v[70:71]
	v_ldexp_f64 v[82:83], v[80:81], -2
	v_fract_f64_e32 v[84:85], v[82:83]
	v_cmp_neq_f64_e64 vcc, |v[82:83]|, s[0:1]
	v_add_f64 v[52:53], v[80:81], -v[52:53]
	v_add_f64 v[52:53], v[70:71], -v[52:53]
	v_cndmask_b32_e32 v83, 0, v85, vcc
	v_cndmask_b32_e32 v82, 0, v84, vcc
	v_add_f64 v[84:85], v[70:71], -v[38:39]
	v_add_f64 v[54:55], v[54:55], -v[84:85]
	;; [unrolled: 1-line block ×4, first 2 shown]
	v_add_f64 v[54:55], v[54:55], v[84:85]
	v_fma_f64 v[38:39], v[66:67], v[12:13], -v[38:39]
	v_mul_f64 v[84:85], v[64:65], v[12:13]
	v_add_f64 v[96:97], v[84:85], v[38:39]
	v_add_f64 v[98:99], v[96:97], v[54:55]
	v_add_f64 v[80:81], v[98:99], -v[96:97]
	v_add_f64 v[54:55], v[54:55], -v[80:81]
	;; [unrolled: 1-line block ×4, first 2 shown]
	v_add_f64 v[54:55], v[54:55], v[80:81]
	v_add_f64 v[80:81], v[96:97], -v[84:85]
	v_add_f64 v[38:39], v[38:39], -v[80:81]
	;; [unrolled: 1-line block ×4, first 2 shown]
	v_add_f64 v[70:71], v[52:53], v[98:99]
	v_add_f64 v[38:39], v[38:39], v[80:81]
	v_add_f64 v[52:53], v[70:71], -v[52:53]
	v_add_f64 v[38:39], v[38:39], v[54:55]
	v_fma_f64 v[12:13], v[64:65], v[12:13], -v[84:85]
	v_add_f64 v[52:53], v[98:99], -v[52:53]
	v_add_f64 v[12:13], v[12:13], v[38:39]
	v_ldexp_f64 v[38:39], v[82:83], 2
	v_add_f64 v[12:13], v[52:53], v[12:13]
	v_add_f64 v[52:53], v[70:71], v[38:39]
	v_mov_b32_e32 v49, 0x40100000
	v_cmp_gt_f64_e32 vcc, 0, v[52:53]
	v_mov_b32_e32 v86, 0
	s_mov_b32 s9, 0x3ff921fb
	v_cndmask_b32_e32 v87, 0, v49, vcc
	v_add_f64 v[38:39], v[38:39], v[86:87]
	v_add_f64 v[52:53], v[70:71], v[38:39]
	v_cvt_i32_f64_e32 v49, v[52:53]
	v_cvt_f64_i32_e32 v[52:53], v49
	v_add_f64 v[38:39], v[38:39], -v[52:53]
	v_add_f64 v[52:53], v[70:71], v[38:39]
	v_add_f64 v[38:39], v[52:53], -v[38:39]
	v_add_f64 v[38:39], v[70:71], -v[38:39]
	v_add_f64 v[12:13], v[12:13], v[38:39]
	v_cmp_le_f64_e32 vcc, 0.5, v[52:53]
	v_mov_b32_e32 v38, 0x3ff00000
	s_nop 0
	v_cndmask_b32_e32 v87, 0, v38, vcc
	v_add_f64 v[38:39], v[52:53], -v[86:87]
	v_add_f64 v[52:53], v[38:39], v[12:13]
	v_addc_co_u32_e64 v49, s[0:1], 0, v49, vcc
	v_add_f64 v[38:39], v[52:53], -v[38:39]
	v_add_f64 v[12:13], v[12:13], -v[38:39]
	v_mul_f64 v[38:39], v[52:53], s[8:9]
	s_mov_b32 s0, 0x33145c07
	v_fma_f64 v[54:55], v[52:53], s[8:9], -v[38:39]
	s_mov_b32 s1, 0x3c91a626
	v_fmac_f64_e32 v[54:55], s[0:1], v[52:53]
	v_fmac_f64_e32 v[54:55], s[8:9], v[12:13]
	v_add_f64 v[12:13], v[38:39], v[54:55]
	v_add_f64 v[38:39], v[12:13], -v[38:39]
	v_add_f64 v[38:39], v[54:55], -v[38:39]
	s_andn2_saveexec_b64 s[0:1], s[10:11]
	s_cbranch_execz .LBB5_295
	s_branch .LBB5_294
.LBB5_293:
	s_andn2_saveexec_b64 s[0:1], s[10:11]
	s_cbranch_execz .LBB5_295
.LBB5_294:
	s_mov_b32 s8, 0x6dc9c883
	s_mov_b32 s9, 0x3fe45f30
	v_mul_f64 v[12:13], |v[10:11]|, s[8:9]
	s_mov_b32 s8, 0x54442d18
	v_rndne_f64_e32 v[52:53], v[12:13]
	s_mov_b32 s9, 0xbff921fb
	v_fma_f64 v[12:13], v[52:53], s[8:9], |v[10:11]|
	s_mov_b32 s9, 0xbc91a626
	s_mov_b32 s8, 0x33145c00
	v_mul_f64 v[54:55], v[52:53], s[8:9]
	v_add_f64 v[80:81], v[12:13], v[54:55]
	v_fma_f64 v[38:39], s[8:9], v[52:53], v[12:13]
	s_mov_b32 s9, 0x3c91a626
	v_add_f64 v[12:13], v[12:13], -v[80:81]
	v_fma_f64 v[70:71], s[8:9], v[52:53], v[54:55]
	v_add_f64 v[12:13], v[12:13], v[54:55]
	v_add_f64 v[54:55], v[80:81], -v[38:39]
	v_add_f64 v[12:13], v[54:55], v[12:13]
	s_mov_b32 s8, 0x252049c0
	v_add_f64 v[54:55], v[12:13], -v[70:71]
	s_mov_b32 s9, 0xb97b839a
	v_fmac_f64_e32 v[54:55], s[8:9], v[52:53]
	v_add_f64 v[12:13], v[38:39], v[54:55]
	v_add_f64 v[38:39], v[12:13], -v[38:39]
	v_add_f64 v[38:39], v[54:55], -v[38:39]
	v_cvt_i32_f64_e32 v49, v[52:53]
.LBB5_295:
	s_or_b64 exec, exec, s[0:1]
                                        ; implicit-def: $vgpr51
                                        ; implicit-def: $vgpr52_vgpr53
                                        ; implicit-def: $vgpr54_vgpr55
	s_and_saveexec_b64 s[0:1], s[6:7]
	s_xor_b64 s[6:7], exec, s[0:1]
	s_cbranch_execz .LBB5_297
; %bb.296:
	s_mov_b32 s0, 0
	s_mov_b32 s1, 0x7b000000
	s_movk_i32 s8, 0xff80
	v_and_b32_e32 v51, 0x7fffffff, v11
	v_ldexp_f64 v[52:53], |v[10:11]|, s8
	v_cmp_ge_f64_e64 vcc, |v[10:11]|, s[0:1]
	s_mov_b32 s0, 0
	s_mov_b32 s1, 0x7ff00000
	v_cndmask_b32_e32 v53, v51, v53, vcc
	v_cndmask_b32_e32 v52, v10, v52, vcc
	v_mul_f64 v[70:71], v[68:69], v[52:53]
	v_mul_f64 v[54:55], v[66:67], v[52:53]
	v_fma_f64 v[68:69], v[68:69], v[52:53], -v[70:71]
	v_add_f64 v[80:81], v[54:55], v[68:69]
	v_add_f64 v[82:83], v[70:71], v[80:81]
	v_ldexp_f64 v[84:85], v[82:83], -2
	v_fract_f64_e32 v[86:87], v[84:85]
	v_cmp_neq_f64_e64 vcc, |v[84:85]|, s[0:1]
	v_add_f64 v[70:71], v[82:83], -v[70:71]
	v_add_f64 v[70:71], v[80:81], -v[70:71]
	v_cndmask_b32_e32 v85, 0, v87, vcc
	v_cndmask_b32_e32 v84, 0, v86, vcc
	v_add_f64 v[86:87], v[80:81], -v[54:55]
	v_add_f64 v[68:69], v[68:69], -v[86:87]
	;; [unrolled: 1-line block ×4, first 2 shown]
	v_fma_f64 v[54:55], v[66:67], v[52:53], -v[54:55]
	v_mul_f64 v[66:67], v[64:65], v[52:53]
	v_add_f64 v[68:69], v[68:69], v[86:87]
	v_add_f64 v[86:87], v[66:67], v[54:55]
	;; [unrolled: 1-line block ×3, first 2 shown]
	v_add_f64 v[82:83], v[98:99], -v[86:87]
	v_add_f64 v[68:69], v[68:69], -v[82:83]
	;; [unrolled: 1-line block ×4, first 2 shown]
	v_add_f64 v[68:69], v[68:69], v[82:83]
	v_add_f64 v[82:83], v[86:87], -v[66:67]
	v_add_f64 v[54:55], v[54:55], -v[82:83]
	;; [unrolled: 1-line block ×4, first 2 shown]
	v_add_f64 v[54:55], v[54:55], v[82:83]
	v_add_f64 v[54:55], v[54:55], v[68:69]
	v_fma_f64 v[52:53], v[64:65], v[52:53], -v[66:67]
	v_add_f64 v[80:81], v[70:71], v[98:99]
	v_add_f64 v[52:53], v[52:53], v[54:55]
	v_ldexp_f64 v[54:55], v[84:85], 2
	v_add_f64 v[64:65], v[80:81], v[54:55]
	v_mov_b32_e32 v51, 0x40100000
	v_cmp_gt_f64_e32 vcc, 0, v[64:65]
	v_mov_b32_e32 v96, 0
	v_add_f64 v[70:71], v[80:81], -v[70:71]
	v_cndmask_b32_e32 v97, 0, v51, vcc
	v_add_f64 v[54:55], v[54:55], v[96:97]
	v_add_f64 v[64:65], v[80:81], v[54:55]
	v_cvt_i32_f64_e32 v51, v[64:65]
	v_cvt_f64_i32_e32 v[64:65], v51
	v_add_f64 v[54:55], v[54:55], -v[64:65]
	v_add_f64 v[64:65], v[80:81], v[54:55]
	v_add_f64 v[70:71], v[98:99], -v[70:71]
	v_add_f64 v[54:55], v[64:65], -v[54:55]
	v_add_f64 v[52:53], v[70:71], v[52:53]
	v_add_f64 v[54:55], v[80:81], -v[54:55]
	v_add_f64 v[52:53], v[52:53], v[54:55]
	v_cmp_le_f64_e32 vcc, 0.5, v[64:65]
	v_mov_b32_e32 v54, 0x3ff00000
	s_mov_b32 s8, 0x33145c07
	v_cndmask_b32_e32 v97, 0, v54, vcc
	v_addc_co_u32_e64 v51, s[0:1], 0, v51, vcc
	v_add_f64 v[54:55], v[64:65], -v[96:97]
	v_add_f64 v[64:65], v[54:55], v[52:53]
	s_mov_b32 s0, 0x54442d18
	v_add_f64 v[54:55], v[64:65], -v[54:55]
	s_mov_b32 s1, 0x3ff921fb
	v_add_f64 v[52:53], v[52:53], -v[54:55]
	v_mul_f64 v[54:55], v[64:65], s[0:1]
	v_fma_f64 v[66:67], v[64:65], s[0:1], -v[54:55]
	s_mov_b32 s9, 0x3c91a626
	v_fmac_f64_e32 v[66:67], s[8:9], v[64:65]
	v_fmac_f64_e32 v[66:67], s[0:1], v[52:53]
	v_add_f64 v[52:53], v[54:55], v[66:67]
	v_add_f64 v[54:55], v[52:53], -v[54:55]
	v_add_f64 v[54:55], v[66:67], -v[54:55]
	s_andn2_saveexec_b64 s[0:1], s[6:7]
	s_cbranch_execnz .LBB5_298
	s_branch .LBB5_299
.LBB5_297:
	s_andn2_saveexec_b64 s[0:1], s[6:7]
	s_cbranch_execz .LBB5_299
.LBB5_298:
	s_mov_b32 s6, 0x6dc9c883
	s_mov_b32 s7, 0x3fe45f30
	v_mul_f64 v[52:53], |v[10:11]|, s[6:7]
	s_mov_b32 s6, 0x54442d18
	v_rndne_f64_e32 v[64:65], v[52:53]
	s_mov_b32 s7, 0xbff921fb
	v_fma_f64 v[52:53], v[64:65], s[6:7], |v[10:11]|
	s_mov_b32 s7, 0xbc91a626
	s_mov_b32 s6, 0x33145c00
	v_mul_f64 v[66:67], v[64:65], s[6:7]
	v_add_f64 v[70:71], v[52:53], v[66:67]
	v_fma_f64 v[54:55], s[6:7], v[64:65], v[52:53]
	s_mov_b32 s7, 0x3c91a626
	v_add_f64 v[52:53], v[52:53], -v[70:71]
	v_fma_f64 v[68:69], s[6:7], v[64:65], v[66:67]
	v_add_f64 v[52:53], v[52:53], v[66:67]
	v_add_f64 v[66:67], v[70:71], -v[54:55]
	v_add_f64 v[52:53], v[66:67], v[52:53]
	s_mov_b32 s6, 0x252049c0
	v_add_f64 v[66:67], v[52:53], -v[68:69]
	s_mov_b32 s7, 0xb97b839a
	v_fmac_f64_e32 v[66:67], s[6:7], v[64:65]
	v_add_f64 v[52:53], v[54:55], v[66:67]
	v_add_f64 v[54:55], v[52:53], -v[54:55]
	v_add_f64 v[54:55], v[66:67], -v[54:55]
	v_cvt_i32_f64_e32 v51, v[64:65]
.LBB5_299:
	s_or_b64 exec, exec, s[0:1]
	s_mov_b32 s0, 0
	v_mul_f64 v[64:65], v[2:3], v[2:3]
	s_mov_b32 s1, 0x40390000
	v_div_scale_f64 v[66:67], s[6:7], v[64:65], v[64:65], s[0:1]
	v_rcp_f64_e32 v[68:69], v[66:67]
	v_mov_b32_e32 v82, 0xb1759c7f
	v_mov_b32_e32 v83, 0x408ac370
	;; [unrolled: 1-line block ×3, first 2 shown]
	v_fma_f64 v[70:71], -v[66:67], v[68:69], 1.0
	v_fmac_f64_e32 v[68:69], v[68:69], v[70:71]
	v_fma_f64 v[70:71], -v[66:67], v[68:69], 1.0
	v_fmac_f64_e32 v[68:69], v[68:69], v[70:71]
	v_div_scale_f64 v[70:71], vcc, s[0:1], v[64:65], s[0:1]
	v_mul_f64 v[80:81], v[70:71], v[68:69]
	v_fma_f64 v[66:67], -v[66:67], v[80:81], v[70:71]
	v_mov_b32_e32 v70, 0xab5454e3
	s_nop 0
	v_div_fmas_f64 v[66:67], v[66:67], v[68:69], v[80:81]
	v_div_fixup_f64 v[64:65], v[66:67], v[64:65], s[0:1]
	v_mov_b32_e32 v66, 0x983b6b27
	v_mov_b32_e32 v67, 0x3f4a1d30
	v_fmac_f64_e32 v[66:67], 0, v[64:65]
	v_mov_b32_e32 v68, 0xb35dd1cf
	v_mov_b32_e32 v69, 0x3fb534b0
	v_fmac_f64_e32 v[68:69], v[64:65], v[66:67]
	v_mov_b32_e32 v66, 0x4e680b98
	v_mov_b32_e32 v67, 0x3ff3d521
	v_fmac_f64_e32 v[66:67], v[64:65], v[68:69]
	v_mov_b32_e32 v68, 0xe97a0956
	v_mov_b32_e32 v69, 0x4015c9fb
	v_fmac_f64_e32 v[68:69], v[64:65], v[66:67]
	v_mov_b32_e32 v66, 0x69409888
	v_mov_b32_e32 v67, 0x40217e8c
	v_fmac_f64_e32 v[66:67], v[64:65], v[68:69]
	v_mov_b32_e32 v68, 0xa59425a1
	v_mov_b32_e32 v69, 0x40153684
	v_fmac_f64_e32 v[68:69], v[64:65], v[66:67]
	v_mov_b32_e32 v66, 0xce039737
	v_mov_b32_e32 v67, 0x3f4e4a80
	v_fmac_f64_e32 v[66:67], 0, v[64:65]
	v_mov_b32_e32 v71, 0x3fb5ebc5
	v_fmac_f64_e32 v[70:71], v[64:65], v[66:67]
	v_mov_b32_e32 v66, 0xc9b3069f
	v_mov_b32_e32 v67, 0x3ff40e72
	v_fmac_f64_e32 v[66:67], v[64:65], v[70:71]
	v_mov_b32_e32 v70, 0xe68162bb
	;; [unrolled: 3-line block ×4, first 2 shown]
	v_mov_b32_e32 v71, 0x40153965
	v_fmac_f64_e32 v[70:71], v[64:65], v[66:67]
	v_fma_f64 v[66:67], v[64:65], v[70:71], 1.0
	v_mov_b32_e32 v70, 0x38a5384a
	v_mov_b32_e32 v71, 0xbf874742
	v_fmac_f64_e32 v[70:71], 0, v[64:65]
	v_mov_b32_e32 v80, 0x3a321174
	v_mov_b32_e32 v81, 0xbff4853b
	v_fmac_f64_e32 v[80:81], v[64:65], v[70:71]
	;; [unrolled: 3-line block ×9, first 2 shown]
	v_fmac_f64_e32 v[82:83], v[64:65], v[70:71]
	v_mov_b32_e32 v70, 0xbd748cb5
	v_mov_b32_e32 v71, 0x40ae54cd
	v_fmac_f64_e32 v[70:71], v[64:65], v[82:83]
	v_mov_b32_e32 v82, 0xbdefd63e
	v_mov_b32_e32 v83, 0x40bc4877
	;; [unrolled: 3-line block ×4, first 2 shown]
	v_fma_f64 v[68:69], v[64:65], v[68:69], 1.0
	v_fmac_f64_e32 v[82:83], v[64:65], v[70:71]
	v_div_scale_f64 v[70:71], s[0:1], v[66:67], v[66:67], v[68:69]
	v_rcp_f64_e32 v[84:85], v[70:71]
	v_mov_b32_e32 v87, 0x406e402f
	v_fmac_f64_e32 v[86:87], v[64:65], v[82:83]
	s_mov_b32 s0, 0x9037ab78
	v_fma_f64 v[64:65], -v[70:71], v[84:85], 1.0
	v_fmac_f64_e32 v[84:85], v[84:85], v[64:65]
	v_fma_f64 v[64:65], -v[70:71], v[84:85], 1.0
	v_fmac_f64_e32 v[84:85], v[84:85], v[64:65]
	v_div_scale_f64 v[64:65], vcc, v[68:69], v[66:67], v[68:69]
	v_mul_f64 v[82:83], v[64:65], v[84:85]
	v_fma_f64 v[64:65], -v[70:71], v[82:83], v[64:65]
	s_mov_b32 s1, 0x3e21eeb6
	s_nop 0
	v_div_fmas_f64 v[64:65], v[64:65], v[84:85], v[82:83]
	s_mov_b32 s6, 0x46cc5e42
	v_div_fixup_f64 v[64:65], v[64:65], v[66:67], v[68:69]
	v_mul_f64 v[66:67], v[12:13], v[12:13]
	s_mov_b32 s7, 0xbda907db
	v_mov_b64_e32 v[84:85], s[0:1]
	s_mov_b32 s8, 0xa17f65f6
	v_mul_f64 v[68:69], v[66:67], 0.5
	v_fma_f64 v[96:97], s[6:7], v[66:67], v[84:85]
	s_mov_b32 s9, 0xbe927e4f
	s_mov_b32 s10, 0x19f4ec90
	v_add_f64 v[70:71], -v[68:69], 1.0
	v_fma_f64 v[96:97], v[66:67], v[96:97], s[8:9]
	s_mov_b32 s11, 0x3efa01a0
	s_mov_b32 s12, 0x16c16967
	v_add_f64 v[82:83], -v[70:71], 1.0
	v_fma_f64 v[96:97], v[66:67], v[96:97], s[10:11]
	s_mov_b32 s13, 0xbf56c16c
	s_mov_b32 s14, 0x55555555
	v_add_f64 v[68:69], v[82:83], -v[68:69]
	v_fma_f64 v[96:97], v[66:67], v[96:97], s[12:13]
	s_mov_b32 s15, 0x3fa55555
	v_mul_f64 v[82:83], v[66:67], v[66:67]
	v_fma_f64 v[96:97], v[66:67], v[96:97], s[14:15]
	v_fma_f64 v[68:69], v[12:13], -v[38:39], v[68:69]
	s_mov_b32 s0, 0xb42fdfa7
	v_fmac_f64_e32 v[68:69], v[82:83], v[96:97]
	s_mov_b32 s1, 0xbe5ae600
	s_mov_b32 s16, 0xf9a43bb8
	v_add_f64 v[68:69], v[70:71], v[68:69]
	s_mov_b32 s17, 0x3de5e0b2
	v_mov_b64_e32 v[70:71], s[0:1]
	s_mov_b32 s18, 0x796cde01
	v_fma_f64 v[82:83], s[16:17], v[66:67], v[70:71]
	s_mov_b32 s19, 0x3ec71de3
	s_mov_b32 s20, 0x19e83e5c
	v_fma_f64 v[82:83], v[66:67], v[82:83], s[18:19]
	s_mov_b32 s21, 0xbf2a01a0
	;; [unrolled: 3-line block ×3, first 2 shown]
	v_fma_f64 v[82:83], v[66:67], v[82:83], s[22:23]
	v_mul_f64 v[96:97], v[12:13], -v[66:67]
	v_mul_f64 v[98:99], v[38:39], 0.5
	v_fmac_f64_e32 v[98:99], v[96:97], v[82:83]
	v_fma_f64 v[38:39], v[66:67], v[98:99], -v[38:39]
	s_mov_b32 s25, 0xbfc55555
	s_mov_b32 s24, s14
	v_fmac_f64_e32 v[38:39], s[24:25], v[96:97]
	v_add_f64 v[12:13], v[12:13], -v[38:39]
	v_and_b32_e32 v38, 1, v49
	v_cmp_eq_u32_e32 vcc, 0, v38
	s_mov_b32 s26, 0
	s_mov_b32 s27, 0x40140000
	v_cndmask_b32_e32 v66, v68, v12, vcc
	v_cndmask_b32_e32 v12, v69, v13, vcc
	v_lshlrev_b32_e32 v13, 30, v49
	v_xor_b32_e32 v13, v13, v11
	v_and_b32_e32 v13, 0x80000000, v13
	v_xor_b32_e32 v49, v12, v13
	v_div_scale_f64 v[12:13], s[0:1], v[2:3], v[2:3], s[26:27]
	v_rcp_f64_e32 v[38:39], v[12:13]
	s_movk_i32 s28, 0x1f8
	v_cmp_class_f64_e64 s[0:1], v[10:11], s28
	v_mov_b32_e32 v96, 0x7ff80000
	s_nop 0
	v_cndmask_b32_e64 v10, 0, v66, s[0:1]
	v_fma_f64 v[66:67], -v[12:13], v[38:39], 1.0
	v_fmac_f64_e32 v[38:39], v[38:39], v[66:67]
	v_fma_f64 v[66:67], -v[12:13], v[38:39], 1.0
	v_fmac_f64_e32 v[38:39], v[38:39], v[66:67]
	v_div_scale_f64 v[66:67], vcc, s[26:27], v[2:3], s[26:27]
	v_mul_f64 v[68:69], v[66:67], v[38:39]
	v_fma_f64 v[12:13], -v[12:13], v[68:69], v[66:67]
	v_div_scale_f64 v[66:67], s[28:29], v[86:87], v[86:87], v[80:81]
	v_rcp_f64_e32 v[82:83], v[66:67]
	v_div_fmas_f64 v[12:13], v[12:13], v[38:39], v[68:69]
	v_div_fixup_f64 v[12:13], v[12:13], v[2:3], s[26:27]
	v_cndmask_b32_e64 v11, v96, v49, s[0:1]
	v_fma_f64 v[38:39], -v[66:67], v[82:83], 1.0
	v_fmac_f64_e32 v[82:83], v[82:83], v[38:39]
	v_fma_f64 v[38:39], -v[66:67], v[82:83], 1.0
	v_fmac_f64_e32 v[82:83], v[82:83], v[38:39]
	v_div_scale_f64 v[38:39], vcc, v[80:81], v[86:87], v[80:81]
	v_mul_f64 v[68:69], v[38:39], v[82:83]
	v_fma_f64 v[38:39], -v[66:67], v[68:69], v[38:39]
	v_and_b32_e32 v49, 1, v51
	s_nop 0
	v_div_fmas_f64 v[38:39], v[38:39], v[82:83], v[68:69]
	v_div_fixup_f64 v[38:39], v[38:39], v[86:87], v[80:81]
	v_mul_f64 v[12:13], v[12:13], v[38:39]
	v_mul_f64 v[38:39], v[52:53], v[52:53]
	v_mul_f64 v[66:67], v[38:39], 0.5
	v_fmac_f64_e32 v[84:85], s[6:7], v[38:39]
	v_add_f64 v[68:69], -v[66:67], 1.0
	v_fma_f64 v[82:83], v[38:39], v[84:85], s[8:9]
	v_add_f64 v[80:81], -v[68:69], 1.0
	v_fma_f64 v[82:83], v[38:39], v[82:83], s[10:11]
	v_add_f64 v[66:67], v[80:81], -v[66:67]
	v_fma_f64 v[82:83], v[38:39], v[82:83], s[12:13]
	v_mul_f64 v[80:81], v[38:39], v[38:39]
	v_fma_f64 v[82:83], v[38:39], v[82:83], s[14:15]
	v_fma_f64 v[66:67], v[52:53], -v[54:55], v[66:67]
	v_fmac_f64_e32 v[66:67], v[80:81], v[82:83]
	v_fmac_f64_e32 v[70:71], s[16:17], v[38:39]
	v_add_f64 v[66:67], v[68:69], v[66:67]
	v_fma_f64 v[68:69], v[38:39], v[70:71], s[18:19]
	v_fma_f64 v[68:69], v[38:39], v[68:69], s[20:21]
	;; [unrolled: 1-line block ×3, first 2 shown]
	v_mul_f64 v[70:71], v[52:53], -v[38:39]
	v_mul_f64 v[80:81], v[54:55], 0.5
	v_fmac_f64_e32 v[80:81], v[70:71], v[68:69]
	v_fma_f64 v[38:39], v[38:39], v[80:81], -v[54:55]
	v_fmac_f64_e32 v[38:39], s[24:25], v[70:71]
	v_add_f64 v[38:39], v[52:53], -v[38:39]
	v_xor_b32_e32 v39, 0x80000000, v39
	v_cmp_eq_u32_e32 vcc, 0, v49
	v_lshlrev_b32_e32 v49, 30, v51
	v_and_b32_e32 v49, 0x80000000, v49
	v_cndmask_b32_e32 v39, v39, v67, vcc
	v_cndmask_b32_e32 v38, v38, v66, vcc
	v_xor_b32_e32 v39, v39, v49
	v_cndmask_b32_e64 v38, 0, v38, s[0:1]
	v_cndmask_b32_e64 v39, v96, v39, s[0:1]
	s_mov_b32 s0, 0
	s_brev_b32 s1, 8
	v_mul_f64 v[12:13], v[12:13], v[38:39]
	v_cmp_gt_f64_e32 vcc, s[0:1], v[2:3]
	v_fmac_f64_e32 v[12:13], v[64:65], v[10:11]
	s_mov_b32 s0, 0x33d43651
	v_cndmask_b32_e64 v10, 0, 1, vcc
	v_lshlrev_b32_e32 v10, 8, v10
	v_ldexp_f64 v[2:3], v[2:3], v10
	v_rsq_f64_e32 v[10:11], v[2:3]
	s_mov_b32 s1, 0x3fe98845
	v_mul_f64 v[12:13], v[12:13], s[0:1]
	v_mul_f64 v[38:39], v[2:3], v[10:11]
	v_mul_f64 v[10:11], v[10:11], 0.5
	v_fma_f64 v[52:53], -v[10:11], v[38:39], 0.5
	v_fmac_f64_e32 v[38:39], v[38:39], v[52:53]
	v_fma_f64 v[54:55], -v[38:39], v[38:39], v[2:3]
	v_fmac_f64_e32 v[10:11], v[10:11], v[52:53]
	v_fmac_f64_e32 v[38:39], v[54:55], v[10:11]
	v_fma_f64 v[52:53], -v[38:39], v[38:39], v[2:3]
	v_fmac_f64_e32 v[38:39], v[52:53], v[10:11]
	v_mov_b32_e32 v10, 0xffffff80
	v_cndmask_b32_e32 v10, 0, v10, vcc
	v_ldexp_f64 v[10:11], v[38:39], v10
	v_mov_b32_e32 v38, 0x260
	v_cmp_class_f64_e32 vcc, v[2:3], v38
	s_nop 1
	v_cndmask_b32_e32 v3, v11, v3, vcc
	v_cndmask_b32_e32 v2, v10, v2, vcc
	v_div_scale_f64 v[10:11], s[0:1], v[2:3], v[2:3], v[12:13]
	v_rcp_f64_e32 v[38:39], v[10:11]
	s_nop 0
	v_fma_f64 v[52:53], -v[10:11], v[38:39], 1.0
	v_fmac_f64_e32 v[38:39], v[38:39], v[52:53]
	v_fma_f64 v[52:53], -v[10:11], v[38:39], 1.0
	v_fmac_f64_e32 v[38:39], v[38:39], v[52:53]
	v_div_scale_f64 v[52:53], vcc, v[12:13], v[2:3], v[12:13]
	v_mul_f64 v[54:55], v[52:53], v[38:39]
	v_fma_f64 v[10:11], -v[10:11], v[54:55], v[52:53]
	s_nop 1
	v_div_fmas_f64 v[10:11], v[10:11], v[38:39], v[54:55]
	v_div_fixup_f64 v[10:11], v[10:11], v[2:3], v[12:13]
.LBB5_300:
	s_or_b64 exec, exec, s[4:5]
	s_mov_b32 s0, 0
	s_mov_b32 s1, 0x40140000
	v_cmp_ge_f64_e32 vcc, s[0:1], v[4:5]
	s_and_saveexec_b64 s[0:1], vcc
	s_xor_b64 s[0:1], exec, s[0:1]
	s_cbranch_execz .LBB5_310
; %bb.301:
	v_mov_b32_e32 v12, 0
	v_cmp_neq_f64_e32 vcc, 0, v[4:5]
	v_mov_b32_e32 v13, 0xfff00000
	s_and_saveexec_b64 s[4:5], vcc
	s_cbranch_execz .LBB5_309
; %bb.302:
	v_mov_b32_e32 v12, 0
	v_cmp_ngt_f64_e32 vcc, 0, v[4:5]
	v_mov_b32_e32 v13, 0x7ff80000
	s_and_saveexec_b64 s[6:7], vcc
	s_cbranch_execz .LBB5_308
; %bb.303:
	s_mov_b32 s8, 0x88e368f1
	v_mul_f64 v[12:13], v[4:5], v[4:5]
	s_mov_b32 s9, 0x3ee4f8b5
	v_mul_f64 v[38:39], v[12:13], 0
	v_cmp_ngt_f64_e32 vcc, s[8:9], v[4:5]
                                        ; implicit-def: $vgpr2_vgpr3
	s_and_saveexec_b64 s[8:9], vcc
	s_xor_b64 s[8:9], exec, s[8:9]
	s_cbranch_execz .LBB5_305
; %bb.304:
	s_mov_b32 s10, 0xad1c8325
	s_mov_b32 s11, 0xc1f1dc53
	v_add_f64 v[2:3], v[38:39], s[10:11]
	v_mov_b32_e32 v52, 0xc772990d
	v_mov_b32_e32 v53, 0x427c7751
	s_mov_b32 s10, 0xa696b78c
	v_fmac_f64_e32 v[52:53], v[12:13], v[2:3]
	v_mov_b32_e32 v2, 0xe0d900f7
	v_mov_b32_e32 v3, 0xc2ec5614
	s_mov_b32 s11, 0x407f3902
	v_fmac_f64_e32 v[2:3], v[12:13], v[52:53]
	v_add_f64 v[52:53], v[38:39], s[10:11]
	v_mov_b32_e32 v54, 0x36a21a67
	v_mov_b32_e32 v55, 0x410536cb
	v_fmac_f64_e32 v[54:55], v[12:13], v[52:53]
	v_mov_b32_e32 v52, 0x2eac0634
	v_mov_b32_e32 v53, 0x41871934
	v_fmac_f64_e32 v[52:53], v[12:13], v[54:55]
	;; [unrolled: 3-line block ×6, first 2 shown]
	v_mov_b32_e32 v54, 0xc7b662cc
	v_mov_b32_e32 v55, 0x43b7be34
	s_mov_b32 s10, 0x80462bbb
	v_fmac_f64_e32 v[54:55], v[12:13], v[52:53]
	v_mov_b32_e32 v52, 0x69ff5fb4
	v_mov_b32_e32 v53, 0x43413ef8
	s_mov_b32 s11, 0xc01721fb
	v_fmac_f64_e32 v[52:53], v[12:13], v[2:3]
	v_add_f64 v[2:3], v[12:13], s[10:11]
	s_mov_b32 s10, 0xa621dd6f
	s_mov_b32 s11, 0xc03e78a4
	v_add_f64 v[64:65], v[12:13], s[10:11]
	v_mul_f64 v[2:3], v[2:3], v[64:65]
	v_mul_f64 v[2:3], v[2:3], v[52:53]
	v_div_scale_f64 v[52:53], s[10:11], v[54:55], v[54:55], v[2:3]
	v_rcp_f64_e32 v[64:65], v[52:53]
	s_nop 0
	v_fma_f64 v[66:67], -v[52:53], v[64:65], 1.0
	v_fmac_f64_e32 v[64:65], v[64:65], v[66:67]
	v_fma_f64 v[66:67], -v[52:53], v[64:65], 1.0
	v_fmac_f64_e32 v[64:65], v[64:65], v[66:67]
	v_div_scale_f64 v[66:67], vcc, v[2:3], v[54:55], v[2:3]
	v_mul_f64 v[68:69], v[66:67], v[64:65]
	v_fma_f64 v[52:53], -v[52:53], v[68:69], v[66:67]
	s_nop 1
	v_div_fmas_f64 v[52:53], v[52:53], v[64:65], v[68:69]
	v_div_fixup_f64 v[2:3], v[52:53], v[54:55], v[2:3]
.LBB5_305:
	s_andn2_saveexec_b64 s[8:9], s[8:9]
; %bb.306:
	s_mov_b32 s10, 0
	s_mov_b32 s11, 0xbfd00000
	v_fma_f64 v[2:3], v[12:13], s[10:11], 1.0
; %bb.307:
	s_or_b64 exec, exec, s[8:9]
	s_mov_b32 s8, 0xe896898f
	s_mov_b32 s9, 0x40ce7437
	v_add_f64 v[52:53], v[38:39], s[8:9]
	v_mov_b32_e32 v54, 0x32e48896
	v_mov_b32_e32 v55, 0xc16bf81f
	v_fmac_f64_e32 v[54:55], v[12:13], v[52:53]
	v_mov_b32_e32 v52, 0xf0284cdd
	v_mov_b32_e32 v53, 0x41f43f78
	v_fmac_f64_e32 v[52:53], v[12:13], v[54:55]
	;; [unrolled: 3-line block ×4, first 2 shown]
	v_mov_b32_e32 v54, 0xd1d8cc02
	v_mov_b32_e32 v55, 0xc328a121
	s_mov_b32 s8, 0x576dfcb6
	v_fmac_f64_e32 v[54:55], v[12:13], v[52:53]
	v_mov_b32_e32 v52, 0x660b4003
	v_mov_b32_e32 v53, 0x4363a94b
	s_mov_b32 s9, 0x40904522
	v_fmac_f64_e32 v[52:53], v[12:13], v[54:55]
	v_add_f64 v[38:39], v[38:39], s[8:9]
	v_mov_b32_e32 v54, 0xa907bc0c
	v_mov_b32_e32 v55, 0x41231b76
	v_fmac_f64_e32 v[54:55], v[12:13], v[38:39]
	v_mov_b32_e32 v38, 0x5164d101
	v_mov_b32_e32 v39, 0x41b00763
	v_fmac_f64_e32 v[38:39], v[12:13], v[54:55]
	;; [unrolled: 3-line block ×7, first 2 shown]
	v_div_scale_f64 v[12:13], s[8:9], v[38:39], v[38:39], v[54:55]
	v_rcp_f64_e32 v[52:53], v[12:13]
	s_mov_b32 s8, 0x55555555
	v_frexp_exp_i32_f64_e32 v49, v[4:5]
	v_frexp_mant_f64_e32 v[4:5], v[4:5]
	v_fma_f64 v[64:65], -v[12:13], v[52:53], 1.0
	v_fmac_f64_e32 v[52:53], v[52:53], v[64:65]
	v_fma_f64 v[64:65], -v[12:13], v[52:53], 1.0
	v_fmac_f64_e32 v[52:53], v[52:53], v[64:65]
	v_div_scale_f64 v[64:65], vcc, v[54:55], v[38:39], v[54:55]
	v_mul_f64 v[66:67], v[64:65], v[52:53]
	v_fma_f64 v[12:13], -v[12:13], v[66:67], v[64:65]
	s_mov_b32 s9, 0x3fe55555
	s_nop 0
	v_div_fmas_f64 v[12:13], v[12:13], v[52:53], v[66:67]
	v_div_fixup_f64 v[12:13], v[12:13], v[38:39], v[54:55]
	v_mov_b32_e32 v38, 0x3ff00000
	v_cmp_gt_f64_e32 vcc, s[8:9], v[4:5]
	s_mov_b32 s8, 0xbf559e2b
	s_mov_b32 s9, 0x3fc3ab76
	v_cndmask_b32_e64 v39, v38, 2.0, vcc
	v_mov_b32_e32 v38, 0
	v_mul_f64 v[4:5], v[4:5], v[38:39]
	v_add_f64 v[38:39], v[4:5], 1.0
	v_rcp_f64_e32 v[52:53], v[38:39]
	v_add_f64 v[64:65], v[38:39], -1.0
	v_add_f64 v[54:55], v[4:5], -1.0
	v_add_f64 v[4:5], v[4:5], -v[64:65]
	v_fma_f64 v[64:65], -v[38:39], v[52:53], 1.0
	v_fmac_f64_e32 v[52:53], v[64:65], v[52:53]
	v_fma_f64 v[64:65], -v[38:39], v[52:53], 1.0
	v_fmac_f64_e32 v[52:53], v[64:65], v[52:53]
	v_mul_f64 v[64:65], v[54:55], v[52:53]
	v_mul_f64 v[66:67], v[38:39], v[64:65]
	v_fma_f64 v[38:39], v[64:65], v[38:39], -v[66:67]
	v_fmac_f64_e32 v[38:39], v[64:65], v[4:5]
	v_add_f64 v[4:5], v[66:67], v[38:39]
	v_add_f64 v[68:69], v[54:55], -v[4:5]
	v_add_f64 v[66:67], v[4:5], -v[66:67]
	;; [unrolled: 1-line block ×5, first 2 shown]
	v_add_f64 v[4:5], v[38:39], v[4:5]
	v_add_f64 v[4:5], v[68:69], v[4:5]
	v_mul_f64 v[4:5], v[52:53], v[4:5]
	v_add_f64 v[38:39], v[64:65], v[4:5]
	v_add_f64 v[52:53], v[38:39], -v[64:65]
	v_add_f64 v[4:5], v[4:5], -v[52:53]
	v_mul_f64 v[52:53], v[38:39], v[38:39]
	v_mov_b32_e32 v54, 0x6b47b09a
	v_mov_b32_e32 v55, 0x3fc38538
	v_fmac_f64_e32 v[54:55], s[8:9], v[52:53]
	v_mov_b32_e32 v64, 0xd7f4df2e
	v_mov_b32_e32 v65, 0x3fc7474d
	v_fmac_f64_e32 v[64:65], v[52:53], v[54:55]
	;; [unrolled: 3-line block ×6, first 2 shown]
	v_ldexp_f64 v[54:55], v[38:39], 1
	v_mul_f64 v[38:39], v[38:39], v[52:53]
	v_mul_f64 v[38:39], v[38:39], v[64:65]
	v_add_f64 v[52:53], v[54:55], v[38:39]
	v_add_f64 v[54:55], v[52:53], -v[54:55]
	v_ldexp_f64 v[4:5], v[4:5], 1
	v_add_f64 v[38:39], v[38:39], -v[54:55]
	v_add_f64 v[4:5], v[4:5], v[38:39]
	v_add_f64 v[38:39], v[52:53], v[4:5]
	v_subbrev_co_u32_e32 v49, vcc, 0, v49, vcc
	v_add_f64 v[52:53], v[38:39], -v[52:53]
	s_mov_b32 s8, 0xfefa39ef
	v_add_f64 v[4:5], v[4:5], -v[52:53]
	v_cvt_f64_i32_e32 v[52:53], v49
	s_mov_b32 s9, 0x3fe62e42
	v_mul_f64 v[54:55], v[52:53], s[8:9]
	v_fma_f64 v[64:65], v[52:53], s[8:9], -v[54:55]
	s_mov_b32 s8, 0x3b39803f
	s_mov_b32 s9, 0x3c7abc9e
	v_fmac_f64_e32 v[64:65], s[8:9], v[52:53]
	v_add_f64 v[52:53], v[54:55], v[64:65]
	v_add_f64 v[54:55], v[52:53], -v[54:55]
	v_add_f64 v[54:55], v[64:65], -v[54:55]
	v_add_f64 v[64:65], v[52:53], v[38:39]
	v_add_f64 v[66:67], v[64:65], -v[52:53]
	v_add_f64 v[68:69], v[64:65], -v[66:67]
	;; [unrolled: 1-line block ×4, first 2 shown]
	v_add_f64 v[38:39], v[38:39], v[52:53]
	v_add_f64 v[52:53], v[54:55], v[4:5]
	v_add_f64 v[66:67], v[52:53], -v[54:55]
	v_add_f64 v[68:69], v[52:53], -v[66:67]
	v_add_f64 v[38:39], v[52:53], v[38:39]
	v_add_f64 v[54:55], v[54:55], -v[68:69]
	v_add_f64 v[4:5], v[4:5], -v[66:67]
	v_add_f64 v[52:53], v[64:65], v[38:39]
	v_add_f64 v[4:5], v[4:5], v[54:55]
	v_add_f64 v[54:55], v[52:53], -v[64:65]
	v_add_f64 v[38:39], v[38:39], -v[54:55]
	v_add_f64 v[4:5], v[4:5], v[38:39]
	s_mov_b32 s8, 0x6dc9c883
	v_add_f64 v[4:5], v[52:53], v[4:5]
	s_mov_b32 s9, 0x3fe45f30
	v_mul_f64 v[4:5], v[4:5], s[8:9]
	v_fmac_f64_e32 v[12:13], v[4:5], v[2:3]
.LBB5_308:
	s_or_b64 exec, exec, s[6:7]
.LBB5_309:
	s_or_b64 exec, exec, s[4:5]
                                        ; implicit-def: $vgpr4_vgpr5
.LBB5_310:
	s_andn2_saveexec_b64 s[4:5], s[0:1]
	s_cbranch_execz .LBB5_320
; %bb.311:
	s_mov_b32 s9, 0xbfe921fb
	s_mov_b32 s8, 0x54442d18
	;; [unrolled: 1-line block ×3, first 2 shown]
	v_add_f64 v[2:3], v[4:5], s[8:9]
	s_mov_b32 s1, 0x41d00000
	v_cmp_nlt_f64_e64 s[6:7], |v[2:3]|, s[0:1]
	v_trig_preop_f64 v[68:69], |v[2:3]|, 0
	v_trig_preop_f64 v[66:67], |v[2:3]|, 1
	v_trig_preop_f64 v[64:65], |v[2:3]|, 2
                                        ; implicit-def: $vgpr49
                                        ; implicit-def: $vgpr12_vgpr13
                                        ; implicit-def: $vgpr38_vgpr39
	s_and_saveexec_b64 s[0:1], s[6:7]
	s_xor_b64 s[10:11], exec, s[0:1]
	s_cbranch_execz .LBB5_313
; %bb.312:
	s_mov_b32 s0, 0
	s_mov_b32 s1, 0x7b000000
	s_movk_i32 s9, 0xff80
	v_and_b32_e32 v38, 0x7fffffff, v3
	v_ldexp_f64 v[12:13], |v[2:3]|, s9
	v_cmp_ge_f64_e64 vcc, |v[2:3]|, s[0:1]
	s_mov_b32 s0, 0
	s_mov_b32 s1, 0x7ff00000
	v_cndmask_b32_e32 v13, v38, v13, vcc
	v_cndmask_b32_e32 v12, v2, v12, vcc
	v_mul_f64 v[52:53], v[68:69], v[12:13]
	v_mul_f64 v[38:39], v[66:67], v[12:13]
	v_fma_f64 v[54:55], v[68:69], v[12:13], -v[52:53]
	v_add_f64 v[70:71], v[38:39], v[54:55]
	v_add_f64 v[80:81], v[52:53], v[70:71]
	v_ldexp_f64 v[82:83], v[80:81], -2
	v_fract_f64_e32 v[84:85], v[82:83]
	v_cmp_neq_f64_e64 vcc, |v[82:83]|, s[0:1]
	v_add_f64 v[52:53], v[80:81], -v[52:53]
	v_add_f64 v[52:53], v[70:71], -v[52:53]
	v_cndmask_b32_e32 v83, 0, v85, vcc
	v_cndmask_b32_e32 v82, 0, v84, vcc
	v_add_f64 v[84:85], v[70:71], -v[38:39]
	v_add_f64 v[54:55], v[54:55], -v[84:85]
	;; [unrolled: 1-line block ×4, first 2 shown]
	v_add_f64 v[54:55], v[54:55], v[84:85]
	v_fma_f64 v[38:39], v[66:67], v[12:13], -v[38:39]
	v_mul_f64 v[84:85], v[64:65], v[12:13]
	v_add_f64 v[96:97], v[84:85], v[38:39]
	v_add_f64 v[98:99], v[96:97], v[54:55]
	v_add_f64 v[80:81], v[98:99], -v[96:97]
	v_add_f64 v[54:55], v[54:55], -v[80:81]
	;; [unrolled: 1-line block ×4, first 2 shown]
	v_add_f64 v[54:55], v[54:55], v[80:81]
	v_add_f64 v[80:81], v[96:97], -v[84:85]
	v_add_f64 v[38:39], v[38:39], -v[80:81]
	;; [unrolled: 1-line block ×4, first 2 shown]
	v_add_f64 v[70:71], v[52:53], v[98:99]
	v_add_f64 v[38:39], v[38:39], v[80:81]
	v_add_f64 v[52:53], v[70:71], -v[52:53]
	v_add_f64 v[38:39], v[38:39], v[54:55]
	v_fma_f64 v[12:13], v[64:65], v[12:13], -v[84:85]
	v_add_f64 v[52:53], v[98:99], -v[52:53]
	v_add_f64 v[12:13], v[12:13], v[38:39]
	v_ldexp_f64 v[38:39], v[82:83], 2
	v_add_f64 v[12:13], v[52:53], v[12:13]
	v_add_f64 v[52:53], v[70:71], v[38:39]
	v_mov_b32_e32 v49, 0x40100000
	v_cmp_gt_f64_e32 vcc, 0, v[52:53]
	v_mov_b32_e32 v86, 0
	s_mov_b32 s9, 0x3ff921fb
	v_cndmask_b32_e32 v87, 0, v49, vcc
	v_add_f64 v[38:39], v[38:39], v[86:87]
	v_add_f64 v[52:53], v[70:71], v[38:39]
	v_cvt_i32_f64_e32 v49, v[52:53]
	v_cvt_f64_i32_e32 v[52:53], v49
	v_add_f64 v[38:39], v[38:39], -v[52:53]
	v_add_f64 v[52:53], v[70:71], v[38:39]
	v_add_f64 v[38:39], v[52:53], -v[38:39]
	v_add_f64 v[38:39], v[70:71], -v[38:39]
	v_add_f64 v[12:13], v[12:13], v[38:39]
	v_cmp_le_f64_e32 vcc, 0.5, v[52:53]
	v_mov_b32_e32 v38, 0x3ff00000
	s_nop 0
	v_cndmask_b32_e32 v87, 0, v38, vcc
	v_add_f64 v[38:39], v[52:53], -v[86:87]
	v_add_f64 v[52:53], v[38:39], v[12:13]
	v_addc_co_u32_e64 v49, s[0:1], 0, v49, vcc
	v_add_f64 v[38:39], v[52:53], -v[38:39]
	v_add_f64 v[12:13], v[12:13], -v[38:39]
	v_mul_f64 v[38:39], v[52:53], s[8:9]
	s_mov_b32 s0, 0x33145c07
	v_fma_f64 v[54:55], v[52:53], s[8:9], -v[38:39]
	s_mov_b32 s1, 0x3c91a626
	v_fmac_f64_e32 v[54:55], s[0:1], v[52:53]
	v_fmac_f64_e32 v[54:55], s[8:9], v[12:13]
	v_add_f64 v[12:13], v[38:39], v[54:55]
	v_add_f64 v[38:39], v[12:13], -v[38:39]
	v_add_f64 v[38:39], v[54:55], -v[38:39]
	s_andn2_saveexec_b64 s[0:1], s[10:11]
	s_cbranch_execz .LBB5_315
	s_branch .LBB5_314
.LBB5_313:
	s_andn2_saveexec_b64 s[0:1], s[10:11]
	s_cbranch_execz .LBB5_315
.LBB5_314:
	s_mov_b32 s8, 0x6dc9c883
	s_mov_b32 s9, 0x3fe45f30
	v_mul_f64 v[12:13], |v[2:3]|, s[8:9]
	s_mov_b32 s8, 0x54442d18
	v_rndne_f64_e32 v[52:53], v[12:13]
	s_mov_b32 s9, 0xbff921fb
	v_fma_f64 v[12:13], v[52:53], s[8:9], |v[2:3]|
	s_mov_b32 s9, 0xbc91a626
	s_mov_b32 s8, 0x33145c00
	v_mul_f64 v[54:55], v[52:53], s[8:9]
	v_add_f64 v[80:81], v[12:13], v[54:55]
	v_fma_f64 v[38:39], s[8:9], v[52:53], v[12:13]
	s_mov_b32 s9, 0x3c91a626
	v_add_f64 v[12:13], v[12:13], -v[80:81]
	v_fma_f64 v[70:71], s[8:9], v[52:53], v[54:55]
	v_add_f64 v[12:13], v[12:13], v[54:55]
	v_add_f64 v[54:55], v[80:81], -v[38:39]
	v_add_f64 v[12:13], v[54:55], v[12:13]
	s_mov_b32 s8, 0x252049c0
	v_add_f64 v[54:55], v[12:13], -v[70:71]
	s_mov_b32 s9, 0xb97b839a
	v_fmac_f64_e32 v[54:55], s[8:9], v[52:53]
	v_add_f64 v[12:13], v[38:39], v[54:55]
	v_add_f64 v[38:39], v[12:13], -v[38:39]
	v_add_f64 v[38:39], v[54:55], -v[38:39]
	v_cvt_i32_f64_e32 v49, v[52:53]
.LBB5_315:
	s_or_b64 exec, exec, s[0:1]
                                        ; implicit-def: $vgpr51
                                        ; implicit-def: $vgpr52_vgpr53
                                        ; implicit-def: $vgpr54_vgpr55
	s_and_saveexec_b64 s[0:1], s[6:7]
	s_xor_b64 s[6:7], exec, s[0:1]
	s_cbranch_execz .LBB5_317
; %bb.316:
	s_mov_b32 s0, 0
	s_mov_b32 s1, 0x7b000000
	s_movk_i32 s8, 0xff80
	v_and_b32_e32 v51, 0x7fffffff, v3
	v_ldexp_f64 v[52:53], |v[2:3]|, s8
	v_cmp_ge_f64_e64 vcc, |v[2:3]|, s[0:1]
	s_mov_b32 s0, 0
	s_mov_b32 s1, 0x7ff00000
	v_cndmask_b32_e32 v53, v51, v53, vcc
	v_cndmask_b32_e32 v52, v2, v52, vcc
	v_mul_f64 v[70:71], v[68:69], v[52:53]
	v_mul_f64 v[54:55], v[66:67], v[52:53]
	v_fma_f64 v[68:69], v[68:69], v[52:53], -v[70:71]
	v_add_f64 v[80:81], v[54:55], v[68:69]
	v_add_f64 v[82:83], v[70:71], v[80:81]
	v_ldexp_f64 v[84:85], v[82:83], -2
	v_fract_f64_e32 v[86:87], v[84:85]
	v_cmp_neq_f64_e64 vcc, |v[84:85]|, s[0:1]
	v_add_f64 v[70:71], v[82:83], -v[70:71]
	v_add_f64 v[70:71], v[80:81], -v[70:71]
	v_cndmask_b32_e32 v85, 0, v87, vcc
	v_cndmask_b32_e32 v84, 0, v86, vcc
	v_add_f64 v[86:87], v[80:81], -v[54:55]
	v_add_f64 v[68:69], v[68:69], -v[86:87]
	;; [unrolled: 1-line block ×4, first 2 shown]
	v_fma_f64 v[54:55], v[66:67], v[52:53], -v[54:55]
	v_mul_f64 v[66:67], v[64:65], v[52:53]
	v_add_f64 v[68:69], v[68:69], v[86:87]
	v_add_f64 v[86:87], v[66:67], v[54:55]
	v_add_f64 v[98:99], v[86:87], v[68:69]
	v_add_f64 v[82:83], v[98:99], -v[86:87]
	v_add_f64 v[68:69], v[68:69], -v[82:83]
	;; [unrolled: 1-line block ×4, first 2 shown]
	v_add_f64 v[68:69], v[68:69], v[82:83]
	v_add_f64 v[82:83], v[86:87], -v[66:67]
	v_add_f64 v[54:55], v[54:55], -v[82:83]
	;; [unrolled: 1-line block ×4, first 2 shown]
	v_add_f64 v[54:55], v[54:55], v[82:83]
	v_add_f64 v[54:55], v[54:55], v[68:69]
	v_fma_f64 v[52:53], v[64:65], v[52:53], -v[66:67]
	v_add_f64 v[80:81], v[70:71], v[98:99]
	v_add_f64 v[52:53], v[52:53], v[54:55]
	v_ldexp_f64 v[54:55], v[84:85], 2
	v_add_f64 v[64:65], v[80:81], v[54:55]
	v_mov_b32_e32 v51, 0x40100000
	v_cmp_gt_f64_e32 vcc, 0, v[64:65]
	v_mov_b32_e32 v96, 0
	v_add_f64 v[70:71], v[80:81], -v[70:71]
	v_cndmask_b32_e32 v97, 0, v51, vcc
	v_add_f64 v[54:55], v[54:55], v[96:97]
	v_add_f64 v[64:65], v[80:81], v[54:55]
	v_cvt_i32_f64_e32 v51, v[64:65]
	v_cvt_f64_i32_e32 v[64:65], v51
	v_add_f64 v[54:55], v[54:55], -v[64:65]
	v_add_f64 v[64:65], v[80:81], v[54:55]
	v_add_f64 v[70:71], v[98:99], -v[70:71]
	v_add_f64 v[54:55], v[64:65], -v[54:55]
	v_add_f64 v[52:53], v[70:71], v[52:53]
	v_add_f64 v[54:55], v[80:81], -v[54:55]
	v_add_f64 v[52:53], v[52:53], v[54:55]
	v_cmp_le_f64_e32 vcc, 0.5, v[64:65]
	v_mov_b32_e32 v54, 0x3ff00000
	s_mov_b32 s8, 0x33145c07
	v_cndmask_b32_e32 v97, 0, v54, vcc
	v_addc_co_u32_e64 v51, s[0:1], 0, v51, vcc
	v_add_f64 v[54:55], v[64:65], -v[96:97]
	v_add_f64 v[64:65], v[54:55], v[52:53]
	s_mov_b32 s0, 0x54442d18
	v_add_f64 v[54:55], v[64:65], -v[54:55]
	s_mov_b32 s1, 0x3ff921fb
	v_add_f64 v[52:53], v[52:53], -v[54:55]
	v_mul_f64 v[54:55], v[64:65], s[0:1]
	v_fma_f64 v[66:67], v[64:65], s[0:1], -v[54:55]
	s_mov_b32 s9, 0x3c91a626
	v_fmac_f64_e32 v[66:67], s[8:9], v[64:65]
	v_fmac_f64_e32 v[66:67], s[0:1], v[52:53]
	v_add_f64 v[52:53], v[54:55], v[66:67]
	v_add_f64 v[54:55], v[52:53], -v[54:55]
	v_add_f64 v[54:55], v[66:67], -v[54:55]
	s_andn2_saveexec_b64 s[0:1], s[6:7]
	s_cbranch_execnz .LBB5_318
	s_branch .LBB5_319
.LBB5_317:
	s_andn2_saveexec_b64 s[0:1], s[6:7]
	s_cbranch_execz .LBB5_319
.LBB5_318:
	s_mov_b32 s6, 0x6dc9c883
	s_mov_b32 s7, 0x3fe45f30
	v_mul_f64 v[52:53], |v[2:3]|, s[6:7]
	s_mov_b32 s6, 0x54442d18
	v_rndne_f64_e32 v[64:65], v[52:53]
	s_mov_b32 s7, 0xbff921fb
	v_fma_f64 v[52:53], v[64:65], s[6:7], |v[2:3]|
	s_mov_b32 s7, 0xbc91a626
	s_mov_b32 s6, 0x33145c00
	v_mul_f64 v[66:67], v[64:65], s[6:7]
	v_add_f64 v[70:71], v[52:53], v[66:67]
	v_fma_f64 v[54:55], s[6:7], v[64:65], v[52:53]
	s_mov_b32 s7, 0x3c91a626
	v_add_f64 v[52:53], v[52:53], -v[70:71]
	v_fma_f64 v[68:69], s[6:7], v[64:65], v[66:67]
	v_add_f64 v[52:53], v[52:53], v[66:67]
	v_add_f64 v[66:67], v[70:71], -v[54:55]
	v_add_f64 v[52:53], v[66:67], v[52:53]
	s_mov_b32 s6, 0x252049c0
	v_add_f64 v[66:67], v[52:53], -v[68:69]
	s_mov_b32 s7, 0xb97b839a
	v_fmac_f64_e32 v[66:67], s[6:7], v[64:65]
	v_add_f64 v[52:53], v[54:55], v[66:67]
	v_add_f64 v[54:55], v[52:53], -v[54:55]
	v_add_f64 v[54:55], v[66:67], -v[54:55]
	v_cvt_i32_f64_e32 v51, v[64:65]
.LBB5_319:
	s_or_b64 exec, exec, s[0:1]
	s_mov_b32 s0, 0
	v_mul_f64 v[64:65], v[4:5], v[4:5]
	s_mov_b32 s1, 0x40390000
	v_div_scale_f64 v[66:67], s[6:7], v[64:65], v[64:65], s[0:1]
	v_rcp_f64_e32 v[68:69], v[66:67]
	v_mov_b32_e32 v82, 0xb1759c7f
	v_mov_b32_e32 v83, 0x408ac370
	;; [unrolled: 1-line block ×3, first 2 shown]
	v_fma_f64 v[70:71], -v[66:67], v[68:69], 1.0
	v_fmac_f64_e32 v[68:69], v[68:69], v[70:71]
	v_fma_f64 v[70:71], -v[66:67], v[68:69], 1.0
	v_fmac_f64_e32 v[68:69], v[68:69], v[70:71]
	v_div_scale_f64 v[70:71], vcc, s[0:1], v[64:65], s[0:1]
	v_mul_f64 v[80:81], v[70:71], v[68:69]
	v_fma_f64 v[66:67], -v[66:67], v[80:81], v[70:71]
	v_mov_b32_e32 v70, 0xab5454e3
	s_nop 0
	v_div_fmas_f64 v[66:67], v[66:67], v[68:69], v[80:81]
	v_div_fixup_f64 v[64:65], v[66:67], v[64:65], s[0:1]
	v_mov_b32_e32 v66, 0x983b6b27
	v_mov_b32_e32 v67, 0x3f4a1d30
	v_fmac_f64_e32 v[66:67], 0, v[64:65]
	v_mov_b32_e32 v68, 0xb35dd1cf
	v_mov_b32_e32 v69, 0x3fb534b0
	v_fmac_f64_e32 v[68:69], v[64:65], v[66:67]
	;; [unrolled: 3-line block ×7, first 2 shown]
	v_mov_b32_e32 v71, 0x3fb5ebc5
	v_fmac_f64_e32 v[70:71], v[64:65], v[66:67]
	v_mov_b32_e32 v66, 0xc9b3069f
	v_mov_b32_e32 v67, 0x3ff40e72
	v_fmac_f64_e32 v[66:67], v[64:65], v[70:71]
	v_mov_b32_e32 v70, 0xe68162bb
	;; [unrolled: 3-line block ×4, first 2 shown]
	v_mov_b32_e32 v71, 0x40153965
	v_fmac_f64_e32 v[70:71], v[64:65], v[66:67]
	v_fma_f64 v[66:67], v[64:65], v[70:71], 1.0
	v_mov_b32_e32 v70, 0x38a5384a
	v_mov_b32_e32 v71, 0xbf874742
	v_fmac_f64_e32 v[70:71], 0, v[64:65]
	v_mov_b32_e32 v80, 0x3a321174
	v_mov_b32_e32 v81, 0xbff4853b
	v_fmac_f64_e32 v[80:81], v[64:65], v[70:71]
	v_mov_b32_e32 v70, 0xf50e2c0c
	v_mov_b32_e32 v71, 0xc0338dcf
	v_fmac_f64_e32 v[70:71], v[64:65], v[80:81]
	v_mov_b32_e32 v80, 0x5a6de8c4
	v_mov_b32_e32 v81, 0xc0574d2f
	v_fmac_f64_e32 v[80:81], v[64:65], v[70:71]
	v_mov_b32_e32 v70, 0x20cae8ea
	v_mov_b32_e32 v71, 0xc06635cc
	v_fmac_f64_e32 v[70:71], v[64:65], v[80:81]
	v_mov_b32_e32 v80, 0xec17392d
	v_mov_b32_e32 v81, 0xc062627a
	v_fmac_f64_e32 v[80:81], v[64:65], v[70:71]
	v_mov_b32_e32 v70, 0x55b218cd
	v_mov_b32_e32 v71, 0xc049b48c
	v_fmac_f64_e32 v[70:71], v[64:65], v[80:81]
	v_mov_b32_e32 v80, 0xd1b9a1dd
	v_mov_b32_e32 v81, 0xc0183358
	v_fmac_f64_e32 v[80:81], v[64:65], v[70:71]
	v_mov_b32_e32 v70, 0x413c25ac
	v_mov_b32_e32 v71, 0x40501457
	v_fmac_f64_e32 v[70:71], 0, v[64:65]
	v_fmac_f64_e32 v[82:83], v[64:65], v[70:71]
	v_mov_b32_e32 v70, 0xbd748cb5
	v_mov_b32_e32 v71, 0x40ae54cd
	v_fmac_f64_e32 v[70:71], v[64:65], v[82:83]
	v_mov_b32_e32 v82, 0xbdefd63e
	v_mov_b32_e32 v83, 0x40bc4877
	;; [unrolled: 3-line block ×4, first 2 shown]
	v_fma_f64 v[68:69], v[64:65], v[68:69], 1.0
	v_fmac_f64_e32 v[82:83], v[64:65], v[70:71]
	v_div_scale_f64 v[70:71], s[0:1], v[66:67], v[66:67], v[68:69]
	v_rcp_f64_e32 v[84:85], v[70:71]
	v_mov_b32_e32 v87, 0x406e402f
	v_fmac_f64_e32 v[86:87], v[64:65], v[82:83]
	s_mov_b32 s0, 0x9037ab78
	v_fma_f64 v[64:65], -v[70:71], v[84:85], 1.0
	v_fmac_f64_e32 v[84:85], v[84:85], v[64:65]
	v_fma_f64 v[64:65], -v[70:71], v[84:85], 1.0
	v_fmac_f64_e32 v[84:85], v[84:85], v[64:65]
	v_div_scale_f64 v[64:65], vcc, v[68:69], v[66:67], v[68:69]
	v_mul_f64 v[82:83], v[64:65], v[84:85]
	v_fma_f64 v[64:65], -v[70:71], v[82:83], v[64:65]
	s_mov_b32 s1, 0x3e21eeb6
	s_nop 0
	v_div_fmas_f64 v[64:65], v[64:65], v[84:85], v[82:83]
	s_mov_b32 s6, 0x46cc5e42
	v_div_fixup_f64 v[64:65], v[64:65], v[66:67], v[68:69]
	v_mul_f64 v[66:67], v[12:13], v[12:13]
	s_mov_b32 s7, 0xbda907db
	v_mov_b64_e32 v[84:85], s[0:1]
	s_mov_b32 s8, 0xa17f65f6
	v_mul_f64 v[68:69], v[66:67], 0.5
	v_fma_f64 v[96:97], s[6:7], v[66:67], v[84:85]
	s_mov_b32 s9, 0xbe927e4f
	s_mov_b32 s10, 0x19f4ec90
	v_add_f64 v[70:71], -v[68:69], 1.0
	v_fma_f64 v[96:97], v[66:67], v[96:97], s[8:9]
	s_mov_b32 s11, 0x3efa01a0
	s_mov_b32 s12, 0x16c16967
	v_add_f64 v[82:83], -v[70:71], 1.0
	v_fma_f64 v[96:97], v[66:67], v[96:97], s[10:11]
	s_mov_b32 s13, 0xbf56c16c
	s_mov_b32 s14, 0x55555555
	v_add_f64 v[68:69], v[82:83], -v[68:69]
	v_fma_f64 v[96:97], v[66:67], v[96:97], s[12:13]
	s_mov_b32 s15, 0x3fa55555
	v_mul_f64 v[82:83], v[66:67], v[66:67]
	v_fma_f64 v[96:97], v[66:67], v[96:97], s[14:15]
	v_fma_f64 v[68:69], v[12:13], -v[38:39], v[68:69]
	s_mov_b32 s0, 0xb42fdfa7
	v_fmac_f64_e32 v[68:69], v[82:83], v[96:97]
	s_mov_b32 s1, 0xbe5ae600
	s_mov_b32 s16, 0xf9a43bb8
	v_add_f64 v[68:69], v[70:71], v[68:69]
	s_mov_b32 s17, 0x3de5e0b2
	v_mov_b64_e32 v[70:71], s[0:1]
	s_mov_b32 s18, 0x796cde01
	v_fma_f64 v[82:83], s[16:17], v[66:67], v[70:71]
	s_mov_b32 s19, 0x3ec71de3
	s_mov_b32 s20, 0x19e83e5c
	v_fma_f64 v[82:83], v[66:67], v[82:83], s[18:19]
	s_mov_b32 s21, 0xbf2a01a0
	;; [unrolled: 3-line block ×3, first 2 shown]
	v_fma_f64 v[82:83], v[66:67], v[82:83], s[22:23]
	v_mul_f64 v[96:97], v[12:13], -v[66:67]
	v_mul_f64 v[98:99], v[38:39], 0.5
	v_fmac_f64_e32 v[98:99], v[96:97], v[82:83]
	v_fma_f64 v[38:39], v[66:67], v[98:99], -v[38:39]
	s_mov_b32 s25, 0xbfc55555
	s_mov_b32 s24, s14
	v_fmac_f64_e32 v[38:39], s[24:25], v[96:97]
	v_add_f64 v[12:13], v[12:13], -v[38:39]
	v_and_b32_e32 v38, 1, v49
	v_cmp_eq_u32_e32 vcc, 0, v38
	s_mov_b32 s26, 0
	s_mov_b32 s27, 0x40140000
	v_cndmask_b32_e32 v66, v68, v12, vcc
	v_cndmask_b32_e32 v12, v69, v13, vcc
	v_lshlrev_b32_e32 v13, 30, v49
	v_xor_b32_e32 v13, v13, v3
	v_and_b32_e32 v13, 0x80000000, v13
	v_xor_b32_e32 v49, v12, v13
	v_div_scale_f64 v[12:13], s[0:1], v[4:5], v[4:5], s[26:27]
	v_rcp_f64_e32 v[38:39], v[12:13]
	s_movk_i32 s28, 0x1f8
	v_cmp_class_f64_e64 s[0:1], v[2:3], s28
	v_mov_b32_e32 v96, 0x7ff80000
	s_nop 0
	v_cndmask_b32_e64 v2, 0, v66, s[0:1]
	v_fma_f64 v[66:67], -v[12:13], v[38:39], 1.0
	v_fmac_f64_e32 v[38:39], v[38:39], v[66:67]
	v_fma_f64 v[66:67], -v[12:13], v[38:39], 1.0
	v_fmac_f64_e32 v[38:39], v[38:39], v[66:67]
	v_div_scale_f64 v[66:67], vcc, s[26:27], v[4:5], s[26:27]
	v_mul_f64 v[68:69], v[66:67], v[38:39]
	v_fma_f64 v[12:13], -v[12:13], v[68:69], v[66:67]
	v_div_scale_f64 v[66:67], s[28:29], v[86:87], v[86:87], v[80:81]
	v_rcp_f64_e32 v[82:83], v[66:67]
	v_div_fmas_f64 v[12:13], v[12:13], v[38:39], v[68:69]
	v_div_fixup_f64 v[12:13], v[12:13], v[4:5], s[26:27]
	v_cndmask_b32_e64 v3, v96, v49, s[0:1]
	v_fma_f64 v[38:39], -v[66:67], v[82:83], 1.0
	v_fmac_f64_e32 v[82:83], v[82:83], v[38:39]
	v_fma_f64 v[38:39], -v[66:67], v[82:83], 1.0
	v_fmac_f64_e32 v[82:83], v[82:83], v[38:39]
	v_div_scale_f64 v[38:39], vcc, v[80:81], v[86:87], v[80:81]
	v_mul_f64 v[68:69], v[38:39], v[82:83]
	v_fma_f64 v[38:39], -v[66:67], v[68:69], v[38:39]
	v_and_b32_e32 v49, 1, v51
	s_nop 0
	v_div_fmas_f64 v[38:39], v[38:39], v[82:83], v[68:69]
	v_div_fixup_f64 v[38:39], v[38:39], v[86:87], v[80:81]
	v_mul_f64 v[12:13], v[12:13], v[38:39]
	v_mul_f64 v[38:39], v[52:53], v[52:53]
	v_mul_f64 v[66:67], v[38:39], 0.5
	v_fmac_f64_e32 v[84:85], s[6:7], v[38:39]
	v_add_f64 v[68:69], -v[66:67], 1.0
	v_fma_f64 v[82:83], v[38:39], v[84:85], s[8:9]
	v_add_f64 v[80:81], -v[68:69], 1.0
	v_fma_f64 v[82:83], v[38:39], v[82:83], s[10:11]
	v_add_f64 v[66:67], v[80:81], -v[66:67]
	v_fma_f64 v[82:83], v[38:39], v[82:83], s[12:13]
	v_mul_f64 v[80:81], v[38:39], v[38:39]
	v_fma_f64 v[82:83], v[38:39], v[82:83], s[14:15]
	v_fma_f64 v[66:67], v[52:53], -v[54:55], v[66:67]
	v_fmac_f64_e32 v[66:67], v[80:81], v[82:83]
	v_fmac_f64_e32 v[70:71], s[16:17], v[38:39]
	v_add_f64 v[66:67], v[68:69], v[66:67]
	v_fma_f64 v[68:69], v[38:39], v[70:71], s[18:19]
	v_fma_f64 v[68:69], v[38:39], v[68:69], s[20:21]
	;; [unrolled: 1-line block ×3, first 2 shown]
	v_mul_f64 v[70:71], v[52:53], -v[38:39]
	v_mul_f64 v[80:81], v[54:55], 0.5
	v_fmac_f64_e32 v[80:81], v[70:71], v[68:69]
	v_fma_f64 v[38:39], v[38:39], v[80:81], -v[54:55]
	v_fmac_f64_e32 v[38:39], s[24:25], v[70:71]
	v_add_f64 v[38:39], v[52:53], -v[38:39]
	v_xor_b32_e32 v39, 0x80000000, v39
	v_cmp_eq_u32_e32 vcc, 0, v49
	v_lshlrev_b32_e32 v49, 30, v51
	v_and_b32_e32 v49, 0x80000000, v49
	v_cndmask_b32_e32 v39, v39, v67, vcc
	v_cndmask_b32_e32 v38, v38, v66, vcc
	v_xor_b32_e32 v39, v39, v49
	v_cndmask_b32_e64 v38, 0, v38, s[0:1]
	v_cndmask_b32_e64 v39, v96, v39, s[0:1]
	s_mov_b32 s0, 0
	s_brev_b32 s1, 8
	v_mul_f64 v[12:13], v[12:13], v[38:39]
	v_cmp_gt_f64_e32 vcc, s[0:1], v[4:5]
	v_fmac_f64_e32 v[12:13], v[64:65], v[2:3]
	s_mov_b32 s0, 0x33d43651
	v_cndmask_b32_e64 v2, 0, 1, vcc
	v_lshlrev_b32_e32 v2, 8, v2
	v_ldexp_f64 v[2:3], v[4:5], v2
	v_rsq_f64_e32 v[4:5], v[2:3]
	s_mov_b32 s1, 0x3fe98845
	v_mul_f64 v[12:13], v[12:13], s[0:1]
	v_mul_f64 v[38:39], v[2:3], v[4:5]
	v_mul_f64 v[4:5], v[4:5], 0.5
	v_fma_f64 v[52:53], -v[4:5], v[38:39], 0.5
	v_fmac_f64_e32 v[38:39], v[38:39], v[52:53]
	v_fma_f64 v[54:55], -v[38:39], v[38:39], v[2:3]
	v_fmac_f64_e32 v[4:5], v[4:5], v[52:53]
	v_fmac_f64_e32 v[38:39], v[54:55], v[4:5]
	v_fma_f64 v[52:53], -v[38:39], v[38:39], v[2:3]
	v_fmac_f64_e32 v[38:39], v[52:53], v[4:5]
	v_mov_b32_e32 v4, 0xffffff80
	v_cndmask_b32_e32 v4, 0, v4, vcc
	v_ldexp_f64 v[4:5], v[38:39], v4
	v_mov_b32_e32 v38, 0x260
	v_cmp_class_f64_e32 vcc, v[2:3], v38
	s_nop 1
	v_cndmask_b32_e32 v3, v5, v3, vcc
	v_cndmask_b32_e32 v2, v4, v2, vcc
	v_div_scale_f64 v[4:5], s[0:1], v[2:3], v[2:3], v[12:13]
	v_rcp_f64_e32 v[38:39], v[4:5]
	s_nop 0
	v_fma_f64 v[52:53], -v[4:5], v[38:39], 1.0
	v_fmac_f64_e32 v[38:39], v[38:39], v[52:53]
	v_fma_f64 v[52:53], -v[4:5], v[38:39], 1.0
	v_fmac_f64_e32 v[38:39], v[38:39], v[52:53]
	v_div_scale_f64 v[52:53], vcc, v[12:13], v[2:3], v[12:13]
	v_mul_f64 v[54:55], v[52:53], v[38:39]
	v_fma_f64 v[4:5], -v[4:5], v[54:55], v[52:53]
	s_nop 1
	v_div_fmas_f64 v[4:5], v[4:5], v[38:39], v[54:55]
	v_div_fixup_f64 v[12:13], v[4:5], v[2:3], v[12:13]
.LBB5_320:
	s_or_b64 exec, exec, s[4:5]
	v_lshl_add_u64 v[0:1], s[2:3], 3, v[0:1]
	v_mov_b32_e32 v49, 0
	v_lshl_add_u64 v[2:3], v[0:1], 0, v[48:49]
	s_movk_i32 s0, 0x1000
	v_add_co_u32_e32 v4, vcc, s0, v2
	s_movk_i32 s0, 0x2000
	s_nop 0
	v_addc_co_u32_e32 v5, vcc, 0, v3, vcc
	flat_store_dwordx4 v[4:5], v[14:17]
	v_add_co_u32_e32 v4, vcc, s0, v2
	s_movk_i32 s0, 0x3000
	s_nop 0
	v_addc_co_u32_e32 v5, vcc, 0, v3, vcc
	flat_store_dwordx4 v[4:5], v[22:25]
	v_add_co_u32_e32 v4, vcc, s0, v2
	v_mov_b32_e32 v51, v49
	s_nop 0
	v_addc_co_u32_e32 v5, vcc, 0, v3, vcc
	v_lshl_add_u64 v[0:1], v[0:1], 0, v[50:51]
	s_movk_i32 s0, 0x5000
	flat_store_dwordx4 v[0:1], v[34:37]
	v_add_co_u32_e32 v0, vcc, s0, v2
	s_movk_i32 s0, 0x6000
	s_nop 0
	v_addc_co_u32_e32 v1, vcc, 0, v3, vcc
	flat_store_dwordx4 v[0:1], v[26:29]
	v_add_co_u32_e32 v0, vcc, s0, v2
	flat_store_dwordx4 v[2:3], v[6:9]
	s_nop 0
	v_addc_co_u32_e32 v1, vcc, 0, v3, vcc
	flat_store_dwordx4 v[0:1], v[18:21]
	v_add_co_u32_e32 v0, vcc, 0x7000, v2
	flat_store_dwordx4 v[4:5], v[30:33]
	s_nop 0
	v_addc_co_u32_e32 v1, vcc, 0, v3, vcc
	flat_store_dwordx4 v[0:1], v[10:13]
	s_waitcnt vmcnt(0) lgkmcnt(0)
	s_setpc_b64 s[30:31]
.Lfunc_end5:
	.size	_ZN2at6native25elementwise_kernel_helperILb0EZZZNS0_12_GLOBAL__N_121bessel_y0_kernel_cudaERNS_18TensorIteratorBaseEENKUlvE_clEvENKUlvE_clEvEUldE_NS0_6memory8policies10vectorizedILi2ESt5arrayIPcLm2EELi16EEEEEvT0_T1_, .Lfunc_end5-_ZN2at6native25elementwise_kernel_helperILb0EZZZNS0_12_GLOBAL__N_121bessel_y0_kernel_cudaERNS_18TensorIteratorBaseEENKUlvE_clEvENKUlvE_clEvEUldE_NS0_6memory8policies10vectorizedILi2ESt5arrayIPcLm2EELi16EEEEEvT0_T1_
                                        ; -- End function
	.section	.AMDGPU.csdata,"",@progbits
; Function info:
; codeLenInByte = 84208
; NumSgprs: 38
; NumVgprs: 100
; NumAgprs: 0
; TotalNumVgprs: 100
; ScratchSize: 0
; MemoryBound: 0
	.section	.text._ZN2at6native29vectorized_elementwise_kernelILi2EZZZNS0_12_GLOBAL__N_121bessel_y0_kernel_cudaERNS_18TensorIteratorBaseEENKUlvE_clEvENKUlvE_clEvEUldE_St5arrayIPcLm2EEEEviT0_T1_,"axG",@progbits,_ZN2at6native29vectorized_elementwise_kernelILi2EZZZNS0_12_GLOBAL__N_121bessel_y0_kernel_cudaERNS_18TensorIteratorBaseEENKUlvE_clEvENKUlvE_clEvEUldE_St5arrayIPcLm2EEEEviT0_T1_,comdat
	.globl	_ZN2at6native29vectorized_elementwise_kernelILi2EZZZNS0_12_GLOBAL__N_121bessel_y0_kernel_cudaERNS_18TensorIteratorBaseEENKUlvE_clEvENKUlvE_clEvEUldE_St5arrayIPcLm2EEEEviT0_T1_ ; -- Begin function _ZN2at6native29vectorized_elementwise_kernelILi2EZZZNS0_12_GLOBAL__N_121bessel_y0_kernel_cudaERNS_18TensorIteratorBaseEENKUlvE_clEvENKUlvE_clEvEUldE_St5arrayIPcLm2EEEEviT0_T1_
	.p2align	8
	.type	_ZN2at6native29vectorized_elementwise_kernelILi2EZZZNS0_12_GLOBAL__N_121bessel_y0_kernel_cudaERNS_18TensorIteratorBaseEENKUlvE_clEvENKUlvE_clEvEUldE_St5arrayIPcLm2EEEEviT0_T1_,@function
_ZN2at6native29vectorized_elementwise_kernelILi2EZZZNS0_12_GLOBAL__N_121bessel_y0_kernel_cudaERNS_18TensorIteratorBaseEENKUlvE_clEvENKUlvE_clEvEUldE_St5arrayIPcLm2EEEEviT0_T1_: ; @_ZN2at6native29vectorized_elementwise_kernelILi2EZZZNS0_12_GLOBAL__N_121bessel_y0_kernel_cudaERNS_18TensorIteratorBaseEENKUlvE_clEvENKUlvE_clEvEUldE_St5arrayIPcLm2EEEEviT0_T1_
; %bb.0:
	s_mov_b32 s33, s2
	s_load_dword s2, s[0:1], 0x0
	s_load_dwordx4 s[36:39], s[0:1], 0x8
	s_lshl_b32 s0, s33, 12
	v_mov_b32_e32 v40, v0
	s_mov_b32 s32, 0
	s_waitcnt lgkmcnt(0)
	s_sub_i32 s34, s2, s0
	s_cmpk_gt_i32 s34, 0xfff
	s_mov_b64 s[0:1], -1
	s_cbranch_scc1 .LBB6_3
; %bb.1:
	s_andn2_b64 vcc, exec, s[0:1]
	s_cbranch_vccz .LBB6_4
.LBB6_2:
	s_endpgm
.LBB6_3:
	s_mov_b32 s12, s33
	v_mov_b32_e32 v31, v40
	v_mov_b32_e32 v0, s36
	;; [unrolled: 1-line block ×5, first 2 shown]
	s_getpc_b64 s[0:1]
	s_add_u32 s0, s0, _ZN2at6native25elementwise_kernel_helperILb0EZZZNS0_12_GLOBAL__N_121bessel_y0_kernel_cudaERNS_18TensorIteratorBaseEENKUlvE_clEvENKUlvE_clEvEUldE_NS0_6memory8policies10vectorizedILi2ESt5arrayIPcLm2EELi16EEEEEvT0_T1_@rel32@lo+4
	s_addc_u32 s1, s1, _ZN2at6native25elementwise_kernel_helperILb0EZZZNS0_12_GLOBAL__N_121bessel_y0_kernel_cudaERNS_18TensorIteratorBaseEENKUlvE_clEvENKUlvE_clEvEUldE_NS0_6memory8policies10vectorizedILi2ESt5arrayIPcLm2EELi16EEEEEvT0_T1_@rel32@hi+12
	s_swappc_b64 s[30:31], s[0:1]
	s_cbranch_execnz .LBB6_2
.LBB6_4:
	s_mov_b32 s12, s33
	v_mov_b32_e32 v31, v40
	v_mov_b32_e32 v0, s36
	;; [unrolled: 1-line block ×6, first 2 shown]
	s_getpc_b64 s[0:1]
	s_add_u32 s0, s0, _ZN2at6native25elementwise_kernel_helperILb0EZZZNS0_12_GLOBAL__N_121bessel_y0_kernel_cudaERNS_18TensorIteratorBaseEENKUlvE_clEvENKUlvE_clEvEUldE_NS0_6memory8policies11unroll_baseILi256ESt5arrayIPcLm2EE23TrivialOffsetCalculatorILi1EjESF_NS8_15LoadWithoutCastENS8_16StoreWithoutCastELi16ELi1EEEEEvT0_T1_@rel32@lo+4
	s_addc_u32 s1, s1, _ZN2at6native25elementwise_kernel_helperILb0EZZZNS0_12_GLOBAL__N_121bessel_y0_kernel_cudaERNS_18TensorIteratorBaseEENKUlvE_clEvENKUlvE_clEvEUldE_NS0_6memory8policies11unroll_baseILi256ESt5arrayIPcLm2EE23TrivialOffsetCalculatorILi1EjESF_NS8_15LoadWithoutCastENS8_16StoreWithoutCastELi16ELi1EEEEEvT0_T1_@rel32@hi+12
	s_swappc_b64 s[30:31], s[0:1]
	s_endpgm
	.section	.rodata,"a",@progbits
	.p2align	6, 0x0
	.amdhsa_kernel _ZN2at6native29vectorized_elementwise_kernelILi2EZZZNS0_12_GLOBAL__N_121bessel_y0_kernel_cudaERNS_18TensorIteratorBaseEENKUlvE_clEvENKUlvE_clEvEUldE_St5arrayIPcLm2EEEEviT0_T1_
		.amdhsa_group_segment_fixed_size 0
		.amdhsa_private_segment_fixed_size 8
		.amdhsa_kernarg_size 24
		.amdhsa_user_sgpr_count 2
		.amdhsa_user_sgpr_dispatch_ptr 0
		.amdhsa_user_sgpr_queue_ptr 0
		.amdhsa_user_sgpr_kernarg_segment_ptr 1
		.amdhsa_user_sgpr_dispatch_id 0
		.amdhsa_user_sgpr_kernarg_preload_length 0
		.amdhsa_user_sgpr_kernarg_preload_offset 0
		.amdhsa_user_sgpr_private_segment_size 0
		.amdhsa_uses_dynamic_stack 0
		.amdhsa_enable_private_segment 1
		.amdhsa_system_sgpr_workgroup_id_x 1
		.amdhsa_system_sgpr_workgroup_id_y 0
		.amdhsa_system_sgpr_workgroup_id_z 0
		.amdhsa_system_sgpr_workgroup_info 0
		.amdhsa_system_vgpr_workitem_id 0
		.amdhsa_next_free_vgpr 102
		.amdhsa_next_free_sgpr 40
		.amdhsa_accum_offset 104
		.amdhsa_reserve_vcc 1
		.amdhsa_float_round_mode_32 0
		.amdhsa_float_round_mode_16_64 0
		.amdhsa_float_denorm_mode_32 3
		.amdhsa_float_denorm_mode_16_64 3
		.amdhsa_dx10_clamp 1
		.amdhsa_ieee_mode 1
		.amdhsa_fp16_overflow 0
		.amdhsa_tg_split 0
		.amdhsa_exception_fp_ieee_invalid_op 0
		.amdhsa_exception_fp_denorm_src 0
		.amdhsa_exception_fp_ieee_div_zero 0
		.amdhsa_exception_fp_ieee_overflow 0
		.amdhsa_exception_fp_ieee_underflow 0
		.amdhsa_exception_fp_ieee_inexact 0
		.amdhsa_exception_int_div_zero 0
	.end_amdhsa_kernel
	.section	.text._ZN2at6native29vectorized_elementwise_kernelILi2EZZZNS0_12_GLOBAL__N_121bessel_y0_kernel_cudaERNS_18TensorIteratorBaseEENKUlvE_clEvENKUlvE_clEvEUldE_St5arrayIPcLm2EEEEviT0_T1_,"axG",@progbits,_ZN2at6native29vectorized_elementwise_kernelILi2EZZZNS0_12_GLOBAL__N_121bessel_y0_kernel_cudaERNS_18TensorIteratorBaseEENKUlvE_clEvENKUlvE_clEvEUldE_St5arrayIPcLm2EEEEviT0_T1_,comdat
.Lfunc_end6:
	.size	_ZN2at6native29vectorized_elementwise_kernelILi2EZZZNS0_12_GLOBAL__N_121bessel_y0_kernel_cudaERNS_18TensorIteratorBaseEENKUlvE_clEvENKUlvE_clEvEUldE_St5arrayIPcLm2EEEEviT0_T1_, .Lfunc_end6-_ZN2at6native29vectorized_elementwise_kernelILi2EZZZNS0_12_GLOBAL__N_121bessel_y0_kernel_cudaERNS_18TensorIteratorBaseEENKUlvE_clEvENKUlvE_clEvEUldE_St5arrayIPcLm2EEEEviT0_T1_
                                        ; -- End function
	.section	.AMDGPU.csdata,"",@progbits
; Kernel info:
; codeLenInByte = 172
; NumSgprs: 46
; NumVgprs: 102
; NumAgprs: 0
; TotalNumVgprs: 102
; ScratchSize: 8
; MemoryBound: 0
; FloatMode: 240
; IeeeMode: 1
; LDSByteSize: 0 bytes/workgroup (compile time only)
; SGPRBlocks: 5
; VGPRBlocks: 12
; NumSGPRsForWavesPerEU: 46
; NumVGPRsForWavesPerEU: 102
; AccumOffset: 104
; Occupancy: 4
; WaveLimiterHint : 1
; COMPUTE_PGM_RSRC2:SCRATCH_EN: 1
; COMPUTE_PGM_RSRC2:USER_SGPR: 2
; COMPUTE_PGM_RSRC2:TRAP_HANDLER: 0
; COMPUTE_PGM_RSRC2:TGID_X_EN: 1
; COMPUTE_PGM_RSRC2:TGID_Y_EN: 0
; COMPUTE_PGM_RSRC2:TGID_Z_EN: 0
; COMPUTE_PGM_RSRC2:TIDIG_COMP_CNT: 0
; COMPUTE_PGM_RSRC3_GFX90A:ACCUM_OFFSET: 25
; COMPUTE_PGM_RSRC3_GFX90A:TG_SPLIT: 0
	.section	.text._ZN2at6native27unrolled_elementwise_kernelIZZZNS0_12_GLOBAL__N_121bessel_y0_kernel_cudaERNS_18TensorIteratorBaseEENKUlvE_clEvENKUlvE_clEvEUldE_St5arrayIPcLm2EELi4E23TrivialOffsetCalculatorILi1EjESC_NS0_6memory15LoadWithoutCastENSD_16StoreWithoutCastEEEviT_T0_T2_T3_T4_T5_,"axG",@progbits,_ZN2at6native27unrolled_elementwise_kernelIZZZNS0_12_GLOBAL__N_121bessel_y0_kernel_cudaERNS_18TensorIteratorBaseEENKUlvE_clEvENKUlvE_clEvEUldE_St5arrayIPcLm2EELi4E23TrivialOffsetCalculatorILi1EjESC_NS0_6memory15LoadWithoutCastENSD_16StoreWithoutCastEEEviT_T0_T2_T3_T4_T5_,comdat
	.globl	_ZN2at6native27unrolled_elementwise_kernelIZZZNS0_12_GLOBAL__N_121bessel_y0_kernel_cudaERNS_18TensorIteratorBaseEENKUlvE_clEvENKUlvE_clEvEUldE_St5arrayIPcLm2EELi4E23TrivialOffsetCalculatorILi1EjESC_NS0_6memory15LoadWithoutCastENSD_16StoreWithoutCastEEEviT_T0_T2_T3_T4_T5_ ; -- Begin function _ZN2at6native27unrolled_elementwise_kernelIZZZNS0_12_GLOBAL__N_121bessel_y0_kernel_cudaERNS_18TensorIteratorBaseEENKUlvE_clEvENKUlvE_clEvEUldE_St5arrayIPcLm2EELi4E23TrivialOffsetCalculatorILi1EjESC_NS0_6memory15LoadWithoutCastENSD_16StoreWithoutCastEEEviT_T0_T2_T3_T4_T5_
	.p2align	8
	.type	_ZN2at6native27unrolled_elementwise_kernelIZZZNS0_12_GLOBAL__N_121bessel_y0_kernel_cudaERNS_18TensorIteratorBaseEENKUlvE_clEvENKUlvE_clEvEUldE_St5arrayIPcLm2EELi4E23TrivialOffsetCalculatorILi1EjESC_NS0_6memory15LoadWithoutCastENSD_16StoreWithoutCastEEEviT_T0_T2_T3_T4_T5_,@function
_ZN2at6native27unrolled_elementwise_kernelIZZZNS0_12_GLOBAL__N_121bessel_y0_kernel_cudaERNS_18TensorIteratorBaseEENKUlvE_clEvENKUlvE_clEvEUldE_St5arrayIPcLm2EELi4E23TrivialOffsetCalculatorILi1EjESC_NS0_6memory15LoadWithoutCastENSD_16StoreWithoutCastEEEviT_T0_T2_T3_T4_T5_: ; @_ZN2at6native27unrolled_elementwise_kernelIZZZNS0_12_GLOBAL__N_121bessel_y0_kernel_cudaERNS_18TensorIteratorBaseEENKUlvE_clEvENKUlvE_clEvEUldE_St5arrayIPcLm2EELi4E23TrivialOffsetCalculatorILi1EjESC_NS0_6memory15LoadWithoutCastENSD_16StoreWithoutCastEEEviT_T0_T2_T3_T4_T5_
; %bb.0:
	s_load_dword s3, s[0:1], 0x0
	s_load_dwordx4 s[4:7], s[0:1], 0x8
	s_lshl_b32 s22, s2, 10
	v_mov_b64_e32 v[16:17], 0
	v_or_b32_e32 v10, s22, v0
	s_waitcnt lgkmcnt(0)
	s_sub_i32 s23, s3, s22
	v_cmp_gt_i32_e64 s[0:1], s23, v0
	v_mov_b64_e32 v[18:19], v[16:17]
	v_mov_b32_e32 v1, v0
	s_and_saveexec_b64 s[2:3], s[0:1]
	s_cbranch_execz .LBB7_2
; %bb.1:
	v_mov_b32_e32 v11, 0
	v_lshl_add_u64 v[2:3], v[10:11], 3, s[6:7]
	global_load_dwordx2 v[18:19], v[2:3], off
	v_or_b32_e32 v1, 0x100, v0
.LBB7_2:
	s_or_b64 exec, exec, s[2:3]
	v_cmp_gt_i32_e32 vcc, s23, v1
	s_and_saveexec_b64 s[2:3], vcc
	s_cbranch_execz .LBB7_4
; %bb.3:
	v_add_u32_e32 v2, s22, v1
	v_mov_b32_e32 v3, 0
	v_lshl_add_u64 v[2:3], v[2:3], 3, s[6:7]
	global_load_dwordx2 v[16:17], v[2:3], off
	v_add_u32_e32 v1, 0x100, v1
.LBB7_4:
	s_or_b64 exec, exec, s[2:3]
	v_mov_b64_e32 v[12:13], 0
	v_cmp_gt_i32_e32 vcc, s23, v1
	v_mov_b64_e32 v[14:15], v[12:13]
	s_and_saveexec_b64 s[2:3], vcc
	s_cbranch_execz .LBB7_7
; %bb.5:
	v_add_u32_e32 v2, s22, v1
	v_mov_b32_e32 v3, 0
	v_lshl_add_u64 v[2:3], v[2:3], 3, s[6:7]
	global_load_dwordx2 v[14:15], v[2:3], off
	v_add_u32_e32 v1, 0x100, v1
	s_or_b64 exec, exec, s[2:3]
	v_cmp_gt_i32_e32 vcc, s23, v1
	s_and_saveexec_b64 s[2:3], vcc
	s_cbranch_execnz .LBB7_8
.LBB7_6:
	s_or_b64 exec, exec, s[2:3]
                                        ; implicit-def: $vgpr2_vgpr3_vgpr4_vgpr5_vgpr6_vgpr7_vgpr8_vgpr9
	s_and_saveexec_b64 s[6:7], s[0:1]
	s_cbranch_execnz .LBB7_9
	s_branch .LBB7_30
.LBB7_7:
	s_or_b64 exec, exec, s[2:3]
	v_cmp_gt_i32_e32 vcc, s23, v1
	s_and_saveexec_b64 s[2:3], vcc
	s_cbranch_execz .LBB7_6
.LBB7_8:
	v_add_u32_e32 v2, s22, v1
	v_mov_b32_e32 v3, 0
	v_lshl_add_u64 v[2:3], v[2:3], 3, s[6:7]
	global_load_dwordx2 v[12:13], v[2:3], off
	s_or_b64 exec, exec, s[2:3]
                                        ; implicit-def: $vgpr2_vgpr3_vgpr4_vgpr5_vgpr6_vgpr7_vgpr8_vgpr9
	s_and_saveexec_b64 s[6:7], s[0:1]
	s_cbranch_execz .LBB7_30
.LBB7_9:
	s_mov_b32 s2, 0
	s_mov_b32 s3, 0x40140000
	s_waitcnt vmcnt(0)
	v_cmp_ge_f64_e32 vcc, s[2:3], v[18:19]
                                        ; implicit-def: $vgpr2_vgpr3
	s_and_saveexec_b64 s[2:3], vcc
	s_xor_b64 s[2:3], exec, s[2:3]
	s_cbranch_execz .LBB7_19
; %bb.10:
	v_mov_b32_e32 v2, 0
	v_cmp_neq_f64_e32 vcc, 0, v[18:19]
	v_mov_b32_e32 v3, 0xfff00000
	s_and_saveexec_b64 s[8:9], vcc
	s_cbranch_execz .LBB7_18
; %bb.11:
	v_mov_b32_e32 v2, 0
	v_cmp_ngt_f64_e32 vcc, 0, v[18:19]
	v_mov_b32_e32 v3, 0x7ff80000
	s_and_saveexec_b64 s[10:11], vcc
	s_cbranch_execz .LBB7_17
; %bb.12:
	s_mov_b32 s12, 0x88e368f1
	v_mul_f64 v[2:3], v[18:19], v[18:19]
	s_mov_b32 s13, 0x3ee4f8b5
	v_mul_f64 v[6:7], v[2:3], 0
	v_cmp_ngt_f64_e32 vcc, s[12:13], v[18:19]
                                        ; implicit-def: $vgpr4_vgpr5
	s_and_saveexec_b64 s[12:13], vcc
	s_xor_b64 s[12:13], exec, s[12:13]
	s_cbranch_execz .LBB7_14
; %bb.13:
	s_mov_b32 s14, 0xad1c8325
	s_mov_b32 s15, 0xc1f1dc53
	v_add_f64 v[4:5], v[6:7], s[14:15]
	v_mov_b32_e32 v8, 0xc772990d
	v_mov_b32_e32 v9, 0x427c7751
	s_mov_b32 s14, 0xa696b78c
	v_fmac_f64_e32 v[8:9], v[2:3], v[4:5]
	v_mov_b32_e32 v4, 0xe0d900f7
	v_mov_b32_e32 v5, 0xc2ec5614
	s_mov_b32 s15, 0x407f3902
	v_fmac_f64_e32 v[4:5], v[2:3], v[8:9]
	v_add_f64 v[8:9], v[6:7], s[14:15]
	v_mov_b32_e32 v20, 0x36a21a67
	v_mov_b32_e32 v21, 0x410536cb
	v_fmac_f64_e32 v[20:21], v[2:3], v[8:9]
	v_mov_b32_e32 v8, 0x2eac0634
	v_mov_b32_e32 v9, 0x41871934
	v_fmac_f64_e32 v[8:9], v[2:3], v[20:21]
	;; [unrolled: 3-line block ×6, first 2 shown]
	v_mov_b32_e32 v20, 0xc7b662cc
	v_mov_b32_e32 v21, 0x43b7be34
	s_mov_b32 s14, 0x80462bbb
	v_fmac_f64_e32 v[20:21], v[2:3], v[8:9]
	v_mov_b32_e32 v8, 0x69ff5fb4
	v_mov_b32_e32 v9, 0x43413ef8
	s_mov_b32 s15, 0xc01721fb
	v_fmac_f64_e32 v[8:9], v[2:3], v[4:5]
	v_add_f64 v[4:5], v[2:3], s[14:15]
	s_mov_b32 s14, 0xa621dd6f
	s_mov_b32 s15, 0xc03e78a4
	v_add_f64 v[22:23], v[2:3], s[14:15]
	v_mul_f64 v[4:5], v[4:5], v[22:23]
	v_mul_f64 v[4:5], v[4:5], v[8:9]
	v_div_scale_f64 v[8:9], s[14:15], v[20:21], v[20:21], v[4:5]
	v_rcp_f64_e32 v[22:23], v[8:9]
	s_nop 0
	v_fma_f64 v[24:25], -v[8:9], v[22:23], 1.0
	v_fmac_f64_e32 v[22:23], v[22:23], v[24:25]
	v_fma_f64 v[24:25], -v[8:9], v[22:23], 1.0
	v_fmac_f64_e32 v[22:23], v[22:23], v[24:25]
	v_div_scale_f64 v[24:25], vcc, v[4:5], v[20:21], v[4:5]
	v_mul_f64 v[26:27], v[24:25], v[22:23]
	v_fma_f64 v[8:9], -v[8:9], v[26:27], v[24:25]
	s_nop 1
	v_div_fmas_f64 v[8:9], v[8:9], v[22:23], v[26:27]
	v_div_fixup_f64 v[4:5], v[8:9], v[20:21], v[4:5]
.LBB7_14:
	s_andn2_saveexec_b64 s[12:13], s[12:13]
; %bb.15:
	s_mov_b32 s14, 0
	s_mov_b32 s15, 0xbfd00000
	v_fma_f64 v[4:5], v[2:3], s[14:15], 1.0
; %bb.16:
	s_or_b64 exec, exec, s[12:13]
	s_mov_b32 s12, 0xe896898f
	s_mov_b32 s13, 0x40ce7437
	v_add_f64 v[8:9], v[6:7], s[12:13]
	v_mov_b32_e32 v20, 0x32e48896
	v_mov_b32_e32 v21, 0xc16bf81f
	v_fmac_f64_e32 v[20:21], v[2:3], v[8:9]
	v_mov_b32_e32 v8, 0xf0284cdd
	v_mov_b32_e32 v9, 0x41f43f78
	v_fmac_f64_e32 v[8:9], v[2:3], v[20:21]
	;; [unrolled: 3-line block ×4, first 2 shown]
	v_mov_b32_e32 v20, 0xd1d8cc02
	v_mov_b32_e32 v21, 0xc328a121
	s_mov_b32 s12, 0x576dfcb6
	v_fmac_f64_e32 v[20:21], v[2:3], v[8:9]
	v_mov_b32_e32 v8, 0x660b4003
	v_mov_b32_e32 v9, 0x4363a94b
	s_mov_b32 s13, 0x40904522
	v_fmac_f64_e32 v[8:9], v[2:3], v[20:21]
	v_add_f64 v[6:7], v[6:7], s[12:13]
	v_mov_b32_e32 v20, 0xa907bc0c
	v_mov_b32_e32 v21, 0x41231b76
	v_fmac_f64_e32 v[20:21], v[2:3], v[6:7]
	v_mov_b32_e32 v6, 0x5164d101
	v_mov_b32_e32 v7, 0x41b00763
	v_fmac_f64_e32 v[6:7], v[2:3], v[20:21]
	;; [unrolled: 3-line block ×7, first 2 shown]
	v_div_scale_f64 v[2:3], s[12:13], v[6:7], v[6:7], v[20:21]
	v_rcp_f64_e32 v[8:9], v[2:3]
	s_mov_b32 s12, 0x55555555
	s_mov_b32 s13, 0x3fe55555
	v_frexp_exp_i32_f64_e32 v1, v[18:19]
	v_fma_f64 v[22:23], -v[2:3], v[8:9], 1.0
	v_fmac_f64_e32 v[8:9], v[8:9], v[22:23]
	v_fma_f64 v[22:23], -v[2:3], v[8:9], 1.0
	v_fmac_f64_e32 v[8:9], v[8:9], v[22:23]
	v_div_scale_f64 v[22:23], vcc, v[20:21], v[6:7], v[20:21]
	v_mul_f64 v[24:25], v[22:23], v[8:9]
	v_fma_f64 v[2:3], -v[2:3], v[24:25], v[22:23]
	s_nop 1
	v_div_fmas_f64 v[2:3], v[2:3], v[8:9], v[24:25]
	v_div_fixup_f64 v[2:3], v[2:3], v[6:7], v[20:21]
	v_frexp_mant_f64_e32 v[6:7], v[18:19]
	v_mov_b32_e32 v8, 0x3ff00000
	v_cmp_gt_f64_e32 vcc, s[12:13], v[6:7]
	s_mov_b32 s12, 0xbf559e2b
	s_mov_b32 s13, 0x3fc3ab76
	v_cndmask_b32_e64 v9, v8, 2.0, vcc
	v_mov_b32_e32 v8, 0
	v_mul_f64 v[6:7], v[6:7], v[8:9]
	v_add_f64 v[8:9], v[6:7], 1.0
	v_rcp_f64_e32 v[18:19], v[8:9]
	v_add_f64 v[22:23], v[8:9], -1.0
	v_add_f64 v[20:21], v[6:7], -1.0
	v_add_f64 v[6:7], v[6:7], -v[22:23]
	v_fma_f64 v[22:23], -v[8:9], v[18:19], 1.0
	v_fmac_f64_e32 v[18:19], v[22:23], v[18:19]
	v_fma_f64 v[22:23], -v[8:9], v[18:19], 1.0
	v_fmac_f64_e32 v[18:19], v[22:23], v[18:19]
	v_mul_f64 v[22:23], v[20:21], v[18:19]
	v_mul_f64 v[24:25], v[8:9], v[22:23]
	v_fma_f64 v[8:9], v[22:23], v[8:9], -v[24:25]
	v_fmac_f64_e32 v[8:9], v[22:23], v[6:7]
	v_add_f64 v[6:7], v[24:25], v[8:9]
	v_add_f64 v[26:27], v[20:21], -v[6:7]
	v_add_f64 v[24:25], v[6:7], -v[24:25]
	;; [unrolled: 1-line block ×5, first 2 shown]
	v_add_f64 v[6:7], v[8:9], v[6:7]
	v_add_f64 v[6:7], v[26:27], v[6:7]
	v_mul_f64 v[6:7], v[18:19], v[6:7]
	v_add_f64 v[8:9], v[22:23], v[6:7]
	v_add_f64 v[18:19], v[8:9], -v[22:23]
	v_add_f64 v[6:7], v[6:7], -v[18:19]
	v_mul_f64 v[18:19], v[8:9], v[8:9]
	v_mov_b32_e32 v20, 0x6b47b09a
	v_mov_b32_e32 v21, 0x3fc38538
	v_fmac_f64_e32 v[20:21], s[12:13], v[18:19]
	v_mov_b32_e32 v22, 0xd7f4df2e
	v_mov_b32_e32 v23, 0x3fc7474d
	v_fmac_f64_e32 v[22:23], v[18:19], v[20:21]
	;; [unrolled: 3-line block ×6, first 2 shown]
	v_ldexp_f64 v[20:21], v[8:9], 1
	v_mul_f64 v[8:9], v[8:9], v[18:19]
	v_mul_f64 v[8:9], v[8:9], v[22:23]
	v_add_f64 v[18:19], v[20:21], v[8:9]
	v_add_f64 v[20:21], v[18:19], -v[20:21]
	v_ldexp_f64 v[6:7], v[6:7], 1
	v_add_f64 v[8:9], v[8:9], -v[20:21]
	v_add_f64 v[6:7], v[6:7], v[8:9]
	v_add_f64 v[8:9], v[18:19], v[6:7]
	v_subbrev_co_u32_e32 v1, vcc, 0, v1, vcc
	v_add_f64 v[18:19], v[8:9], -v[18:19]
	s_mov_b32 s12, 0xfefa39ef
	v_add_f64 v[6:7], v[6:7], -v[18:19]
	v_cvt_f64_i32_e32 v[18:19], v1
	s_mov_b32 s13, 0x3fe62e42
	v_mul_f64 v[20:21], v[18:19], s[12:13]
	v_fma_f64 v[22:23], v[18:19], s[12:13], -v[20:21]
	s_mov_b32 s12, 0x3b39803f
	s_mov_b32 s13, 0x3c7abc9e
	v_fmac_f64_e32 v[22:23], s[12:13], v[18:19]
	v_add_f64 v[18:19], v[20:21], v[22:23]
	v_add_f64 v[20:21], v[18:19], -v[20:21]
	v_add_f64 v[20:21], v[22:23], -v[20:21]
	v_add_f64 v[22:23], v[18:19], v[8:9]
	v_add_f64 v[24:25], v[22:23], -v[18:19]
	v_add_f64 v[26:27], v[22:23], -v[24:25]
	;; [unrolled: 1-line block ×4, first 2 shown]
	v_add_f64 v[8:9], v[8:9], v[18:19]
	v_add_f64 v[18:19], v[20:21], v[6:7]
	v_add_f64 v[24:25], v[18:19], -v[20:21]
	v_add_f64 v[26:27], v[18:19], -v[24:25]
	v_add_f64 v[8:9], v[18:19], v[8:9]
	v_add_f64 v[20:21], v[20:21], -v[26:27]
	v_add_f64 v[6:7], v[6:7], -v[24:25]
	v_add_f64 v[18:19], v[22:23], v[8:9]
	v_add_f64 v[6:7], v[6:7], v[20:21]
	v_add_f64 v[20:21], v[18:19], -v[22:23]
	v_add_f64 v[8:9], v[8:9], -v[20:21]
	v_add_f64 v[6:7], v[6:7], v[8:9]
	s_mov_b32 s12, 0x6dc9c883
	v_add_f64 v[6:7], v[18:19], v[6:7]
	s_mov_b32 s13, 0x3fe45f30
	v_mul_f64 v[6:7], v[6:7], s[12:13]
	v_fmac_f64_e32 v[2:3], v[6:7], v[4:5]
.LBB7_17:
	s_or_b64 exec, exec, s[10:11]
.LBB7_18:
	s_or_b64 exec, exec, s[8:9]
                                        ; implicit-def: $vgpr18_vgpr19
.LBB7_19:
	s_andn2_saveexec_b64 s[8:9], s[2:3]
	s_cbranch_execz .LBB7_29
; %bb.20:
	s_mov_b32 s13, 0xbfe921fb
	s_mov_b32 s12, 0x54442d18
	;; [unrolled: 1-line block ×3, first 2 shown]
	v_add_f64 v[2:3], v[18:19], s[12:13]
	s_mov_b32 s3, 0x41d00000
	v_cmp_nlt_f64_e64 s[10:11], |v[2:3]|, s[2:3]
	v_trig_preop_f64 v[26:27], |v[2:3]|, 0
	v_trig_preop_f64 v[24:25], |v[2:3]|, 1
	;; [unrolled: 1-line block ×3, first 2 shown]
                                        ; implicit-def: $vgpr1
                                        ; implicit-def: $vgpr4_vgpr5
                                        ; implicit-def: $vgpr6_vgpr7
	s_and_saveexec_b64 s[2:3], s[10:11]
	s_xor_b64 s[14:15], exec, s[2:3]
	s_cbranch_execz .LBB7_22
; %bb.21:
	s_mov_b32 s2, 0
	s_mov_b32 s3, 0x7b000000
	s_movk_i32 s13, 0xff80
	v_and_b32_e32 v1, 0x7fffffff, v3
	v_ldexp_f64 v[4:5], |v[2:3]|, s13
	v_cmp_ge_f64_e64 vcc, |v[2:3]|, s[2:3]
	s_mov_b32 s2, 0
	s_mov_b32 s3, 0x7ff00000
	v_cndmask_b32_e32 v5, v1, v5, vcc
	v_cndmask_b32_e32 v4, v2, v4, vcc
	v_mul_f64 v[8:9], v[26:27], v[4:5]
	v_mul_f64 v[6:7], v[24:25], v[4:5]
	v_fma_f64 v[20:21], v[26:27], v[4:5], -v[8:9]
	v_add_f64 v[28:29], v[6:7], v[20:21]
	v_add_f64 v[30:31], v[8:9], v[28:29]
	v_ldexp_f64 v[32:33], v[30:31], -2
	v_fract_f64_e32 v[34:35], v[32:33]
	v_cmp_neq_f64_e64 vcc, |v[32:33]|, s[2:3]
	v_add_f64 v[8:9], v[30:31], -v[8:9]
	v_add_f64 v[8:9], v[28:29], -v[8:9]
	v_cndmask_b32_e32 v33, 0, v35, vcc
	v_cndmask_b32_e32 v32, 0, v34, vcc
	v_add_f64 v[34:35], v[28:29], -v[6:7]
	v_add_f64 v[20:21], v[20:21], -v[34:35]
	;; [unrolled: 1-line block ×4, first 2 shown]
	v_add_f64 v[20:21], v[20:21], v[34:35]
	v_fma_f64 v[6:7], v[24:25], v[4:5], -v[6:7]
	v_mul_f64 v[34:35], v[22:23], v[4:5]
	v_add_f64 v[38:39], v[34:35], v[6:7]
	v_add_f64 v[40:41], v[38:39], v[20:21]
	v_add_f64 v[30:31], v[40:41], -v[38:39]
	v_add_f64 v[20:21], v[20:21], -v[30:31]
	;; [unrolled: 1-line block ×4, first 2 shown]
	v_add_f64 v[20:21], v[20:21], v[30:31]
	v_add_f64 v[30:31], v[38:39], -v[34:35]
	v_add_f64 v[6:7], v[6:7], -v[30:31]
	;; [unrolled: 1-line block ×4, first 2 shown]
	v_add_f64 v[28:29], v[8:9], v[40:41]
	v_add_f64 v[6:7], v[6:7], v[30:31]
	v_add_f64 v[8:9], v[28:29], -v[8:9]
	v_add_f64 v[6:7], v[6:7], v[20:21]
	v_fma_f64 v[4:5], v[22:23], v[4:5], -v[34:35]
	v_add_f64 v[8:9], v[40:41], -v[8:9]
	v_add_f64 v[4:5], v[4:5], v[6:7]
	v_ldexp_f64 v[6:7], v[32:33], 2
	v_add_f64 v[4:5], v[8:9], v[4:5]
	v_add_f64 v[8:9], v[28:29], v[6:7]
	v_mov_b32_e32 v1, 0x40100000
	v_cmp_gt_f64_e32 vcc, 0, v[8:9]
	v_mov_b32_e32 v36, 0
	s_mov_b32 s13, 0x3ff921fb
	v_cndmask_b32_e32 v37, 0, v1, vcc
	v_add_f64 v[6:7], v[6:7], v[36:37]
	v_add_f64 v[8:9], v[28:29], v[6:7]
	v_cvt_i32_f64_e32 v1, v[8:9]
	v_cvt_f64_i32_e32 v[8:9], v1
	v_add_f64 v[6:7], v[6:7], -v[8:9]
	v_add_f64 v[8:9], v[28:29], v[6:7]
	v_add_f64 v[6:7], v[8:9], -v[6:7]
	v_add_f64 v[6:7], v[28:29], -v[6:7]
	v_add_f64 v[4:5], v[4:5], v[6:7]
	v_cmp_le_f64_e32 vcc, 0.5, v[8:9]
	v_mov_b32_e32 v6, 0x3ff00000
	s_nop 0
	v_cndmask_b32_e32 v37, 0, v6, vcc
	v_add_f64 v[6:7], v[8:9], -v[36:37]
	v_add_f64 v[8:9], v[6:7], v[4:5]
	v_addc_co_u32_e64 v1, s[2:3], 0, v1, vcc
	v_add_f64 v[6:7], v[8:9], -v[6:7]
	v_add_f64 v[4:5], v[4:5], -v[6:7]
	v_mul_f64 v[6:7], v[8:9], s[12:13]
	s_mov_b32 s2, 0x33145c07
	v_fma_f64 v[20:21], v[8:9], s[12:13], -v[6:7]
	s_mov_b32 s3, 0x3c91a626
	v_fmac_f64_e32 v[20:21], s[2:3], v[8:9]
	v_fmac_f64_e32 v[20:21], s[12:13], v[4:5]
	v_add_f64 v[4:5], v[6:7], v[20:21]
	v_add_f64 v[6:7], v[4:5], -v[6:7]
	v_add_f64 v[6:7], v[20:21], -v[6:7]
	s_andn2_saveexec_b64 s[2:3], s[14:15]
	s_cbranch_execz .LBB7_24
	s_branch .LBB7_23
.LBB7_22:
	s_andn2_saveexec_b64 s[2:3], s[14:15]
	s_cbranch_execz .LBB7_24
.LBB7_23:
	s_mov_b32 s12, 0x6dc9c883
	s_mov_b32 s13, 0x3fe45f30
	v_mul_f64 v[4:5], |v[2:3]|, s[12:13]
	s_mov_b32 s12, 0x54442d18
	v_rndne_f64_e32 v[8:9], v[4:5]
	s_mov_b32 s13, 0xbff921fb
	v_fma_f64 v[4:5], v[8:9], s[12:13], |v[2:3]|
	s_mov_b32 s13, 0xbc91a626
	s_mov_b32 s12, 0x33145c00
	v_mul_f64 v[20:21], v[8:9], s[12:13]
	v_add_f64 v[30:31], v[4:5], v[20:21]
	v_fma_f64 v[6:7], s[12:13], v[8:9], v[4:5]
	s_mov_b32 s13, 0x3c91a626
	v_add_f64 v[4:5], v[4:5], -v[30:31]
	v_fma_f64 v[28:29], s[12:13], v[8:9], v[20:21]
	v_add_f64 v[4:5], v[4:5], v[20:21]
	v_add_f64 v[20:21], v[30:31], -v[6:7]
	v_add_f64 v[4:5], v[20:21], v[4:5]
	s_mov_b32 s12, 0x252049c0
	v_add_f64 v[20:21], v[4:5], -v[28:29]
	s_mov_b32 s13, 0xb97b839a
	v_fmac_f64_e32 v[20:21], s[12:13], v[8:9]
	v_add_f64 v[4:5], v[6:7], v[20:21]
	v_add_f64 v[6:7], v[4:5], -v[6:7]
	v_add_f64 v[6:7], v[20:21], -v[6:7]
	v_cvt_i32_f64_e32 v1, v[8:9]
.LBB7_24:
	s_or_b64 exec, exec, s[2:3]
                                        ; implicit-def: $vgpr11
                                        ; implicit-def: $vgpr8_vgpr9
                                        ; implicit-def: $vgpr20_vgpr21
	s_and_saveexec_b64 s[2:3], s[10:11]
	s_xor_b64 s[10:11], exec, s[2:3]
	s_cbranch_execz .LBB7_26
; %bb.25:
	s_mov_b32 s2, 0
	s_mov_b32 s3, 0x7b000000
	s_movk_i32 s12, 0xff80
	v_and_b32_e32 v11, 0x7fffffff, v3
	v_ldexp_f64 v[8:9], |v[2:3]|, s12
	v_cmp_ge_f64_e64 vcc, |v[2:3]|, s[2:3]
	s_mov_b32 s2, 0
	s_mov_b32 s3, 0x7ff00000
	v_cndmask_b32_e32 v9, v11, v9, vcc
	v_cndmask_b32_e32 v8, v2, v8, vcc
	v_mul_f64 v[28:29], v[26:27], v[8:9]
	v_mul_f64 v[20:21], v[24:25], v[8:9]
	v_fma_f64 v[26:27], v[26:27], v[8:9], -v[28:29]
	v_add_f64 v[30:31], v[20:21], v[26:27]
	v_add_f64 v[32:33], v[28:29], v[30:31]
	v_ldexp_f64 v[34:35], v[32:33], -2
	v_fract_f64_e32 v[36:37], v[34:35]
	v_cmp_neq_f64_e64 vcc, |v[34:35]|, s[2:3]
	v_add_f64 v[28:29], v[32:33], -v[28:29]
	v_add_f64 v[28:29], v[30:31], -v[28:29]
	v_cndmask_b32_e32 v35, 0, v37, vcc
	v_cndmask_b32_e32 v34, 0, v36, vcc
	v_add_f64 v[36:37], v[30:31], -v[20:21]
	v_add_f64 v[26:27], v[26:27], -v[36:37]
	;; [unrolled: 1-line block ×4, first 2 shown]
	v_fma_f64 v[20:21], v[24:25], v[8:9], -v[20:21]
	v_mul_f64 v[24:25], v[22:23], v[8:9]
	v_add_f64 v[26:27], v[26:27], v[36:37]
	v_add_f64 v[36:37], v[24:25], v[20:21]
	;; [unrolled: 1-line block ×3, first 2 shown]
	v_add_f64 v[32:33], v[40:41], -v[36:37]
	v_add_f64 v[26:27], v[26:27], -v[32:33]
	;; [unrolled: 1-line block ×4, first 2 shown]
	v_add_f64 v[26:27], v[26:27], v[32:33]
	v_add_f64 v[32:33], v[36:37], -v[24:25]
	v_add_f64 v[20:21], v[20:21], -v[32:33]
	;; [unrolled: 1-line block ×4, first 2 shown]
	v_add_f64 v[20:21], v[20:21], v[32:33]
	v_add_f64 v[20:21], v[20:21], v[26:27]
	v_fma_f64 v[8:9], v[22:23], v[8:9], -v[24:25]
	v_add_f64 v[30:31], v[28:29], v[40:41]
	v_add_f64 v[8:9], v[8:9], v[20:21]
	v_ldexp_f64 v[20:21], v[34:35], 2
	v_add_f64 v[22:23], v[30:31], v[20:21]
	v_mov_b32_e32 v11, 0x40100000
	v_cmp_gt_f64_e32 vcc, 0, v[22:23]
	v_mov_b32_e32 v38, 0
	v_add_f64 v[28:29], v[30:31], -v[28:29]
	v_cndmask_b32_e32 v39, 0, v11, vcc
	v_add_f64 v[20:21], v[20:21], v[38:39]
	v_add_f64 v[22:23], v[30:31], v[20:21]
	v_cvt_i32_f64_e32 v11, v[22:23]
	v_cvt_f64_i32_e32 v[22:23], v11
	v_add_f64 v[20:21], v[20:21], -v[22:23]
	v_add_f64 v[22:23], v[30:31], v[20:21]
	v_add_f64 v[28:29], v[40:41], -v[28:29]
	v_add_f64 v[20:21], v[22:23], -v[20:21]
	v_add_f64 v[8:9], v[28:29], v[8:9]
	v_add_f64 v[20:21], v[30:31], -v[20:21]
	v_add_f64 v[8:9], v[8:9], v[20:21]
	v_cmp_le_f64_e32 vcc, 0.5, v[22:23]
	v_mov_b32_e32 v20, 0x3ff00000
	s_mov_b32 s12, 0x33145c07
	v_cndmask_b32_e32 v39, 0, v20, vcc
	v_addc_co_u32_e64 v11, s[2:3], 0, v11, vcc
	v_add_f64 v[20:21], v[22:23], -v[38:39]
	v_add_f64 v[22:23], v[20:21], v[8:9]
	s_mov_b32 s2, 0x54442d18
	v_add_f64 v[20:21], v[22:23], -v[20:21]
	s_mov_b32 s3, 0x3ff921fb
	v_add_f64 v[8:9], v[8:9], -v[20:21]
	v_mul_f64 v[20:21], v[22:23], s[2:3]
	v_fma_f64 v[24:25], v[22:23], s[2:3], -v[20:21]
	s_mov_b32 s13, 0x3c91a626
	v_fmac_f64_e32 v[24:25], s[12:13], v[22:23]
	v_fmac_f64_e32 v[24:25], s[2:3], v[8:9]
	v_add_f64 v[8:9], v[20:21], v[24:25]
	v_add_f64 v[20:21], v[8:9], -v[20:21]
	v_add_f64 v[20:21], v[24:25], -v[20:21]
	s_andn2_saveexec_b64 s[2:3], s[10:11]
	s_cbranch_execnz .LBB7_27
	s_branch .LBB7_28
.LBB7_26:
	s_andn2_saveexec_b64 s[2:3], s[10:11]
	s_cbranch_execz .LBB7_28
.LBB7_27:
	s_mov_b32 s10, 0x6dc9c883
	s_mov_b32 s11, 0x3fe45f30
	v_mul_f64 v[8:9], |v[2:3]|, s[10:11]
	s_mov_b32 s10, 0x54442d18
	v_rndne_f64_e32 v[22:23], v[8:9]
	s_mov_b32 s11, 0xbff921fb
	v_fma_f64 v[8:9], v[22:23], s[10:11], |v[2:3]|
	s_mov_b32 s11, 0xbc91a626
	s_mov_b32 s10, 0x33145c00
	v_mul_f64 v[24:25], v[22:23], s[10:11]
	v_add_f64 v[28:29], v[8:9], v[24:25]
	v_fma_f64 v[20:21], s[10:11], v[22:23], v[8:9]
	s_mov_b32 s11, 0x3c91a626
	v_add_f64 v[8:9], v[8:9], -v[28:29]
	v_fma_f64 v[26:27], s[10:11], v[22:23], v[24:25]
	v_add_f64 v[8:9], v[8:9], v[24:25]
	v_add_f64 v[24:25], v[28:29], -v[20:21]
	v_add_f64 v[8:9], v[24:25], v[8:9]
	s_mov_b32 s10, 0x252049c0
	v_add_f64 v[24:25], v[8:9], -v[26:27]
	s_mov_b32 s11, 0xb97b839a
	v_fmac_f64_e32 v[24:25], s[10:11], v[22:23]
	v_add_f64 v[8:9], v[20:21], v[24:25]
	v_add_f64 v[20:21], v[8:9], -v[20:21]
	v_add_f64 v[20:21], v[24:25], -v[20:21]
	v_cvt_i32_f64_e32 v11, v[22:23]
.LBB7_28:
	s_or_b64 exec, exec, s[2:3]
	s_mov_b32 s2, 0
	v_mul_f64 v[22:23], v[18:19], v[18:19]
	s_mov_b32 s3, 0x40390000
	v_div_scale_f64 v[24:25], s[10:11], v[22:23], v[22:23], s[2:3]
	v_rcp_f64_e32 v[26:27], v[24:25]
	v_mov_b32_e32 v32, 0xb1759c7f
	v_mov_b32_e32 v33, 0x408ac370
	;; [unrolled: 1-line block ×3, first 2 shown]
	v_fma_f64 v[28:29], -v[24:25], v[26:27], 1.0
	v_fmac_f64_e32 v[26:27], v[26:27], v[28:29]
	v_fma_f64 v[28:29], -v[24:25], v[26:27], 1.0
	v_fmac_f64_e32 v[26:27], v[26:27], v[28:29]
	v_div_scale_f64 v[28:29], vcc, s[2:3], v[22:23], s[2:3]
	v_mul_f64 v[30:31], v[28:29], v[26:27]
	v_fma_f64 v[24:25], -v[24:25], v[30:31], v[28:29]
	v_mov_b32_e32 v28, 0xab5454e3
	s_nop 0
	v_div_fmas_f64 v[24:25], v[24:25], v[26:27], v[30:31]
	v_div_fixup_f64 v[22:23], v[24:25], v[22:23], s[2:3]
	v_mov_b32_e32 v24, 0x983b6b27
	v_mov_b32_e32 v25, 0x3f4a1d30
	v_fmac_f64_e32 v[24:25], 0, v[22:23]
	v_mov_b32_e32 v26, 0xb35dd1cf
	v_mov_b32_e32 v27, 0x3fb534b0
	v_fmac_f64_e32 v[26:27], v[22:23], v[24:25]
	;; [unrolled: 3-line block ×7, first 2 shown]
	v_mov_b32_e32 v29, 0x3fb5ebc5
	v_fmac_f64_e32 v[28:29], v[22:23], v[24:25]
	v_mov_b32_e32 v24, 0xc9b3069f
	v_mov_b32_e32 v25, 0x3ff40e72
	v_fmac_f64_e32 v[24:25], v[22:23], v[28:29]
	v_mov_b32_e32 v28, 0xe68162bb
	;; [unrolled: 3-line block ×4, first 2 shown]
	v_mov_b32_e32 v29, 0x40153965
	v_fmac_f64_e32 v[28:29], v[22:23], v[24:25]
	v_fma_f64 v[24:25], v[22:23], v[28:29], 1.0
	v_mov_b32_e32 v28, 0x38a5384a
	v_mov_b32_e32 v29, 0xbf874742
	v_fmac_f64_e32 v[28:29], 0, v[22:23]
	v_mov_b32_e32 v30, 0x3a321174
	v_mov_b32_e32 v31, 0xbff4853b
	v_fmac_f64_e32 v[30:31], v[22:23], v[28:29]
	v_mov_b32_e32 v28, 0xf50e2c0c
	v_mov_b32_e32 v29, 0xc0338dcf
	v_fmac_f64_e32 v[28:29], v[22:23], v[30:31]
	v_mov_b32_e32 v30, 0x5a6de8c4
	v_mov_b32_e32 v31, 0xc0574d2f
	v_fmac_f64_e32 v[30:31], v[22:23], v[28:29]
	v_mov_b32_e32 v28, 0x20cae8ea
	v_mov_b32_e32 v29, 0xc06635cc
	v_fmac_f64_e32 v[28:29], v[22:23], v[30:31]
	v_mov_b32_e32 v30, 0xec17392d
	v_mov_b32_e32 v31, 0xc062627a
	v_fmac_f64_e32 v[30:31], v[22:23], v[28:29]
	v_mov_b32_e32 v28, 0x55b218cd
	v_mov_b32_e32 v29, 0xc049b48c
	v_fmac_f64_e32 v[28:29], v[22:23], v[30:31]
	v_mov_b32_e32 v30, 0xd1b9a1dd
	v_mov_b32_e32 v31, 0xc0183358
	v_fmac_f64_e32 v[30:31], v[22:23], v[28:29]
	v_mov_b32_e32 v28, 0x413c25ac
	v_mov_b32_e32 v29, 0x40501457
	v_fmac_f64_e32 v[28:29], 0, v[22:23]
	v_fmac_f64_e32 v[32:33], v[22:23], v[28:29]
	v_mov_b32_e32 v28, 0xbd748cb5
	v_mov_b32_e32 v29, 0x40ae54cd
	v_fmac_f64_e32 v[28:29], v[22:23], v[32:33]
	v_mov_b32_e32 v32, 0xbdefd63e
	v_mov_b32_e32 v33, 0x40bc4877
	;; [unrolled: 3-line block ×4, first 2 shown]
	v_fma_f64 v[26:27], v[22:23], v[26:27], 1.0
	v_fmac_f64_e32 v[32:33], v[22:23], v[28:29]
	v_div_scale_f64 v[28:29], s[2:3], v[24:25], v[24:25], v[26:27]
	v_rcp_f64_e32 v[34:35], v[28:29]
	v_mov_b32_e32 v37, 0x406e402f
	v_fmac_f64_e32 v[36:37], v[22:23], v[32:33]
	s_mov_b32 s2, 0x9037ab78
	v_fma_f64 v[22:23], -v[28:29], v[34:35], 1.0
	v_fmac_f64_e32 v[34:35], v[34:35], v[22:23]
	v_fma_f64 v[22:23], -v[28:29], v[34:35], 1.0
	v_fmac_f64_e32 v[34:35], v[34:35], v[22:23]
	v_div_scale_f64 v[22:23], vcc, v[26:27], v[24:25], v[26:27]
	v_mul_f64 v[32:33], v[22:23], v[34:35]
	v_fma_f64 v[22:23], -v[28:29], v[32:33], v[22:23]
	s_mov_b32 s3, 0x3e21eeb6
	s_nop 0
	v_div_fmas_f64 v[22:23], v[22:23], v[34:35], v[32:33]
	s_mov_b32 s10, 0x46cc5e42
	v_div_fixup_f64 v[22:23], v[22:23], v[24:25], v[26:27]
	v_mul_f64 v[24:25], v[4:5], v[4:5]
	s_mov_b32 s11, 0xbda907db
	v_mov_b64_e32 v[34:35], s[2:3]
	s_mov_b32 s12, 0xa17f65f6
	v_mul_f64 v[26:27], v[24:25], 0.5
	v_fma_f64 v[38:39], s[10:11], v[24:25], v[34:35]
	s_mov_b32 s13, 0xbe927e4f
	s_mov_b32 s14, 0x19f4ec90
	v_add_f64 v[28:29], -v[26:27], 1.0
	v_fma_f64 v[38:39], v[24:25], v[38:39], s[12:13]
	s_mov_b32 s15, 0x3efa01a0
	s_mov_b32 s16, 0x16c16967
	v_add_f64 v[32:33], -v[28:29], 1.0
	v_fma_f64 v[38:39], v[24:25], v[38:39], s[14:15]
	s_mov_b32 s17, 0xbf56c16c
	s_mov_b32 s18, 0x55555555
	v_add_f64 v[26:27], v[32:33], -v[26:27]
	v_fma_f64 v[38:39], v[24:25], v[38:39], s[16:17]
	s_mov_b32 s19, 0x3fa55555
	v_mul_f64 v[32:33], v[24:25], v[24:25]
	v_fma_f64 v[38:39], v[24:25], v[38:39], s[18:19]
	v_fma_f64 v[26:27], v[4:5], -v[6:7], v[26:27]
	s_mov_b32 s2, 0xb42fdfa7
	v_fmac_f64_e32 v[26:27], v[32:33], v[38:39]
	s_mov_b32 s3, 0xbe5ae600
	s_mov_b32 s20, 0xf9a43bb8
	v_add_f64 v[26:27], v[28:29], v[26:27]
	s_mov_b32 s21, 0x3de5e0b2
	v_mov_b64_e32 v[28:29], s[2:3]
	s_mov_b32 s24, 0x796cde01
	v_fma_f64 v[32:33], s[20:21], v[24:25], v[28:29]
	s_mov_b32 s25, 0x3ec71de3
	s_mov_b32 s26, 0x19e83e5c
	v_fma_f64 v[32:33], v[24:25], v[32:33], s[24:25]
	s_mov_b32 s27, 0xbf2a01a0
	;; [unrolled: 3-line block ×3, first 2 shown]
	v_fma_f64 v[32:33], v[24:25], v[32:33], s[28:29]
	v_mul_f64 v[38:39], v[4:5], -v[24:25]
	v_mul_f64 v[40:41], v[6:7], 0.5
	v_fmac_f64_e32 v[40:41], v[38:39], v[32:33]
	v_fma_f64 v[6:7], v[24:25], v[40:41], -v[6:7]
	s_mov_b32 s31, 0xbfc55555
	s_mov_b32 s30, s18
	v_fmac_f64_e32 v[6:7], s[30:31], v[38:39]
	v_add_f64 v[4:5], v[4:5], -v[6:7]
	v_and_b32_e32 v6, 1, v1
	v_lshlrev_b32_e32 v1, 30, v1
	v_cmp_eq_u32_e32 vcc, 0, v6
	v_xor_b32_e32 v1, v1, v3
	s_mov_b32 s34, 0
	v_cndmask_b32_e32 v24, v26, v4, vcc
	v_cndmask_b32_e32 v4, v27, v5, vcc
	v_and_b32_e32 v1, 0x80000000, v1
	s_mov_b32 s35, 0x40140000
	v_xor_b32_e32 v1, v4, v1
	v_div_scale_f64 v[4:5], s[2:3], v[18:19], v[18:19], s[34:35]
	v_rcp_f64_e32 v[6:7], v[4:5]
	s_movk_i32 s33, 0x1f8
	v_cmp_class_f64_e64 s[2:3], v[2:3], s33
	v_mov_b32_e32 v38, 0x7ff80000
	s_nop 0
	v_cndmask_b32_e64 v2, 0, v24, s[2:3]
	v_fma_f64 v[24:25], -v[4:5], v[6:7], 1.0
	v_fmac_f64_e32 v[6:7], v[6:7], v[24:25]
	v_fma_f64 v[24:25], -v[4:5], v[6:7], 1.0
	v_fmac_f64_e32 v[6:7], v[6:7], v[24:25]
	v_div_scale_f64 v[24:25], vcc, s[34:35], v[18:19], s[34:35]
	v_mul_f64 v[26:27], v[24:25], v[6:7]
	v_fma_f64 v[4:5], -v[4:5], v[26:27], v[24:25]
	v_div_scale_f64 v[24:25], s[36:37], v[36:37], v[36:37], v[30:31]
	v_rcp_f64_e32 v[32:33], v[24:25]
	v_div_fmas_f64 v[4:5], v[4:5], v[6:7], v[26:27]
	v_div_fixup_f64 v[4:5], v[4:5], v[18:19], s[34:35]
	v_cndmask_b32_e64 v3, v38, v1, s[2:3]
	v_fma_f64 v[6:7], -v[24:25], v[32:33], 1.0
	v_fmac_f64_e32 v[32:33], v[32:33], v[6:7]
	v_fma_f64 v[6:7], -v[24:25], v[32:33], 1.0
	v_fmac_f64_e32 v[32:33], v[32:33], v[6:7]
	v_div_scale_f64 v[6:7], vcc, v[30:31], v[36:37], v[30:31]
	v_mul_f64 v[26:27], v[6:7], v[32:33]
	v_fma_f64 v[6:7], -v[24:25], v[26:27], v[6:7]
	s_nop 1
	v_div_fmas_f64 v[6:7], v[6:7], v[32:33], v[26:27]
	v_div_fixup_f64 v[6:7], v[6:7], v[36:37], v[30:31]
	v_mul_f64 v[4:5], v[4:5], v[6:7]
	v_mul_f64 v[6:7], v[8:9], v[8:9]
	v_mul_f64 v[24:25], v[6:7], 0.5
	v_fmac_f64_e32 v[34:35], s[10:11], v[6:7]
	v_add_f64 v[26:27], -v[24:25], 1.0
	v_fma_f64 v[32:33], v[6:7], v[34:35], s[12:13]
	v_add_f64 v[30:31], -v[26:27], 1.0
	v_fma_f64 v[32:33], v[6:7], v[32:33], s[14:15]
	v_add_f64 v[24:25], v[30:31], -v[24:25]
	v_fma_f64 v[32:33], v[6:7], v[32:33], s[16:17]
	v_mul_f64 v[30:31], v[6:7], v[6:7]
	v_fma_f64 v[32:33], v[6:7], v[32:33], s[18:19]
	v_fma_f64 v[24:25], v[8:9], -v[20:21], v[24:25]
	v_fmac_f64_e32 v[24:25], v[30:31], v[32:33]
	v_fmac_f64_e32 v[28:29], s[20:21], v[6:7]
	v_add_f64 v[24:25], v[26:27], v[24:25]
	v_fma_f64 v[26:27], v[6:7], v[28:29], s[24:25]
	v_fma_f64 v[26:27], v[6:7], v[26:27], s[26:27]
	;; [unrolled: 1-line block ×3, first 2 shown]
	v_mul_f64 v[28:29], v[8:9], -v[6:7]
	v_mul_f64 v[30:31], v[20:21], 0.5
	v_fmac_f64_e32 v[30:31], v[28:29], v[26:27]
	v_fma_f64 v[6:7], v[6:7], v[30:31], -v[20:21]
	v_fmac_f64_e32 v[6:7], s[30:31], v[28:29]
	v_add_f64 v[6:7], v[8:9], -v[6:7]
	v_xor_b32_e32 v1, 0x80000000, v7
	v_and_b32_e32 v7, 1, v11
	v_cmp_eq_u32_e32 vcc, 0, v7
	v_lshlrev_b32_e32 v7, 30, v11
	v_and_b32_e32 v7, 0x80000000, v7
	v_cndmask_b32_e32 v1, v1, v25, vcc
	v_cndmask_b32_e32 v6, v6, v24, vcc
	v_xor_b32_e32 v1, v1, v7
	v_cndmask_b32_e64 v6, 0, v6, s[2:3]
	v_cndmask_b32_e64 v7, v38, v1, s[2:3]
	s_mov_b32 s2, 0
	s_brev_b32 s3, 8
	v_cmp_gt_f64_e32 vcc, s[2:3], v[18:19]
	v_mul_f64 v[4:5], v[4:5], v[6:7]
	v_fmac_f64_e32 v[4:5], v[22:23], v[2:3]
	v_cndmask_b32_e64 v1, 0, 1, vcc
	v_lshlrev_b32_e32 v1, 8, v1
	v_ldexp_f64 v[2:3], v[18:19], v1
	v_rsq_f64_e32 v[6:7], v[2:3]
	v_mov_b32_e32 v1, 0xffffff80
	v_cndmask_b32_e32 v1, 0, v1, vcc
	s_mov_b32 s2, 0x33d43651
	v_mul_f64 v[8:9], v[2:3], v[6:7]
	v_mul_f64 v[6:7], v[6:7], 0.5
	v_fma_f64 v[18:19], -v[6:7], v[8:9], 0.5
	v_fmac_f64_e32 v[8:9], v[8:9], v[18:19]
	v_fma_f64 v[20:21], -v[8:9], v[8:9], v[2:3]
	v_fmac_f64_e32 v[6:7], v[6:7], v[18:19]
	v_fmac_f64_e32 v[8:9], v[20:21], v[6:7]
	v_fma_f64 v[18:19], -v[8:9], v[8:9], v[2:3]
	v_fmac_f64_e32 v[8:9], v[18:19], v[6:7]
	v_ldexp_f64 v[6:7], v[8:9], v1
	v_mov_b32_e32 v1, 0x260
	s_mov_b32 s3, 0x3fe98845
	v_cmp_class_f64_e32 vcc, v[2:3], v1
	v_mul_f64 v[4:5], v[4:5], s[2:3]
	s_nop 0
	v_cndmask_b32_e32 v3, v7, v3, vcc
	v_cndmask_b32_e32 v2, v6, v2, vcc
	v_div_scale_f64 v[6:7], s[2:3], v[2:3], v[2:3], v[4:5]
	v_rcp_f64_e32 v[8:9], v[6:7]
	s_nop 0
	v_fma_f64 v[18:19], -v[6:7], v[8:9], 1.0
	v_fmac_f64_e32 v[8:9], v[8:9], v[18:19]
	v_fma_f64 v[18:19], -v[6:7], v[8:9], 1.0
	v_fmac_f64_e32 v[8:9], v[8:9], v[18:19]
	v_div_scale_f64 v[18:19], vcc, v[4:5], v[2:3], v[4:5]
	v_mul_f64 v[20:21], v[18:19], v[8:9]
	v_fma_f64 v[6:7], -v[6:7], v[20:21], v[18:19]
	s_nop 1
	v_div_fmas_f64 v[6:7], v[6:7], v[8:9], v[20:21]
	v_div_fixup_f64 v[2:3], v[6:7], v[2:3], v[4:5]
.LBB7_29:
	s_or_b64 exec, exec, s[8:9]
.LBB7_30:
	s_or_b64 exec, exec, s[6:7]
	v_or_b32_e32 v1, 0x100, v0
	v_cmp_gt_i32_e32 vcc, s23, v1
	s_and_saveexec_b64 s[6:7], vcc
	s_cbranch_execz .LBB7_52
; %bb.31:
	s_mov_b32 s2, 0
	s_mov_b32 s3, 0x40140000
	s_waitcnt vmcnt(0)
	v_cmp_ge_f64_e32 vcc, s[2:3], v[16:17]
	s_and_saveexec_b64 s[2:3], vcc
	s_xor_b64 s[2:3], exec, s[2:3]
	s_cbranch_execz .LBB7_41
; %bb.32:
	v_mov_b32_e32 v4, 0
	v_cmp_neq_f64_e32 vcc, 0, v[16:17]
	v_mov_b32_e32 v5, 0xfff00000
	s_and_saveexec_b64 s[8:9], vcc
	s_cbranch_execz .LBB7_40
; %bb.33:
	v_mov_b32_e32 v4, 0
	v_cmp_ngt_f64_e32 vcc, 0, v[16:17]
	v_mov_b32_e32 v5, 0x7ff80000
	s_and_saveexec_b64 s[10:11], vcc
	s_cbranch_execz .LBB7_39
; %bb.34:
	s_mov_b32 s12, 0x88e368f1
	v_mul_f64 v[4:5], v[16:17], v[16:17]
	s_mov_b32 s13, 0x3ee4f8b5
	v_mul_f64 v[20:21], v[4:5], 0
	v_cmp_ngt_f64_e32 vcc, s[12:13], v[16:17]
                                        ; implicit-def: $vgpr18_vgpr19
	s_and_saveexec_b64 s[12:13], vcc
	s_xor_b64 s[12:13], exec, s[12:13]
	s_cbranch_execz .LBB7_36
; %bb.35:
	s_mov_b32 s14, 0xad1c8325
	s_mov_b32 s15, 0xc1f1dc53
	v_add_f64 v[18:19], v[20:21], s[14:15]
	v_mov_b32_e32 v22, 0xc772990d
	v_mov_b32_e32 v23, 0x427c7751
	s_mov_b32 s14, 0xa696b78c
	v_fmac_f64_e32 v[22:23], v[4:5], v[18:19]
	v_mov_b32_e32 v18, 0xe0d900f7
	v_mov_b32_e32 v19, 0xc2ec5614
	s_mov_b32 s15, 0x407f3902
	v_fmac_f64_e32 v[18:19], v[4:5], v[22:23]
	v_add_f64 v[22:23], v[20:21], s[14:15]
	v_mov_b32_e32 v24, 0x36a21a67
	v_mov_b32_e32 v25, 0x410536cb
	v_fmac_f64_e32 v[24:25], v[4:5], v[22:23]
	v_mov_b32_e32 v22, 0x2eac0634
	v_mov_b32_e32 v23, 0x41871934
	v_fmac_f64_e32 v[22:23], v[4:5], v[24:25]
	v_mov_b32_e32 v24, 0x9444914
	v_mov_b32_e32 v25, 0x4204d5b0
	v_fmac_f64_e32 v[24:25], v[4:5], v[22:23]
	v_mov_b32_e32 v22, 0x72182e46
	v_mov_b32_e32 v23, 0x427ebeb3
	v_fmac_f64_e32 v[22:23], v[4:5], v[24:25]
	v_mov_b32_e32 v24, 0x8c9748e9
	v_mov_b32_e32 v25, 0x42f1a6a2
	v_fmac_f64_e32 v[24:25], v[4:5], v[22:23]
	v_mov_b32_e32 v22, 0x7e7b2e9c
	v_mov_b32_e32 v23, 0x435c4141
	v_fmac_f64_e32 v[22:23], v[4:5], v[24:25]
	v_mov_b32_e32 v24, 0xc7b662cc
	v_mov_b32_e32 v25, 0x43b7be34
	s_mov_b32 s14, 0x80462bbb
	v_fmac_f64_e32 v[24:25], v[4:5], v[22:23]
	v_mov_b32_e32 v22, 0x69ff5fb4
	v_mov_b32_e32 v23, 0x43413ef8
	s_mov_b32 s15, 0xc01721fb
	v_fmac_f64_e32 v[22:23], v[4:5], v[18:19]
	v_add_f64 v[18:19], v[4:5], s[14:15]
	s_mov_b32 s14, 0xa621dd6f
	s_mov_b32 s15, 0xc03e78a4
	v_add_f64 v[26:27], v[4:5], s[14:15]
	v_mul_f64 v[18:19], v[18:19], v[26:27]
	v_mul_f64 v[18:19], v[18:19], v[22:23]
	v_div_scale_f64 v[22:23], s[14:15], v[24:25], v[24:25], v[18:19]
	v_rcp_f64_e32 v[26:27], v[22:23]
	s_nop 0
	v_fma_f64 v[28:29], -v[22:23], v[26:27], 1.0
	v_fmac_f64_e32 v[26:27], v[26:27], v[28:29]
	v_fma_f64 v[28:29], -v[22:23], v[26:27], 1.0
	v_fmac_f64_e32 v[26:27], v[26:27], v[28:29]
	v_div_scale_f64 v[28:29], vcc, v[18:19], v[24:25], v[18:19]
	v_mul_f64 v[30:31], v[28:29], v[26:27]
	v_fma_f64 v[22:23], -v[22:23], v[30:31], v[28:29]
	s_nop 1
	v_div_fmas_f64 v[22:23], v[22:23], v[26:27], v[30:31]
	v_div_fixup_f64 v[18:19], v[22:23], v[24:25], v[18:19]
.LBB7_36:
	s_andn2_saveexec_b64 s[12:13], s[12:13]
; %bb.37:
	s_mov_b32 s14, 0
	s_mov_b32 s15, 0xbfd00000
	v_fma_f64 v[18:19], v[4:5], s[14:15], 1.0
; %bb.38:
	s_or_b64 exec, exec, s[12:13]
	s_mov_b32 s12, 0xe896898f
	s_mov_b32 s13, 0x40ce7437
	v_add_f64 v[22:23], v[20:21], s[12:13]
	v_mov_b32_e32 v24, 0x32e48896
	v_mov_b32_e32 v25, 0xc16bf81f
	v_fmac_f64_e32 v[24:25], v[4:5], v[22:23]
	v_mov_b32_e32 v22, 0xf0284cdd
	v_mov_b32_e32 v23, 0x41f43f78
	v_fmac_f64_e32 v[22:23], v[4:5], v[24:25]
	;; [unrolled: 3-line block ×4, first 2 shown]
	v_mov_b32_e32 v24, 0xd1d8cc02
	v_mov_b32_e32 v25, 0xc328a121
	s_mov_b32 s12, 0x576dfcb6
	v_fmac_f64_e32 v[24:25], v[4:5], v[22:23]
	v_mov_b32_e32 v22, 0x660b4003
	v_mov_b32_e32 v23, 0x4363a94b
	s_mov_b32 s13, 0x40904522
	v_fmac_f64_e32 v[22:23], v[4:5], v[24:25]
	v_add_f64 v[20:21], v[20:21], s[12:13]
	v_mov_b32_e32 v24, 0xa907bc0c
	v_mov_b32_e32 v25, 0x41231b76
	v_fmac_f64_e32 v[24:25], v[4:5], v[20:21]
	v_mov_b32_e32 v20, 0x5164d101
	v_mov_b32_e32 v21, 0x41b00763
	v_fmac_f64_e32 v[20:21], v[4:5], v[24:25]
	;; [unrolled: 3-line block ×7, first 2 shown]
	v_div_scale_f64 v[4:5], s[12:13], v[20:21], v[20:21], v[24:25]
	v_rcp_f64_e32 v[22:23], v[4:5]
	s_mov_b32 s12, 0x55555555
	v_frexp_exp_i32_f64_e32 v11, v[16:17]
	v_frexp_mant_f64_e32 v[16:17], v[16:17]
	v_fma_f64 v[26:27], -v[4:5], v[22:23], 1.0
	v_fmac_f64_e32 v[22:23], v[22:23], v[26:27]
	v_fma_f64 v[26:27], -v[4:5], v[22:23], 1.0
	v_fmac_f64_e32 v[22:23], v[22:23], v[26:27]
	v_div_scale_f64 v[26:27], vcc, v[24:25], v[20:21], v[24:25]
	v_mul_f64 v[28:29], v[26:27], v[22:23]
	v_fma_f64 v[4:5], -v[4:5], v[28:29], v[26:27]
	s_mov_b32 s13, 0x3fe55555
	s_nop 0
	v_div_fmas_f64 v[4:5], v[4:5], v[22:23], v[28:29]
	v_div_fixup_f64 v[4:5], v[4:5], v[20:21], v[24:25]
	v_mov_b32_e32 v20, 0x3ff00000
	v_cmp_gt_f64_e32 vcc, s[12:13], v[16:17]
	s_mov_b32 s12, 0xbf559e2b
	s_mov_b32 s13, 0x3fc3ab76
	v_cndmask_b32_e64 v21, v20, 2.0, vcc
	v_mov_b32_e32 v20, 0
	v_mul_f64 v[16:17], v[16:17], v[20:21]
	v_add_f64 v[20:21], v[16:17], 1.0
	v_rcp_f64_e32 v[22:23], v[20:21]
	v_add_f64 v[26:27], v[20:21], -1.0
	v_add_f64 v[24:25], v[16:17], -1.0
	v_add_f64 v[16:17], v[16:17], -v[26:27]
	v_fma_f64 v[26:27], -v[20:21], v[22:23], 1.0
	v_fmac_f64_e32 v[22:23], v[26:27], v[22:23]
	v_fma_f64 v[26:27], -v[20:21], v[22:23], 1.0
	v_fmac_f64_e32 v[22:23], v[26:27], v[22:23]
	v_mul_f64 v[26:27], v[24:25], v[22:23]
	v_mul_f64 v[28:29], v[20:21], v[26:27]
	v_fma_f64 v[20:21], v[26:27], v[20:21], -v[28:29]
	v_fmac_f64_e32 v[20:21], v[26:27], v[16:17]
	v_add_f64 v[16:17], v[28:29], v[20:21]
	v_add_f64 v[30:31], v[24:25], -v[16:17]
	v_add_f64 v[28:29], v[16:17], -v[28:29]
	;; [unrolled: 1-line block ×5, first 2 shown]
	v_add_f64 v[16:17], v[20:21], v[16:17]
	v_add_f64 v[16:17], v[30:31], v[16:17]
	v_mul_f64 v[16:17], v[22:23], v[16:17]
	v_add_f64 v[20:21], v[26:27], v[16:17]
	v_add_f64 v[22:23], v[20:21], -v[26:27]
	v_add_f64 v[16:17], v[16:17], -v[22:23]
	v_mul_f64 v[22:23], v[20:21], v[20:21]
	v_mov_b32_e32 v24, 0x6b47b09a
	v_mov_b32_e32 v25, 0x3fc38538
	v_fmac_f64_e32 v[24:25], s[12:13], v[22:23]
	v_mov_b32_e32 v26, 0xd7f4df2e
	v_mov_b32_e32 v27, 0x3fc7474d
	v_fmac_f64_e32 v[26:27], v[22:23], v[24:25]
	;; [unrolled: 3-line block ×6, first 2 shown]
	v_ldexp_f64 v[24:25], v[20:21], 1
	v_mul_f64 v[20:21], v[20:21], v[22:23]
	v_mul_f64 v[20:21], v[20:21], v[26:27]
	v_add_f64 v[22:23], v[24:25], v[20:21]
	v_add_f64 v[24:25], v[22:23], -v[24:25]
	v_ldexp_f64 v[16:17], v[16:17], 1
	v_add_f64 v[20:21], v[20:21], -v[24:25]
	v_add_f64 v[16:17], v[16:17], v[20:21]
	v_add_f64 v[20:21], v[22:23], v[16:17]
	v_subbrev_co_u32_e32 v11, vcc, 0, v11, vcc
	v_add_f64 v[22:23], v[20:21], -v[22:23]
	s_mov_b32 s12, 0xfefa39ef
	v_add_f64 v[16:17], v[16:17], -v[22:23]
	v_cvt_f64_i32_e32 v[22:23], v11
	s_mov_b32 s13, 0x3fe62e42
	v_mul_f64 v[24:25], v[22:23], s[12:13]
	v_fma_f64 v[26:27], v[22:23], s[12:13], -v[24:25]
	s_mov_b32 s12, 0x3b39803f
	s_mov_b32 s13, 0x3c7abc9e
	v_fmac_f64_e32 v[26:27], s[12:13], v[22:23]
	v_add_f64 v[22:23], v[24:25], v[26:27]
	v_add_f64 v[24:25], v[22:23], -v[24:25]
	v_add_f64 v[24:25], v[26:27], -v[24:25]
	v_add_f64 v[26:27], v[22:23], v[20:21]
	v_add_f64 v[28:29], v[26:27], -v[22:23]
	v_add_f64 v[30:31], v[26:27], -v[28:29]
	;; [unrolled: 1-line block ×4, first 2 shown]
	v_add_f64 v[20:21], v[20:21], v[22:23]
	v_add_f64 v[22:23], v[24:25], v[16:17]
	v_add_f64 v[28:29], v[22:23], -v[24:25]
	v_add_f64 v[30:31], v[22:23], -v[28:29]
	v_add_f64 v[20:21], v[22:23], v[20:21]
	v_add_f64 v[24:25], v[24:25], -v[30:31]
	v_add_f64 v[16:17], v[16:17], -v[28:29]
	v_add_f64 v[22:23], v[26:27], v[20:21]
	v_add_f64 v[16:17], v[16:17], v[24:25]
	v_add_f64 v[24:25], v[22:23], -v[26:27]
	v_add_f64 v[20:21], v[20:21], -v[24:25]
	v_add_f64 v[16:17], v[16:17], v[20:21]
	s_mov_b32 s12, 0x6dc9c883
	v_add_f64 v[16:17], v[22:23], v[16:17]
	s_mov_b32 s13, 0x3fe45f30
	v_mul_f64 v[16:17], v[16:17], s[12:13]
	v_fmac_f64_e32 v[4:5], v[16:17], v[18:19]
.LBB7_39:
	s_or_b64 exec, exec, s[10:11]
.LBB7_40:
	s_or_b64 exec, exec, s[8:9]
                                        ; implicit-def: $vgpr16_vgpr17
.LBB7_41:
	s_andn2_saveexec_b64 s[8:9], s[2:3]
	s_cbranch_execz .LBB7_51
; %bb.42:
	s_mov_b32 s13, 0xbfe921fb
	s_mov_b32 s12, 0x54442d18
	;; [unrolled: 1-line block ×3, first 2 shown]
	v_add_f64 v[4:5], v[16:17], s[12:13]
	s_mov_b32 s3, 0x41d00000
	v_cmp_nlt_f64_e64 s[10:11], |v[4:5]|, s[2:3]
	v_trig_preop_f64 v[30:31], |v[4:5]|, 0
	v_trig_preop_f64 v[28:29], |v[4:5]|, 1
	;; [unrolled: 1-line block ×3, first 2 shown]
                                        ; implicit-def: $vgpr11
                                        ; implicit-def: $vgpr18_vgpr19
                                        ; implicit-def: $vgpr20_vgpr21
	s_and_saveexec_b64 s[2:3], s[10:11]
	s_xor_b64 s[14:15], exec, s[2:3]
	s_cbranch_execz .LBB7_44
; %bb.43:
	s_mov_b32 s2, 0
	s_mov_b32 s3, 0x7b000000
	s_movk_i32 s13, 0xff80
	v_and_b32_e32 v11, 0x7fffffff, v5
	v_ldexp_f64 v[18:19], |v[4:5]|, s13
	v_cmp_ge_f64_e64 vcc, |v[4:5]|, s[2:3]
	s_mov_b32 s2, 0
	s_mov_b32 s3, 0x7ff00000
	v_cndmask_b32_e32 v19, v11, v19, vcc
	v_cndmask_b32_e32 v18, v4, v18, vcc
	v_mul_f64 v[22:23], v[30:31], v[18:19]
	v_mul_f64 v[20:21], v[28:29], v[18:19]
	v_fma_f64 v[24:25], v[30:31], v[18:19], -v[22:23]
	v_add_f64 v[32:33], v[20:21], v[24:25]
	v_add_f64 v[34:35], v[22:23], v[32:33]
	v_ldexp_f64 v[36:37], v[34:35], -2
	v_fract_f64_e32 v[38:39], v[36:37]
	v_cmp_neq_f64_e64 vcc, |v[36:37]|, s[2:3]
	v_add_f64 v[22:23], v[34:35], -v[22:23]
	v_add_f64 v[22:23], v[32:33], -v[22:23]
	v_cndmask_b32_e32 v37, 0, v39, vcc
	v_cndmask_b32_e32 v36, 0, v38, vcc
	v_add_f64 v[38:39], v[32:33], -v[20:21]
	v_add_f64 v[24:25], v[24:25], -v[38:39]
	;; [unrolled: 1-line block ×4, first 2 shown]
	v_add_f64 v[24:25], v[24:25], v[38:39]
	v_fma_f64 v[20:21], v[28:29], v[18:19], -v[20:21]
	v_mul_f64 v[38:39], v[26:27], v[18:19]
	v_add_f64 v[42:43], v[38:39], v[20:21]
	v_add_f64 v[44:45], v[42:43], v[24:25]
	v_add_f64 v[34:35], v[44:45], -v[42:43]
	v_add_f64 v[24:25], v[24:25], -v[34:35]
	;; [unrolled: 1-line block ×4, first 2 shown]
	v_add_f64 v[24:25], v[24:25], v[34:35]
	v_add_f64 v[34:35], v[42:43], -v[38:39]
	v_add_f64 v[20:21], v[20:21], -v[34:35]
	;; [unrolled: 1-line block ×4, first 2 shown]
	v_add_f64 v[32:33], v[22:23], v[44:45]
	v_add_f64 v[20:21], v[20:21], v[34:35]
	v_add_f64 v[22:23], v[32:33], -v[22:23]
	v_add_f64 v[20:21], v[20:21], v[24:25]
	v_fma_f64 v[18:19], v[26:27], v[18:19], -v[38:39]
	v_add_f64 v[22:23], v[44:45], -v[22:23]
	v_add_f64 v[18:19], v[18:19], v[20:21]
	v_ldexp_f64 v[20:21], v[36:37], 2
	v_add_f64 v[18:19], v[22:23], v[18:19]
	v_add_f64 v[22:23], v[32:33], v[20:21]
	v_mov_b32_e32 v11, 0x40100000
	v_cmp_gt_f64_e32 vcc, 0, v[22:23]
	v_mov_b32_e32 v40, 0
	s_mov_b32 s13, 0x3ff921fb
	v_cndmask_b32_e32 v41, 0, v11, vcc
	v_add_f64 v[20:21], v[20:21], v[40:41]
	v_add_f64 v[22:23], v[32:33], v[20:21]
	v_cvt_i32_f64_e32 v11, v[22:23]
	v_cvt_f64_i32_e32 v[22:23], v11
	v_add_f64 v[20:21], v[20:21], -v[22:23]
	v_add_f64 v[22:23], v[32:33], v[20:21]
	v_add_f64 v[20:21], v[22:23], -v[20:21]
	v_add_f64 v[20:21], v[32:33], -v[20:21]
	v_add_f64 v[18:19], v[18:19], v[20:21]
	v_cmp_le_f64_e32 vcc, 0.5, v[22:23]
	v_mov_b32_e32 v20, 0x3ff00000
	s_nop 0
	v_cndmask_b32_e32 v41, 0, v20, vcc
	v_add_f64 v[20:21], v[22:23], -v[40:41]
	v_add_f64 v[22:23], v[20:21], v[18:19]
	v_addc_co_u32_e64 v11, s[2:3], 0, v11, vcc
	v_add_f64 v[20:21], v[22:23], -v[20:21]
	v_add_f64 v[18:19], v[18:19], -v[20:21]
	v_mul_f64 v[20:21], v[22:23], s[12:13]
	s_mov_b32 s2, 0x33145c07
	v_fma_f64 v[24:25], v[22:23], s[12:13], -v[20:21]
	s_mov_b32 s3, 0x3c91a626
	v_fmac_f64_e32 v[24:25], s[2:3], v[22:23]
	v_fmac_f64_e32 v[24:25], s[12:13], v[18:19]
	v_add_f64 v[18:19], v[20:21], v[24:25]
	v_add_f64 v[20:21], v[18:19], -v[20:21]
	v_add_f64 v[20:21], v[24:25], -v[20:21]
	s_andn2_saveexec_b64 s[2:3], s[14:15]
	s_cbranch_execz .LBB7_46
	s_branch .LBB7_45
.LBB7_44:
	s_andn2_saveexec_b64 s[2:3], s[14:15]
	s_cbranch_execz .LBB7_46
.LBB7_45:
	s_mov_b32 s12, 0x6dc9c883
	s_mov_b32 s13, 0x3fe45f30
	v_mul_f64 v[18:19], |v[4:5]|, s[12:13]
	s_mov_b32 s12, 0x54442d18
	v_rndne_f64_e32 v[22:23], v[18:19]
	s_mov_b32 s13, 0xbff921fb
	v_fma_f64 v[18:19], v[22:23], s[12:13], |v[4:5]|
	s_mov_b32 s13, 0xbc91a626
	s_mov_b32 s12, 0x33145c00
	v_mul_f64 v[24:25], v[22:23], s[12:13]
	v_add_f64 v[34:35], v[18:19], v[24:25]
	v_fma_f64 v[20:21], s[12:13], v[22:23], v[18:19]
	s_mov_b32 s13, 0x3c91a626
	v_add_f64 v[18:19], v[18:19], -v[34:35]
	v_fma_f64 v[32:33], s[12:13], v[22:23], v[24:25]
	v_add_f64 v[18:19], v[18:19], v[24:25]
	v_add_f64 v[24:25], v[34:35], -v[20:21]
	v_add_f64 v[18:19], v[24:25], v[18:19]
	s_mov_b32 s12, 0x252049c0
	v_add_f64 v[24:25], v[18:19], -v[32:33]
	s_mov_b32 s13, 0xb97b839a
	v_fmac_f64_e32 v[24:25], s[12:13], v[22:23]
	v_add_f64 v[18:19], v[20:21], v[24:25]
	v_add_f64 v[20:21], v[18:19], -v[20:21]
	v_add_f64 v[20:21], v[24:25], -v[20:21]
	v_cvt_i32_f64_e32 v11, v[22:23]
.LBB7_46:
	s_or_b64 exec, exec, s[2:3]
                                        ; implicit-def: $vgpr32
                                        ; implicit-def: $vgpr22_vgpr23
                                        ; implicit-def: $vgpr24_vgpr25
	s_and_saveexec_b64 s[2:3], s[10:11]
	s_xor_b64 s[10:11], exec, s[2:3]
	s_cbranch_execz .LBB7_48
; %bb.47:
	s_mov_b32 s2, 0
	s_mov_b32 s3, 0x7b000000
	s_movk_i32 s12, 0xff80
	v_and_b32_e32 v24, 0x7fffffff, v5
	v_ldexp_f64 v[22:23], |v[4:5]|, s12
	v_cmp_ge_f64_e64 vcc, |v[4:5]|, s[2:3]
	s_mov_b32 s2, 0
	s_mov_b32 s3, 0x7ff00000
	v_cndmask_b32_e32 v23, v24, v23, vcc
	v_cndmask_b32_e32 v22, v4, v22, vcc
	v_mul_f64 v[32:33], v[30:31], v[22:23]
	v_mul_f64 v[24:25], v[28:29], v[22:23]
	v_fma_f64 v[30:31], v[30:31], v[22:23], -v[32:33]
	v_add_f64 v[34:35], v[24:25], v[30:31]
	v_add_f64 v[36:37], v[32:33], v[34:35]
	v_ldexp_f64 v[38:39], v[36:37], -2
	v_fract_f64_e32 v[40:41], v[38:39]
	v_cmp_neq_f64_e64 vcc, |v[38:39]|, s[2:3]
	v_add_f64 v[32:33], v[36:37], -v[32:33]
	v_add_f64 v[32:33], v[34:35], -v[32:33]
	v_cndmask_b32_e32 v39, 0, v41, vcc
	v_cndmask_b32_e32 v38, 0, v40, vcc
	v_add_f64 v[40:41], v[34:35], -v[24:25]
	v_add_f64 v[30:31], v[30:31], -v[40:41]
	;; [unrolled: 1-line block ×4, first 2 shown]
	v_fma_f64 v[24:25], v[28:29], v[22:23], -v[24:25]
	v_mul_f64 v[28:29], v[26:27], v[22:23]
	v_add_f64 v[30:31], v[30:31], v[40:41]
	v_add_f64 v[40:41], v[28:29], v[24:25]
	v_add_f64 v[44:45], v[40:41], v[30:31]
	v_add_f64 v[36:37], v[44:45], -v[40:41]
	v_add_f64 v[30:31], v[30:31], -v[36:37]
	;; [unrolled: 1-line block ×4, first 2 shown]
	v_add_f64 v[30:31], v[30:31], v[36:37]
	v_add_f64 v[36:37], v[40:41], -v[28:29]
	v_add_f64 v[24:25], v[24:25], -v[36:37]
	;; [unrolled: 1-line block ×4, first 2 shown]
	v_add_f64 v[24:25], v[24:25], v[36:37]
	v_add_f64 v[24:25], v[24:25], v[30:31]
	v_fma_f64 v[22:23], v[26:27], v[22:23], -v[28:29]
	v_add_f64 v[34:35], v[32:33], v[44:45]
	v_add_f64 v[22:23], v[22:23], v[24:25]
	v_ldexp_f64 v[24:25], v[38:39], 2
	v_add_f64 v[26:27], v[34:35], v[24:25]
	v_mov_b32_e32 v28, 0x40100000
	v_cmp_gt_f64_e32 vcc, 0, v[26:27]
	v_mov_b32_e32 v42, 0
	v_add_f64 v[32:33], v[34:35], -v[32:33]
	v_cndmask_b32_e32 v43, 0, v28, vcc
	v_add_f64 v[24:25], v[24:25], v[42:43]
	v_add_f64 v[26:27], v[34:35], v[24:25]
	v_cvt_i32_f64_e32 v28, v[26:27]
	v_cvt_f64_i32_e32 v[26:27], v28
	v_add_f64 v[24:25], v[24:25], -v[26:27]
	v_add_f64 v[26:27], v[34:35], v[24:25]
	v_add_f64 v[32:33], v[44:45], -v[32:33]
	v_add_f64 v[24:25], v[26:27], -v[24:25]
	v_add_f64 v[22:23], v[32:33], v[22:23]
	v_add_f64 v[24:25], v[34:35], -v[24:25]
	v_add_f64 v[22:23], v[22:23], v[24:25]
	v_cmp_le_f64_e32 vcc, 0.5, v[26:27]
	v_mov_b32_e32 v24, 0x3ff00000
	s_mov_b32 s12, 0x33145c07
	v_cndmask_b32_e32 v43, 0, v24, vcc
	v_addc_co_u32_e64 v32, s[2:3], 0, v28, vcc
	v_add_f64 v[24:25], v[26:27], -v[42:43]
	v_add_f64 v[26:27], v[24:25], v[22:23]
	s_mov_b32 s2, 0x54442d18
	v_add_f64 v[24:25], v[26:27], -v[24:25]
	s_mov_b32 s3, 0x3ff921fb
	v_add_f64 v[22:23], v[22:23], -v[24:25]
	v_mul_f64 v[24:25], v[26:27], s[2:3]
	v_fma_f64 v[28:29], v[26:27], s[2:3], -v[24:25]
	s_mov_b32 s13, 0x3c91a626
	v_fmac_f64_e32 v[28:29], s[12:13], v[26:27]
	v_fmac_f64_e32 v[28:29], s[2:3], v[22:23]
	v_add_f64 v[22:23], v[24:25], v[28:29]
	v_add_f64 v[24:25], v[22:23], -v[24:25]
	v_add_f64 v[24:25], v[28:29], -v[24:25]
	s_andn2_saveexec_b64 s[2:3], s[10:11]
	s_cbranch_execnz .LBB7_49
	s_branch .LBB7_50
.LBB7_48:
	s_andn2_saveexec_b64 s[2:3], s[10:11]
	s_cbranch_execz .LBB7_50
.LBB7_49:
	s_mov_b32 s10, 0x6dc9c883
	s_mov_b32 s11, 0x3fe45f30
	v_mul_f64 v[22:23], |v[4:5]|, s[10:11]
	s_mov_b32 s10, 0x54442d18
	v_rndne_f64_e32 v[26:27], v[22:23]
	s_mov_b32 s11, 0xbff921fb
	v_fma_f64 v[22:23], v[26:27], s[10:11], |v[4:5]|
	s_mov_b32 s11, 0xbc91a626
	s_mov_b32 s10, 0x33145c00
	v_mul_f64 v[28:29], v[26:27], s[10:11]
	v_add_f64 v[32:33], v[22:23], v[28:29]
	v_fma_f64 v[24:25], s[10:11], v[26:27], v[22:23]
	s_mov_b32 s11, 0x3c91a626
	v_add_f64 v[22:23], v[22:23], -v[32:33]
	v_fma_f64 v[30:31], s[10:11], v[26:27], v[28:29]
	v_add_f64 v[22:23], v[22:23], v[28:29]
	v_add_f64 v[28:29], v[32:33], -v[24:25]
	v_add_f64 v[22:23], v[28:29], v[22:23]
	s_mov_b32 s10, 0x252049c0
	v_add_f64 v[28:29], v[22:23], -v[30:31]
	s_mov_b32 s11, 0xb97b839a
	v_fmac_f64_e32 v[28:29], s[10:11], v[26:27]
	v_add_f64 v[22:23], v[24:25], v[28:29]
	v_add_f64 v[24:25], v[22:23], -v[24:25]
	v_add_f64 v[24:25], v[28:29], -v[24:25]
	v_cvt_i32_f64_e32 v32, v[26:27]
.LBB7_50:
	s_or_b64 exec, exec, s[2:3]
	s_mov_b32 s2, 0
	v_mul_f64 v[26:27], v[16:17], v[16:17]
	s_mov_b32 s3, 0x40390000
	v_div_scale_f64 v[28:29], s[10:11], v[26:27], v[26:27], s[2:3]
	v_rcp_f64_e32 v[30:31], v[28:29]
	v_mov_b32_e32 v38, 0xb1759c7f
	v_mov_b32_e32 v39, 0x408ac370
	;; [unrolled: 1-line block ×3, first 2 shown]
	v_fma_f64 v[34:35], -v[28:29], v[30:31], 1.0
	v_fmac_f64_e32 v[30:31], v[30:31], v[34:35]
	v_fma_f64 v[34:35], -v[28:29], v[30:31], 1.0
	v_fmac_f64_e32 v[30:31], v[30:31], v[34:35]
	v_div_scale_f64 v[34:35], vcc, s[2:3], v[26:27], s[2:3]
	v_mul_f64 v[36:37], v[34:35], v[30:31]
	v_fma_f64 v[28:29], -v[28:29], v[36:37], v[34:35]
	v_mov_b32_e32 v34, 0xab5454e3
	s_nop 0
	v_div_fmas_f64 v[28:29], v[28:29], v[30:31], v[36:37]
	v_div_fixup_f64 v[26:27], v[28:29], v[26:27], s[2:3]
	v_mov_b32_e32 v28, 0x983b6b27
	v_mov_b32_e32 v29, 0x3f4a1d30
	v_fmac_f64_e32 v[28:29], 0, v[26:27]
	v_mov_b32_e32 v30, 0xb35dd1cf
	v_mov_b32_e32 v31, 0x3fb534b0
	v_fmac_f64_e32 v[30:31], v[26:27], v[28:29]
	;; [unrolled: 3-line block ×7, first 2 shown]
	v_mov_b32_e32 v35, 0x3fb5ebc5
	v_fmac_f64_e32 v[34:35], v[26:27], v[28:29]
	v_mov_b32_e32 v28, 0xc9b3069f
	v_mov_b32_e32 v29, 0x3ff40e72
	v_fmac_f64_e32 v[28:29], v[26:27], v[34:35]
	v_mov_b32_e32 v34, 0xe68162bb
	;; [unrolled: 3-line block ×4, first 2 shown]
	v_mov_b32_e32 v35, 0x40153965
	v_fmac_f64_e32 v[34:35], v[26:27], v[28:29]
	v_fma_f64 v[28:29], v[26:27], v[34:35], 1.0
	v_mov_b32_e32 v34, 0x38a5384a
	v_mov_b32_e32 v35, 0xbf874742
	v_fmac_f64_e32 v[34:35], 0, v[26:27]
	v_mov_b32_e32 v36, 0x3a321174
	v_mov_b32_e32 v37, 0xbff4853b
	v_fmac_f64_e32 v[36:37], v[26:27], v[34:35]
	;; [unrolled: 3-line block ×9, first 2 shown]
	v_fmac_f64_e32 v[38:39], v[26:27], v[34:35]
	v_mov_b32_e32 v34, 0xbd748cb5
	v_mov_b32_e32 v35, 0x40ae54cd
	v_fmac_f64_e32 v[34:35], v[26:27], v[38:39]
	v_mov_b32_e32 v38, 0xbdefd63e
	v_mov_b32_e32 v39, 0x40bc4877
	;; [unrolled: 3-line block ×4, first 2 shown]
	v_fma_f64 v[30:31], v[26:27], v[30:31], 1.0
	v_fmac_f64_e32 v[38:39], v[26:27], v[34:35]
	v_div_scale_f64 v[34:35], s[2:3], v[28:29], v[28:29], v[30:31]
	v_rcp_f64_e32 v[40:41], v[34:35]
	v_mov_b32_e32 v43, 0x406e402f
	v_fmac_f64_e32 v[42:43], v[26:27], v[38:39]
	s_mov_b32 s2, 0x9037ab78
	v_fma_f64 v[26:27], -v[34:35], v[40:41], 1.0
	v_fmac_f64_e32 v[40:41], v[40:41], v[26:27]
	v_fma_f64 v[26:27], -v[34:35], v[40:41], 1.0
	v_fmac_f64_e32 v[40:41], v[40:41], v[26:27]
	v_div_scale_f64 v[26:27], vcc, v[30:31], v[28:29], v[30:31]
	v_mul_f64 v[38:39], v[26:27], v[40:41]
	v_fma_f64 v[26:27], -v[34:35], v[38:39], v[26:27]
	s_mov_b32 s3, 0x3e21eeb6
	s_nop 0
	v_div_fmas_f64 v[26:27], v[26:27], v[40:41], v[38:39]
	s_mov_b32 s10, 0x46cc5e42
	v_div_fixup_f64 v[26:27], v[26:27], v[28:29], v[30:31]
	v_mul_f64 v[28:29], v[18:19], v[18:19]
	s_mov_b32 s11, 0xbda907db
	v_mov_b64_e32 v[40:41], s[2:3]
	s_mov_b32 s12, 0xa17f65f6
	v_mul_f64 v[30:31], v[28:29], 0.5
	v_fma_f64 v[44:45], s[10:11], v[28:29], v[40:41]
	s_mov_b32 s13, 0xbe927e4f
	s_mov_b32 s14, 0x19f4ec90
	v_add_f64 v[34:35], -v[30:31], 1.0
	v_fma_f64 v[44:45], v[28:29], v[44:45], s[12:13]
	s_mov_b32 s15, 0x3efa01a0
	s_mov_b32 s16, 0x16c16967
	v_add_f64 v[38:39], -v[34:35], 1.0
	v_fma_f64 v[44:45], v[28:29], v[44:45], s[14:15]
	s_mov_b32 s17, 0xbf56c16c
	s_mov_b32 s18, 0x55555555
	v_add_f64 v[30:31], v[38:39], -v[30:31]
	v_fma_f64 v[44:45], v[28:29], v[44:45], s[16:17]
	s_mov_b32 s19, 0x3fa55555
	v_mul_f64 v[38:39], v[28:29], v[28:29]
	v_fma_f64 v[44:45], v[28:29], v[44:45], s[18:19]
	v_fma_f64 v[30:31], v[18:19], -v[20:21], v[30:31]
	s_mov_b32 s2, 0xb42fdfa7
	v_fmac_f64_e32 v[30:31], v[38:39], v[44:45]
	s_mov_b32 s3, 0xbe5ae600
	s_mov_b32 s20, 0xf9a43bb8
	v_add_f64 v[30:31], v[34:35], v[30:31]
	s_mov_b32 s21, 0x3de5e0b2
	v_mov_b64_e32 v[34:35], s[2:3]
	s_mov_b32 s24, 0x796cde01
	v_fma_f64 v[38:39], s[20:21], v[28:29], v[34:35]
	s_mov_b32 s25, 0x3ec71de3
	s_mov_b32 s26, 0x19e83e5c
	v_fma_f64 v[38:39], v[28:29], v[38:39], s[24:25]
	s_mov_b32 s27, 0xbf2a01a0
	;; [unrolled: 3-line block ×3, first 2 shown]
	v_fma_f64 v[38:39], v[28:29], v[38:39], s[28:29]
	v_mul_f64 v[44:45], v[18:19], -v[28:29]
	v_mul_f64 v[46:47], v[20:21], 0.5
	v_fmac_f64_e32 v[46:47], v[44:45], v[38:39]
	v_fma_f64 v[20:21], v[28:29], v[46:47], -v[20:21]
	s_mov_b32 s31, 0xbfc55555
	s_mov_b32 s30, s18
	v_fmac_f64_e32 v[20:21], s[30:31], v[44:45]
	v_add_f64 v[18:19], v[18:19], -v[20:21]
	v_and_b32_e32 v20, 1, v11
	v_lshlrev_b32_e32 v11, 30, v11
	v_cmp_eq_u32_e32 vcc, 0, v20
	v_xor_b32_e32 v11, v11, v5
	s_mov_b32 s34, 0
	v_cndmask_b32_e32 v28, v30, v18, vcc
	v_cndmask_b32_e32 v18, v31, v19, vcc
	v_and_b32_e32 v11, 0x80000000, v11
	s_mov_b32 s35, 0x40140000
	v_xor_b32_e32 v11, v18, v11
	v_div_scale_f64 v[18:19], s[2:3], v[16:17], v[16:17], s[34:35]
	v_rcp_f64_e32 v[20:21], v[18:19]
	s_movk_i32 s33, 0x1f8
	v_cmp_class_f64_e64 s[2:3], v[4:5], s33
	v_mov_b32_e32 v33, 0x7ff80000
	s_nop 0
	v_cndmask_b32_e64 v4, 0, v28, s[2:3]
	v_fma_f64 v[28:29], -v[18:19], v[20:21], 1.0
	v_fmac_f64_e32 v[20:21], v[20:21], v[28:29]
	v_fma_f64 v[28:29], -v[18:19], v[20:21], 1.0
	v_fmac_f64_e32 v[20:21], v[20:21], v[28:29]
	v_div_scale_f64 v[28:29], vcc, s[34:35], v[16:17], s[34:35]
	v_mul_f64 v[30:31], v[28:29], v[20:21]
	v_fma_f64 v[18:19], -v[18:19], v[30:31], v[28:29]
	v_div_scale_f64 v[28:29], s[36:37], v[42:43], v[42:43], v[36:37]
	v_rcp_f64_e32 v[38:39], v[28:29]
	v_div_fmas_f64 v[18:19], v[18:19], v[20:21], v[30:31]
	v_div_fixup_f64 v[18:19], v[18:19], v[16:17], s[34:35]
	v_cndmask_b32_e64 v5, v33, v11, s[2:3]
	v_fma_f64 v[20:21], -v[28:29], v[38:39], 1.0
	v_fmac_f64_e32 v[38:39], v[38:39], v[20:21]
	v_fma_f64 v[20:21], -v[28:29], v[38:39], 1.0
	v_fmac_f64_e32 v[38:39], v[38:39], v[20:21]
	v_div_scale_f64 v[20:21], vcc, v[36:37], v[42:43], v[36:37]
	v_mul_f64 v[30:31], v[20:21], v[38:39]
	v_fma_f64 v[20:21], -v[28:29], v[30:31], v[20:21]
	s_nop 1
	v_div_fmas_f64 v[20:21], v[20:21], v[38:39], v[30:31]
	v_div_fixup_f64 v[20:21], v[20:21], v[42:43], v[36:37]
	v_mul_f64 v[18:19], v[18:19], v[20:21]
	v_mul_f64 v[20:21], v[22:23], v[22:23]
	v_mul_f64 v[28:29], v[20:21], 0.5
	v_fmac_f64_e32 v[40:41], s[10:11], v[20:21]
	v_add_f64 v[30:31], -v[28:29], 1.0
	v_fma_f64 v[38:39], v[20:21], v[40:41], s[12:13]
	v_add_f64 v[36:37], -v[30:31], 1.0
	v_fma_f64 v[38:39], v[20:21], v[38:39], s[14:15]
	v_add_f64 v[28:29], v[36:37], -v[28:29]
	v_fma_f64 v[38:39], v[20:21], v[38:39], s[16:17]
	v_mul_f64 v[36:37], v[20:21], v[20:21]
	v_fma_f64 v[38:39], v[20:21], v[38:39], s[18:19]
	v_fma_f64 v[28:29], v[22:23], -v[24:25], v[28:29]
	v_fmac_f64_e32 v[28:29], v[36:37], v[38:39]
	v_fmac_f64_e32 v[34:35], s[20:21], v[20:21]
	v_add_f64 v[28:29], v[30:31], v[28:29]
	v_fma_f64 v[30:31], v[20:21], v[34:35], s[24:25]
	v_fma_f64 v[30:31], v[20:21], v[30:31], s[26:27]
	;; [unrolled: 1-line block ×3, first 2 shown]
	v_mul_f64 v[34:35], v[22:23], -v[20:21]
	v_mul_f64 v[36:37], v[24:25], 0.5
	v_fmac_f64_e32 v[36:37], v[34:35], v[30:31]
	v_fma_f64 v[20:21], v[20:21], v[36:37], -v[24:25]
	v_fmac_f64_e32 v[20:21], s[30:31], v[34:35]
	v_add_f64 v[20:21], v[22:23], -v[20:21]
	v_xor_b32_e32 v11, 0x80000000, v21
	v_and_b32_e32 v21, 1, v32
	v_cmp_eq_u32_e32 vcc, 0, v21
	v_lshlrev_b32_e32 v21, 30, v32
	v_and_b32_e32 v21, 0x80000000, v21
	v_cndmask_b32_e32 v11, v11, v29, vcc
	v_cndmask_b32_e32 v20, v20, v28, vcc
	v_xor_b32_e32 v11, v11, v21
	v_cndmask_b32_e64 v20, 0, v20, s[2:3]
	v_cndmask_b32_e64 v21, v33, v11, s[2:3]
	s_mov_b32 s2, 0
	s_brev_b32 s3, 8
	v_mul_f64 v[18:19], v[18:19], v[20:21]
	v_cmp_gt_f64_e32 vcc, s[2:3], v[16:17]
	v_fmac_f64_e32 v[18:19], v[26:27], v[4:5]
	v_mov_b32_e32 v11, 0xffffff80
	v_cndmask_b32_e64 v4, 0, 1, vcc
	v_lshlrev_b32_e32 v4, 8, v4
	v_ldexp_f64 v[4:5], v[16:17], v4
	v_rsq_f64_e32 v[16:17], v[4:5]
	v_cndmask_b32_e32 v11, 0, v11, vcc
	s_mov_b32 s2, 0x33d43651
	s_mov_b32 s3, 0x3fe98845
	v_mul_f64 v[20:21], v[4:5], v[16:17]
	v_mul_f64 v[16:17], v[16:17], 0.5
	v_fma_f64 v[22:23], -v[16:17], v[20:21], 0.5
	v_fmac_f64_e32 v[20:21], v[20:21], v[22:23]
	v_fma_f64 v[24:25], -v[20:21], v[20:21], v[4:5]
	v_fmac_f64_e32 v[16:17], v[16:17], v[22:23]
	v_fmac_f64_e32 v[20:21], v[24:25], v[16:17]
	v_fma_f64 v[22:23], -v[20:21], v[20:21], v[4:5]
	v_fmac_f64_e32 v[20:21], v[22:23], v[16:17]
	v_ldexp_f64 v[16:17], v[20:21], v11
	v_mov_b32_e32 v11, 0x260
	v_cmp_class_f64_e32 vcc, v[4:5], v11
	v_mul_f64 v[18:19], v[18:19], s[2:3]
	s_nop 0
	v_cndmask_b32_e32 v5, v17, v5, vcc
	v_cndmask_b32_e32 v4, v16, v4, vcc
	v_div_scale_f64 v[16:17], s[2:3], v[4:5], v[4:5], v[18:19]
	v_rcp_f64_e32 v[20:21], v[16:17]
	s_nop 0
	v_fma_f64 v[22:23], -v[16:17], v[20:21], 1.0
	v_fmac_f64_e32 v[20:21], v[20:21], v[22:23]
	v_fma_f64 v[22:23], -v[16:17], v[20:21], 1.0
	v_fmac_f64_e32 v[20:21], v[20:21], v[22:23]
	v_div_scale_f64 v[22:23], vcc, v[18:19], v[4:5], v[18:19]
	v_mul_f64 v[24:25], v[22:23], v[20:21]
	v_fma_f64 v[16:17], -v[16:17], v[24:25], v[22:23]
	s_nop 1
	v_div_fmas_f64 v[16:17], v[16:17], v[20:21], v[24:25]
	v_div_fixup_f64 v[4:5], v[16:17], v[4:5], v[18:19]
.LBB7_51:
	s_or_b64 exec, exec, s[8:9]
.LBB7_52:
	s_or_b64 exec, exec, s[6:7]
	v_or_b32_e32 v11, 0x200, v0
	v_cmp_gt_i32_e32 vcc, s23, v11
	s_and_saveexec_b64 s[6:7], vcc
	s_cbranch_execz .LBB7_74
; %bb.53:
	s_mov_b32 s2, 0
	s_mov_b32 s3, 0x40140000
	s_waitcnt vmcnt(0)
	v_cmp_ge_f64_e32 vcc, s[2:3], v[14:15]
	s_and_saveexec_b64 s[2:3], vcc
	s_xor_b64 s[2:3], exec, s[2:3]
	s_cbranch_execz .LBB7_63
; %bb.54:
	v_mov_b32_e32 v6, 0
	v_cmp_neq_f64_e32 vcc, 0, v[14:15]
	v_mov_b32_e32 v7, 0xfff00000
	s_and_saveexec_b64 s[8:9], vcc
	s_cbranch_execz .LBB7_62
; %bb.55:
	v_mov_b32_e32 v6, 0
	v_cmp_ngt_f64_e32 vcc, 0, v[14:15]
	v_mov_b32_e32 v7, 0x7ff80000
	s_and_saveexec_b64 s[10:11], vcc
	s_cbranch_execz .LBB7_61
; %bb.56:
	s_mov_b32 s12, 0x88e368f1
	v_mul_f64 v[6:7], v[14:15], v[14:15]
	s_mov_b32 s13, 0x3ee4f8b5
	v_mul_f64 v[18:19], v[6:7], 0
	v_cmp_ngt_f64_e32 vcc, s[12:13], v[14:15]
                                        ; implicit-def: $vgpr16_vgpr17
	s_and_saveexec_b64 s[12:13], vcc
	s_xor_b64 s[12:13], exec, s[12:13]
	s_cbranch_execz .LBB7_58
; %bb.57:
	s_mov_b32 s14, 0xad1c8325
	s_mov_b32 s15, 0xc1f1dc53
	v_add_f64 v[16:17], v[18:19], s[14:15]
	v_mov_b32_e32 v20, 0xc772990d
	v_mov_b32_e32 v21, 0x427c7751
	s_mov_b32 s14, 0xa696b78c
	v_fmac_f64_e32 v[20:21], v[6:7], v[16:17]
	v_mov_b32_e32 v16, 0xe0d900f7
	v_mov_b32_e32 v17, 0xc2ec5614
	s_mov_b32 s15, 0x407f3902
	v_fmac_f64_e32 v[16:17], v[6:7], v[20:21]
	v_add_f64 v[20:21], v[18:19], s[14:15]
	v_mov_b32_e32 v22, 0x36a21a67
	v_mov_b32_e32 v23, 0x410536cb
	v_fmac_f64_e32 v[22:23], v[6:7], v[20:21]
	v_mov_b32_e32 v20, 0x2eac0634
	v_mov_b32_e32 v21, 0x41871934
	v_fmac_f64_e32 v[20:21], v[6:7], v[22:23]
	;; [unrolled: 3-line block ×6, first 2 shown]
	v_mov_b32_e32 v22, 0xc7b662cc
	v_mov_b32_e32 v23, 0x43b7be34
	s_mov_b32 s14, 0x80462bbb
	v_fmac_f64_e32 v[22:23], v[6:7], v[20:21]
	v_mov_b32_e32 v20, 0x69ff5fb4
	v_mov_b32_e32 v21, 0x43413ef8
	s_mov_b32 s15, 0xc01721fb
	v_fmac_f64_e32 v[20:21], v[6:7], v[16:17]
	v_add_f64 v[16:17], v[6:7], s[14:15]
	s_mov_b32 s14, 0xa621dd6f
	s_mov_b32 s15, 0xc03e78a4
	v_add_f64 v[24:25], v[6:7], s[14:15]
	v_mul_f64 v[16:17], v[16:17], v[24:25]
	v_mul_f64 v[16:17], v[16:17], v[20:21]
	v_div_scale_f64 v[20:21], s[14:15], v[22:23], v[22:23], v[16:17]
	v_rcp_f64_e32 v[24:25], v[20:21]
	s_nop 0
	v_fma_f64 v[26:27], -v[20:21], v[24:25], 1.0
	v_fmac_f64_e32 v[24:25], v[24:25], v[26:27]
	v_fma_f64 v[26:27], -v[20:21], v[24:25], 1.0
	v_fmac_f64_e32 v[24:25], v[24:25], v[26:27]
	v_div_scale_f64 v[26:27], vcc, v[16:17], v[22:23], v[16:17]
	v_mul_f64 v[28:29], v[26:27], v[24:25]
	v_fma_f64 v[20:21], -v[20:21], v[28:29], v[26:27]
	s_nop 1
	v_div_fmas_f64 v[20:21], v[20:21], v[24:25], v[28:29]
	v_div_fixup_f64 v[16:17], v[20:21], v[22:23], v[16:17]
.LBB7_58:
	s_andn2_saveexec_b64 s[12:13], s[12:13]
; %bb.59:
	s_mov_b32 s14, 0
	s_mov_b32 s15, 0xbfd00000
	v_fma_f64 v[16:17], v[6:7], s[14:15], 1.0
; %bb.60:
	s_or_b64 exec, exec, s[12:13]
	s_mov_b32 s12, 0xe896898f
	s_mov_b32 s13, 0x40ce7437
	v_add_f64 v[20:21], v[18:19], s[12:13]
	v_mov_b32_e32 v22, 0x32e48896
	v_mov_b32_e32 v23, 0xc16bf81f
	v_fmac_f64_e32 v[22:23], v[6:7], v[20:21]
	v_mov_b32_e32 v20, 0xf0284cdd
	v_mov_b32_e32 v21, 0x41f43f78
	v_fmac_f64_e32 v[20:21], v[6:7], v[22:23]
	;; [unrolled: 3-line block ×4, first 2 shown]
	v_mov_b32_e32 v22, 0xd1d8cc02
	v_mov_b32_e32 v23, 0xc328a121
	s_mov_b32 s12, 0x576dfcb6
	v_fmac_f64_e32 v[22:23], v[6:7], v[20:21]
	v_mov_b32_e32 v20, 0x660b4003
	v_mov_b32_e32 v21, 0x4363a94b
	s_mov_b32 s13, 0x40904522
	v_fmac_f64_e32 v[20:21], v[6:7], v[22:23]
	v_add_f64 v[18:19], v[18:19], s[12:13]
	v_mov_b32_e32 v22, 0xa907bc0c
	v_mov_b32_e32 v23, 0x41231b76
	v_fmac_f64_e32 v[22:23], v[6:7], v[18:19]
	v_mov_b32_e32 v18, 0x5164d101
	v_mov_b32_e32 v19, 0x41b00763
	v_fmac_f64_e32 v[18:19], v[6:7], v[22:23]
	;; [unrolled: 3-line block ×7, first 2 shown]
	v_div_scale_f64 v[6:7], s[12:13], v[18:19], v[18:19], v[22:23]
	v_rcp_f64_e32 v[20:21], v[6:7]
	s_mov_b32 s12, 0x55555555
	v_frexp_exp_i32_f64_e32 v11, v[14:15]
	v_frexp_mant_f64_e32 v[14:15], v[14:15]
	v_fma_f64 v[24:25], -v[6:7], v[20:21], 1.0
	v_fmac_f64_e32 v[20:21], v[20:21], v[24:25]
	v_fma_f64 v[24:25], -v[6:7], v[20:21], 1.0
	v_fmac_f64_e32 v[20:21], v[20:21], v[24:25]
	v_div_scale_f64 v[24:25], vcc, v[22:23], v[18:19], v[22:23]
	v_mul_f64 v[26:27], v[24:25], v[20:21]
	v_fma_f64 v[6:7], -v[6:7], v[26:27], v[24:25]
	s_mov_b32 s13, 0x3fe55555
	s_nop 0
	v_div_fmas_f64 v[6:7], v[6:7], v[20:21], v[26:27]
	v_div_fixup_f64 v[6:7], v[6:7], v[18:19], v[22:23]
	v_mov_b32_e32 v18, 0x3ff00000
	v_cmp_gt_f64_e32 vcc, s[12:13], v[14:15]
	s_mov_b32 s12, 0xbf559e2b
	s_mov_b32 s13, 0x3fc3ab76
	v_cndmask_b32_e64 v19, v18, 2.0, vcc
	v_mov_b32_e32 v18, 0
	v_mul_f64 v[14:15], v[14:15], v[18:19]
	v_add_f64 v[18:19], v[14:15], 1.0
	v_rcp_f64_e32 v[20:21], v[18:19]
	v_add_f64 v[24:25], v[18:19], -1.0
	v_add_f64 v[22:23], v[14:15], -1.0
	v_add_f64 v[14:15], v[14:15], -v[24:25]
	v_fma_f64 v[24:25], -v[18:19], v[20:21], 1.0
	v_fmac_f64_e32 v[20:21], v[24:25], v[20:21]
	v_fma_f64 v[24:25], -v[18:19], v[20:21], 1.0
	v_fmac_f64_e32 v[20:21], v[24:25], v[20:21]
	v_mul_f64 v[24:25], v[22:23], v[20:21]
	v_mul_f64 v[26:27], v[18:19], v[24:25]
	v_fma_f64 v[18:19], v[24:25], v[18:19], -v[26:27]
	v_fmac_f64_e32 v[18:19], v[24:25], v[14:15]
	v_add_f64 v[14:15], v[26:27], v[18:19]
	v_add_f64 v[28:29], v[22:23], -v[14:15]
	v_add_f64 v[26:27], v[14:15], -v[26:27]
	;; [unrolled: 1-line block ×5, first 2 shown]
	v_add_f64 v[14:15], v[18:19], v[14:15]
	v_add_f64 v[14:15], v[28:29], v[14:15]
	v_mul_f64 v[14:15], v[20:21], v[14:15]
	v_add_f64 v[18:19], v[24:25], v[14:15]
	v_add_f64 v[20:21], v[18:19], -v[24:25]
	v_add_f64 v[14:15], v[14:15], -v[20:21]
	v_mul_f64 v[20:21], v[18:19], v[18:19]
	v_mov_b32_e32 v22, 0x6b47b09a
	v_mov_b32_e32 v23, 0x3fc38538
	v_fmac_f64_e32 v[22:23], s[12:13], v[20:21]
	v_mov_b32_e32 v24, 0xd7f4df2e
	v_mov_b32_e32 v25, 0x3fc7474d
	v_fmac_f64_e32 v[24:25], v[20:21], v[22:23]
	;; [unrolled: 3-line block ×6, first 2 shown]
	v_ldexp_f64 v[22:23], v[18:19], 1
	v_mul_f64 v[18:19], v[18:19], v[20:21]
	v_mul_f64 v[18:19], v[18:19], v[24:25]
	v_add_f64 v[20:21], v[22:23], v[18:19]
	v_add_f64 v[22:23], v[20:21], -v[22:23]
	v_ldexp_f64 v[14:15], v[14:15], 1
	v_add_f64 v[18:19], v[18:19], -v[22:23]
	v_add_f64 v[14:15], v[14:15], v[18:19]
	v_add_f64 v[18:19], v[20:21], v[14:15]
	v_subbrev_co_u32_e32 v11, vcc, 0, v11, vcc
	v_add_f64 v[20:21], v[18:19], -v[20:21]
	s_mov_b32 s12, 0xfefa39ef
	v_add_f64 v[14:15], v[14:15], -v[20:21]
	v_cvt_f64_i32_e32 v[20:21], v11
	s_mov_b32 s13, 0x3fe62e42
	v_mul_f64 v[22:23], v[20:21], s[12:13]
	v_fma_f64 v[24:25], v[20:21], s[12:13], -v[22:23]
	s_mov_b32 s12, 0x3b39803f
	s_mov_b32 s13, 0x3c7abc9e
	v_fmac_f64_e32 v[24:25], s[12:13], v[20:21]
	v_add_f64 v[20:21], v[22:23], v[24:25]
	v_add_f64 v[22:23], v[20:21], -v[22:23]
	v_add_f64 v[22:23], v[24:25], -v[22:23]
	v_add_f64 v[24:25], v[20:21], v[18:19]
	v_add_f64 v[26:27], v[24:25], -v[20:21]
	v_add_f64 v[28:29], v[24:25], -v[26:27]
	;; [unrolled: 1-line block ×4, first 2 shown]
	v_add_f64 v[18:19], v[18:19], v[20:21]
	v_add_f64 v[20:21], v[22:23], v[14:15]
	v_add_f64 v[26:27], v[20:21], -v[22:23]
	v_add_f64 v[28:29], v[20:21], -v[26:27]
	v_add_f64 v[18:19], v[20:21], v[18:19]
	v_add_f64 v[22:23], v[22:23], -v[28:29]
	v_add_f64 v[14:15], v[14:15], -v[26:27]
	v_add_f64 v[20:21], v[24:25], v[18:19]
	v_add_f64 v[14:15], v[14:15], v[22:23]
	v_add_f64 v[22:23], v[20:21], -v[24:25]
	v_add_f64 v[18:19], v[18:19], -v[22:23]
	v_add_f64 v[14:15], v[14:15], v[18:19]
	s_mov_b32 s12, 0x6dc9c883
	v_add_f64 v[14:15], v[20:21], v[14:15]
	s_mov_b32 s13, 0x3fe45f30
	v_mul_f64 v[14:15], v[14:15], s[12:13]
	v_fmac_f64_e32 v[6:7], v[14:15], v[16:17]
.LBB7_61:
	s_or_b64 exec, exec, s[10:11]
.LBB7_62:
	s_or_b64 exec, exec, s[8:9]
                                        ; implicit-def: $vgpr14_vgpr15
.LBB7_63:
	s_andn2_saveexec_b64 s[8:9], s[2:3]
	s_cbranch_execz .LBB7_73
; %bb.64:
	s_mov_b32 s13, 0xbfe921fb
	s_mov_b32 s12, 0x54442d18
	;; [unrolled: 1-line block ×3, first 2 shown]
	v_add_f64 v[6:7], v[14:15], s[12:13]
	s_mov_b32 s3, 0x41d00000
	v_cmp_nlt_f64_e64 s[10:11], |v[6:7]|, s[2:3]
	v_trig_preop_f64 v[28:29], |v[6:7]|, 0
	v_trig_preop_f64 v[26:27], |v[6:7]|, 1
	;; [unrolled: 1-line block ×3, first 2 shown]
                                        ; implicit-def: $vgpr11
                                        ; implicit-def: $vgpr16_vgpr17
                                        ; implicit-def: $vgpr18_vgpr19
	s_and_saveexec_b64 s[2:3], s[10:11]
	s_xor_b64 s[14:15], exec, s[2:3]
	s_cbranch_execz .LBB7_66
; %bb.65:
	s_mov_b32 s2, 0
	s_mov_b32 s3, 0x7b000000
	s_movk_i32 s13, 0xff80
	v_and_b32_e32 v11, 0x7fffffff, v7
	v_ldexp_f64 v[16:17], |v[6:7]|, s13
	v_cmp_ge_f64_e64 vcc, |v[6:7]|, s[2:3]
	s_mov_b32 s2, 0
	s_mov_b32 s3, 0x7ff00000
	v_cndmask_b32_e32 v17, v11, v17, vcc
	v_cndmask_b32_e32 v16, v6, v16, vcc
	v_mul_f64 v[20:21], v[28:29], v[16:17]
	v_mul_f64 v[18:19], v[26:27], v[16:17]
	v_fma_f64 v[22:23], v[28:29], v[16:17], -v[20:21]
	v_add_f64 v[30:31], v[18:19], v[22:23]
	v_add_f64 v[32:33], v[20:21], v[30:31]
	v_ldexp_f64 v[34:35], v[32:33], -2
	v_fract_f64_e32 v[36:37], v[34:35]
	v_cmp_neq_f64_e64 vcc, |v[34:35]|, s[2:3]
	v_add_f64 v[20:21], v[32:33], -v[20:21]
	v_add_f64 v[20:21], v[30:31], -v[20:21]
	v_cndmask_b32_e32 v35, 0, v37, vcc
	v_cndmask_b32_e32 v34, 0, v36, vcc
	v_add_f64 v[36:37], v[30:31], -v[18:19]
	v_add_f64 v[22:23], v[22:23], -v[36:37]
	v_add_f64 v[36:37], v[30:31], -v[36:37]
	v_add_f64 v[36:37], v[18:19], -v[36:37]
	v_add_f64 v[22:23], v[22:23], v[36:37]
	v_fma_f64 v[18:19], v[26:27], v[16:17], -v[18:19]
	v_mul_f64 v[36:37], v[24:25], v[16:17]
	v_add_f64 v[40:41], v[36:37], v[18:19]
	v_add_f64 v[42:43], v[40:41], v[22:23]
	v_add_f64 v[32:33], v[42:43], -v[40:41]
	v_add_f64 v[22:23], v[22:23], -v[32:33]
	;; [unrolled: 1-line block ×4, first 2 shown]
	v_add_f64 v[22:23], v[22:23], v[32:33]
	v_add_f64 v[32:33], v[40:41], -v[36:37]
	v_add_f64 v[18:19], v[18:19], -v[32:33]
	;; [unrolled: 1-line block ×4, first 2 shown]
	v_add_f64 v[30:31], v[20:21], v[42:43]
	v_add_f64 v[18:19], v[18:19], v[32:33]
	v_add_f64 v[20:21], v[30:31], -v[20:21]
	v_add_f64 v[18:19], v[18:19], v[22:23]
	v_fma_f64 v[16:17], v[24:25], v[16:17], -v[36:37]
	v_add_f64 v[20:21], v[42:43], -v[20:21]
	v_add_f64 v[16:17], v[16:17], v[18:19]
	v_ldexp_f64 v[18:19], v[34:35], 2
	v_add_f64 v[16:17], v[20:21], v[16:17]
	v_add_f64 v[20:21], v[30:31], v[18:19]
	v_mov_b32_e32 v11, 0x40100000
	v_cmp_gt_f64_e32 vcc, 0, v[20:21]
	v_mov_b32_e32 v38, 0
	s_mov_b32 s13, 0x3ff921fb
	v_cndmask_b32_e32 v39, 0, v11, vcc
	v_add_f64 v[18:19], v[18:19], v[38:39]
	v_add_f64 v[20:21], v[30:31], v[18:19]
	v_cvt_i32_f64_e32 v11, v[20:21]
	v_cvt_f64_i32_e32 v[20:21], v11
	v_add_f64 v[18:19], v[18:19], -v[20:21]
	v_add_f64 v[20:21], v[30:31], v[18:19]
	v_add_f64 v[18:19], v[20:21], -v[18:19]
	v_add_f64 v[18:19], v[30:31], -v[18:19]
	v_add_f64 v[16:17], v[16:17], v[18:19]
	v_cmp_le_f64_e32 vcc, 0.5, v[20:21]
	v_mov_b32_e32 v18, 0x3ff00000
	s_nop 0
	v_cndmask_b32_e32 v39, 0, v18, vcc
	v_add_f64 v[18:19], v[20:21], -v[38:39]
	v_add_f64 v[20:21], v[18:19], v[16:17]
	v_addc_co_u32_e64 v11, s[2:3], 0, v11, vcc
	v_add_f64 v[18:19], v[20:21], -v[18:19]
	v_add_f64 v[16:17], v[16:17], -v[18:19]
	v_mul_f64 v[18:19], v[20:21], s[12:13]
	s_mov_b32 s2, 0x33145c07
	v_fma_f64 v[22:23], v[20:21], s[12:13], -v[18:19]
	s_mov_b32 s3, 0x3c91a626
	v_fmac_f64_e32 v[22:23], s[2:3], v[20:21]
	v_fmac_f64_e32 v[22:23], s[12:13], v[16:17]
	v_add_f64 v[16:17], v[18:19], v[22:23]
	v_add_f64 v[18:19], v[16:17], -v[18:19]
	v_add_f64 v[18:19], v[22:23], -v[18:19]
	s_andn2_saveexec_b64 s[2:3], s[14:15]
	s_cbranch_execz .LBB7_68
	s_branch .LBB7_67
.LBB7_66:
	s_andn2_saveexec_b64 s[2:3], s[14:15]
	s_cbranch_execz .LBB7_68
.LBB7_67:
	s_mov_b32 s12, 0x6dc9c883
	s_mov_b32 s13, 0x3fe45f30
	v_mul_f64 v[16:17], |v[6:7]|, s[12:13]
	s_mov_b32 s12, 0x54442d18
	v_rndne_f64_e32 v[20:21], v[16:17]
	s_mov_b32 s13, 0xbff921fb
	v_fma_f64 v[16:17], v[20:21], s[12:13], |v[6:7]|
	s_mov_b32 s13, 0xbc91a626
	s_mov_b32 s12, 0x33145c00
	v_mul_f64 v[22:23], v[20:21], s[12:13]
	v_add_f64 v[32:33], v[16:17], v[22:23]
	v_fma_f64 v[18:19], s[12:13], v[20:21], v[16:17]
	s_mov_b32 s13, 0x3c91a626
	v_add_f64 v[16:17], v[16:17], -v[32:33]
	v_fma_f64 v[30:31], s[12:13], v[20:21], v[22:23]
	v_add_f64 v[16:17], v[16:17], v[22:23]
	v_add_f64 v[22:23], v[32:33], -v[18:19]
	v_add_f64 v[16:17], v[22:23], v[16:17]
	s_mov_b32 s12, 0x252049c0
	v_add_f64 v[22:23], v[16:17], -v[30:31]
	s_mov_b32 s13, 0xb97b839a
	v_fmac_f64_e32 v[22:23], s[12:13], v[20:21]
	v_add_f64 v[16:17], v[18:19], v[22:23]
	v_add_f64 v[18:19], v[16:17], -v[18:19]
	v_add_f64 v[18:19], v[22:23], -v[18:19]
	v_cvt_i32_f64_e32 v11, v[20:21]
.LBB7_68:
	s_or_b64 exec, exec, s[2:3]
                                        ; implicit-def: $vgpr30
                                        ; implicit-def: $vgpr20_vgpr21
                                        ; implicit-def: $vgpr22_vgpr23
	s_and_saveexec_b64 s[2:3], s[10:11]
	s_xor_b64 s[10:11], exec, s[2:3]
	s_cbranch_execz .LBB7_70
; %bb.69:
	s_mov_b32 s2, 0
	s_mov_b32 s3, 0x7b000000
	s_movk_i32 s12, 0xff80
	v_and_b32_e32 v22, 0x7fffffff, v7
	v_ldexp_f64 v[20:21], |v[6:7]|, s12
	v_cmp_ge_f64_e64 vcc, |v[6:7]|, s[2:3]
	s_mov_b32 s2, 0
	s_mov_b32 s3, 0x7ff00000
	v_cndmask_b32_e32 v21, v22, v21, vcc
	v_cndmask_b32_e32 v20, v6, v20, vcc
	v_mul_f64 v[30:31], v[28:29], v[20:21]
	v_mul_f64 v[22:23], v[26:27], v[20:21]
	v_fma_f64 v[28:29], v[28:29], v[20:21], -v[30:31]
	v_add_f64 v[32:33], v[22:23], v[28:29]
	v_add_f64 v[34:35], v[30:31], v[32:33]
	v_ldexp_f64 v[36:37], v[34:35], -2
	v_fract_f64_e32 v[38:39], v[36:37]
	v_cmp_neq_f64_e64 vcc, |v[36:37]|, s[2:3]
	v_add_f64 v[30:31], v[34:35], -v[30:31]
	v_add_f64 v[30:31], v[32:33], -v[30:31]
	v_cndmask_b32_e32 v37, 0, v39, vcc
	v_cndmask_b32_e32 v36, 0, v38, vcc
	v_add_f64 v[38:39], v[32:33], -v[22:23]
	v_add_f64 v[28:29], v[28:29], -v[38:39]
	;; [unrolled: 1-line block ×4, first 2 shown]
	v_fma_f64 v[22:23], v[26:27], v[20:21], -v[22:23]
	v_mul_f64 v[26:27], v[24:25], v[20:21]
	v_add_f64 v[28:29], v[28:29], v[38:39]
	v_add_f64 v[38:39], v[26:27], v[22:23]
	;; [unrolled: 1-line block ×3, first 2 shown]
	v_add_f64 v[34:35], v[42:43], -v[38:39]
	v_add_f64 v[28:29], v[28:29], -v[34:35]
	;; [unrolled: 1-line block ×4, first 2 shown]
	v_add_f64 v[28:29], v[28:29], v[34:35]
	v_add_f64 v[34:35], v[38:39], -v[26:27]
	v_add_f64 v[22:23], v[22:23], -v[34:35]
	;; [unrolled: 1-line block ×4, first 2 shown]
	v_add_f64 v[22:23], v[22:23], v[34:35]
	v_add_f64 v[22:23], v[22:23], v[28:29]
	v_fma_f64 v[20:21], v[24:25], v[20:21], -v[26:27]
	v_add_f64 v[32:33], v[30:31], v[42:43]
	v_add_f64 v[20:21], v[20:21], v[22:23]
	v_ldexp_f64 v[22:23], v[36:37], 2
	v_add_f64 v[24:25], v[32:33], v[22:23]
	v_mov_b32_e32 v26, 0x40100000
	v_cmp_gt_f64_e32 vcc, 0, v[24:25]
	v_mov_b32_e32 v40, 0
	v_add_f64 v[30:31], v[32:33], -v[30:31]
	v_cndmask_b32_e32 v41, 0, v26, vcc
	v_add_f64 v[22:23], v[22:23], v[40:41]
	v_add_f64 v[24:25], v[32:33], v[22:23]
	v_cvt_i32_f64_e32 v26, v[24:25]
	v_cvt_f64_i32_e32 v[24:25], v26
	v_add_f64 v[22:23], v[22:23], -v[24:25]
	v_add_f64 v[24:25], v[32:33], v[22:23]
	v_add_f64 v[30:31], v[42:43], -v[30:31]
	v_add_f64 v[22:23], v[24:25], -v[22:23]
	v_add_f64 v[20:21], v[30:31], v[20:21]
	v_add_f64 v[22:23], v[32:33], -v[22:23]
	v_add_f64 v[20:21], v[20:21], v[22:23]
	v_cmp_le_f64_e32 vcc, 0.5, v[24:25]
	v_mov_b32_e32 v22, 0x3ff00000
	s_mov_b32 s12, 0x33145c07
	v_cndmask_b32_e32 v41, 0, v22, vcc
	v_addc_co_u32_e64 v30, s[2:3], 0, v26, vcc
	v_add_f64 v[22:23], v[24:25], -v[40:41]
	v_add_f64 v[24:25], v[22:23], v[20:21]
	s_mov_b32 s2, 0x54442d18
	v_add_f64 v[22:23], v[24:25], -v[22:23]
	s_mov_b32 s3, 0x3ff921fb
	v_add_f64 v[20:21], v[20:21], -v[22:23]
	v_mul_f64 v[22:23], v[24:25], s[2:3]
	v_fma_f64 v[26:27], v[24:25], s[2:3], -v[22:23]
	s_mov_b32 s13, 0x3c91a626
	v_fmac_f64_e32 v[26:27], s[12:13], v[24:25]
	v_fmac_f64_e32 v[26:27], s[2:3], v[20:21]
	v_add_f64 v[20:21], v[22:23], v[26:27]
	v_add_f64 v[22:23], v[20:21], -v[22:23]
	v_add_f64 v[22:23], v[26:27], -v[22:23]
	s_andn2_saveexec_b64 s[2:3], s[10:11]
	s_cbranch_execnz .LBB7_71
	s_branch .LBB7_72
.LBB7_70:
	s_andn2_saveexec_b64 s[2:3], s[10:11]
	s_cbranch_execz .LBB7_72
.LBB7_71:
	s_mov_b32 s10, 0x6dc9c883
	s_mov_b32 s11, 0x3fe45f30
	v_mul_f64 v[20:21], |v[6:7]|, s[10:11]
	s_mov_b32 s10, 0x54442d18
	v_rndne_f64_e32 v[24:25], v[20:21]
	s_mov_b32 s11, 0xbff921fb
	v_fma_f64 v[20:21], v[24:25], s[10:11], |v[6:7]|
	s_mov_b32 s11, 0xbc91a626
	s_mov_b32 s10, 0x33145c00
	v_mul_f64 v[26:27], v[24:25], s[10:11]
	v_add_f64 v[30:31], v[20:21], v[26:27]
	v_fma_f64 v[22:23], s[10:11], v[24:25], v[20:21]
	s_mov_b32 s11, 0x3c91a626
	v_add_f64 v[20:21], v[20:21], -v[30:31]
	v_fma_f64 v[28:29], s[10:11], v[24:25], v[26:27]
	v_add_f64 v[20:21], v[20:21], v[26:27]
	v_add_f64 v[26:27], v[30:31], -v[22:23]
	v_add_f64 v[20:21], v[26:27], v[20:21]
	s_mov_b32 s10, 0x252049c0
	v_add_f64 v[26:27], v[20:21], -v[28:29]
	s_mov_b32 s11, 0xb97b839a
	v_fmac_f64_e32 v[26:27], s[10:11], v[24:25]
	v_add_f64 v[20:21], v[22:23], v[26:27]
	v_add_f64 v[22:23], v[20:21], -v[22:23]
	v_add_f64 v[22:23], v[26:27], -v[22:23]
	v_cvt_i32_f64_e32 v30, v[24:25]
.LBB7_72:
	s_or_b64 exec, exec, s[2:3]
	s_mov_b32 s2, 0
	v_mul_f64 v[24:25], v[14:15], v[14:15]
	s_mov_b32 s3, 0x40390000
	v_div_scale_f64 v[26:27], s[10:11], v[24:25], v[24:25], s[2:3]
	v_rcp_f64_e32 v[28:29], v[26:27]
	v_mov_b32_e32 v36, 0xb1759c7f
	v_mov_b32_e32 v37, 0x408ac370
	;; [unrolled: 1-line block ×3, first 2 shown]
	v_fma_f64 v[32:33], -v[26:27], v[28:29], 1.0
	v_fmac_f64_e32 v[28:29], v[28:29], v[32:33]
	v_fma_f64 v[32:33], -v[26:27], v[28:29], 1.0
	v_fmac_f64_e32 v[28:29], v[28:29], v[32:33]
	v_div_scale_f64 v[32:33], vcc, s[2:3], v[24:25], s[2:3]
	v_mul_f64 v[34:35], v[32:33], v[28:29]
	v_fma_f64 v[26:27], -v[26:27], v[34:35], v[32:33]
	v_mov_b32_e32 v32, 0xab5454e3
	s_nop 0
	v_div_fmas_f64 v[26:27], v[26:27], v[28:29], v[34:35]
	v_div_fixup_f64 v[24:25], v[26:27], v[24:25], s[2:3]
	v_mov_b32_e32 v26, 0x983b6b27
	v_mov_b32_e32 v27, 0x3f4a1d30
	v_fmac_f64_e32 v[26:27], 0, v[24:25]
	v_mov_b32_e32 v28, 0xb35dd1cf
	v_mov_b32_e32 v29, 0x3fb534b0
	v_fmac_f64_e32 v[28:29], v[24:25], v[26:27]
	;; [unrolled: 3-line block ×7, first 2 shown]
	v_mov_b32_e32 v33, 0x3fb5ebc5
	v_fmac_f64_e32 v[32:33], v[24:25], v[26:27]
	v_mov_b32_e32 v26, 0xc9b3069f
	v_mov_b32_e32 v27, 0x3ff40e72
	v_fmac_f64_e32 v[26:27], v[24:25], v[32:33]
	v_mov_b32_e32 v32, 0xe68162bb
	;; [unrolled: 3-line block ×4, first 2 shown]
	v_mov_b32_e32 v33, 0x40153965
	v_fmac_f64_e32 v[32:33], v[24:25], v[26:27]
	v_fma_f64 v[26:27], v[24:25], v[32:33], 1.0
	v_mov_b32_e32 v32, 0x38a5384a
	v_mov_b32_e32 v33, 0xbf874742
	v_fmac_f64_e32 v[32:33], 0, v[24:25]
	v_mov_b32_e32 v34, 0x3a321174
	v_mov_b32_e32 v35, 0xbff4853b
	v_fmac_f64_e32 v[34:35], v[24:25], v[32:33]
	;; [unrolled: 3-line block ×9, first 2 shown]
	v_fmac_f64_e32 v[36:37], v[24:25], v[32:33]
	v_mov_b32_e32 v32, 0xbd748cb5
	v_mov_b32_e32 v33, 0x40ae54cd
	v_fmac_f64_e32 v[32:33], v[24:25], v[36:37]
	v_mov_b32_e32 v36, 0xbdefd63e
	v_mov_b32_e32 v37, 0x40bc4877
	v_fmac_f64_e32 v[36:37], v[24:25], v[32:33]
	v_mov_b32_e32 v32, 0x1d733b11
	v_mov_b32_e32 v33, 0x40b72aba
	v_fmac_f64_e32 v[32:33], v[24:25], v[36:37]
	v_mov_b32_e32 v36, 0xc7319e82
	v_mov_b32_e32 v37, 0x40a01c2f
	v_fma_f64 v[28:29], v[24:25], v[28:29], 1.0
	v_fmac_f64_e32 v[36:37], v[24:25], v[32:33]
	v_div_scale_f64 v[32:33], s[2:3], v[26:27], v[26:27], v[28:29]
	v_rcp_f64_e32 v[38:39], v[32:33]
	v_mov_b32_e32 v41, 0x406e402f
	v_fmac_f64_e32 v[40:41], v[24:25], v[36:37]
	s_mov_b32 s2, 0x9037ab78
	v_fma_f64 v[24:25], -v[32:33], v[38:39], 1.0
	v_fmac_f64_e32 v[38:39], v[38:39], v[24:25]
	v_fma_f64 v[24:25], -v[32:33], v[38:39], 1.0
	v_fmac_f64_e32 v[38:39], v[38:39], v[24:25]
	v_div_scale_f64 v[24:25], vcc, v[28:29], v[26:27], v[28:29]
	v_mul_f64 v[36:37], v[24:25], v[38:39]
	v_fma_f64 v[24:25], -v[32:33], v[36:37], v[24:25]
	s_mov_b32 s3, 0x3e21eeb6
	s_nop 0
	v_div_fmas_f64 v[24:25], v[24:25], v[38:39], v[36:37]
	s_mov_b32 s10, 0x46cc5e42
	v_div_fixup_f64 v[24:25], v[24:25], v[26:27], v[28:29]
	v_mul_f64 v[26:27], v[16:17], v[16:17]
	s_mov_b32 s11, 0xbda907db
	v_mov_b64_e32 v[38:39], s[2:3]
	s_mov_b32 s12, 0xa17f65f6
	v_mul_f64 v[28:29], v[26:27], 0.5
	v_fma_f64 v[42:43], s[10:11], v[26:27], v[38:39]
	s_mov_b32 s13, 0xbe927e4f
	s_mov_b32 s14, 0x19f4ec90
	v_add_f64 v[32:33], -v[28:29], 1.0
	v_fma_f64 v[42:43], v[26:27], v[42:43], s[12:13]
	s_mov_b32 s15, 0x3efa01a0
	s_mov_b32 s16, 0x16c16967
	v_add_f64 v[36:37], -v[32:33], 1.0
	v_fma_f64 v[42:43], v[26:27], v[42:43], s[14:15]
	s_mov_b32 s17, 0xbf56c16c
	s_mov_b32 s18, 0x55555555
	v_add_f64 v[28:29], v[36:37], -v[28:29]
	v_fma_f64 v[42:43], v[26:27], v[42:43], s[16:17]
	s_mov_b32 s19, 0x3fa55555
	v_mul_f64 v[36:37], v[26:27], v[26:27]
	v_fma_f64 v[42:43], v[26:27], v[42:43], s[18:19]
	v_fma_f64 v[28:29], v[16:17], -v[18:19], v[28:29]
	s_mov_b32 s2, 0xb42fdfa7
	v_fmac_f64_e32 v[28:29], v[36:37], v[42:43]
	s_mov_b32 s3, 0xbe5ae600
	s_mov_b32 s20, 0xf9a43bb8
	v_add_f64 v[28:29], v[32:33], v[28:29]
	s_mov_b32 s21, 0x3de5e0b2
	v_mov_b64_e32 v[32:33], s[2:3]
	s_mov_b32 s24, 0x796cde01
	v_fma_f64 v[36:37], s[20:21], v[26:27], v[32:33]
	s_mov_b32 s25, 0x3ec71de3
	s_mov_b32 s26, 0x19e83e5c
	v_fma_f64 v[36:37], v[26:27], v[36:37], s[24:25]
	s_mov_b32 s27, 0xbf2a01a0
	;; [unrolled: 3-line block ×3, first 2 shown]
	v_fma_f64 v[36:37], v[26:27], v[36:37], s[28:29]
	v_mul_f64 v[42:43], v[16:17], -v[26:27]
	v_mul_f64 v[44:45], v[18:19], 0.5
	v_fmac_f64_e32 v[44:45], v[42:43], v[36:37]
	v_fma_f64 v[18:19], v[26:27], v[44:45], -v[18:19]
	s_mov_b32 s31, 0xbfc55555
	s_mov_b32 s30, s18
	v_fmac_f64_e32 v[18:19], s[30:31], v[42:43]
	v_add_f64 v[16:17], v[16:17], -v[18:19]
	v_and_b32_e32 v18, 1, v11
	v_lshlrev_b32_e32 v11, 30, v11
	v_cmp_eq_u32_e32 vcc, 0, v18
	v_xor_b32_e32 v11, v11, v7
	s_mov_b32 s34, 0
	v_cndmask_b32_e32 v26, v28, v16, vcc
	v_cndmask_b32_e32 v16, v29, v17, vcc
	v_and_b32_e32 v11, 0x80000000, v11
	s_mov_b32 s35, 0x40140000
	v_xor_b32_e32 v11, v16, v11
	v_div_scale_f64 v[16:17], s[2:3], v[14:15], v[14:15], s[34:35]
	v_rcp_f64_e32 v[18:19], v[16:17]
	s_movk_i32 s33, 0x1f8
	v_cmp_class_f64_e64 s[2:3], v[6:7], s33
	v_mov_b32_e32 v31, 0x7ff80000
	s_nop 0
	v_cndmask_b32_e64 v6, 0, v26, s[2:3]
	v_fma_f64 v[26:27], -v[16:17], v[18:19], 1.0
	v_fmac_f64_e32 v[18:19], v[18:19], v[26:27]
	v_fma_f64 v[26:27], -v[16:17], v[18:19], 1.0
	v_fmac_f64_e32 v[18:19], v[18:19], v[26:27]
	v_div_scale_f64 v[26:27], vcc, s[34:35], v[14:15], s[34:35]
	v_mul_f64 v[28:29], v[26:27], v[18:19]
	v_fma_f64 v[16:17], -v[16:17], v[28:29], v[26:27]
	v_div_scale_f64 v[26:27], s[36:37], v[40:41], v[40:41], v[34:35]
	v_rcp_f64_e32 v[36:37], v[26:27]
	v_div_fmas_f64 v[16:17], v[16:17], v[18:19], v[28:29]
	v_div_fixup_f64 v[16:17], v[16:17], v[14:15], s[34:35]
	v_cndmask_b32_e64 v7, v31, v11, s[2:3]
	v_fma_f64 v[18:19], -v[26:27], v[36:37], 1.0
	v_fmac_f64_e32 v[36:37], v[36:37], v[18:19]
	v_fma_f64 v[18:19], -v[26:27], v[36:37], 1.0
	v_fmac_f64_e32 v[36:37], v[36:37], v[18:19]
	v_div_scale_f64 v[18:19], vcc, v[34:35], v[40:41], v[34:35]
	v_mul_f64 v[28:29], v[18:19], v[36:37]
	v_fma_f64 v[18:19], -v[26:27], v[28:29], v[18:19]
	s_nop 1
	v_div_fmas_f64 v[18:19], v[18:19], v[36:37], v[28:29]
	v_div_fixup_f64 v[18:19], v[18:19], v[40:41], v[34:35]
	v_mul_f64 v[16:17], v[16:17], v[18:19]
	v_mul_f64 v[18:19], v[20:21], v[20:21]
	v_mul_f64 v[26:27], v[18:19], 0.5
	v_fmac_f64_e32 v[38:39], s[10:11], v[18:19]
	v_add_f64 v[28:29], -v[26:27], 1.0
	v_fma_f64 v[36:37], v[18:19], v[38:39], s[12:13]
	v_add_f64 v[34:35], -v[28:29], 1.0
	v_fma_f64 v[36:37], v[18:19], v[36:37], s[14:15]
	v_add_f64 v[26:27], v[34:35], -v[26:27]
	v_fma_f64 v[36:37], v[18:19], v[36:37], s[16:17]
	v_mul_f64 v[34:35], v[18:19], v[18:19]
	v_fma_f64 v[36:37], v[18:19], v[36:37], s[18:19]
	v_fma_f64 v[26:27], v[20:21], -v[22:23], v[26:27]
	v_fmac_f64_e32 v[26:27], v[34:35], v[36:37]
	v_fmac_f64_e32 v[32:33], s[20:21], v[18:19]
	v_add_f64 v[26:27], v[28:29], v[26:27]
	v_fma_f64 v[28:29], v[18:19], v[32:33], s[24:25]
	v_fma_f64 v[28:29], v[18:19], v[28:29], s[26:27]
	;; [unrolled: 1-line block ×3, first 2 shown]
	v_mul_f64 v[32:33], v[20:21], -v[18:19]
	v_mul_f64 v[34:35], v[22:23], 0.5
	v_fmac_f64_e32 v[34:35], v[32:33], v[28:29]
	v_fma_f64 v[18:19], v[18:19], v[34:35], -v[22:23]
	v_fmac_f64_e32 v[18:19], s[30:31], v[32:33]
	v_add_f64 v[18:19], v[20:21], -v[18:19]
	v_xor_b32_e32 v11, 0x80000000, v19
	v_and_b32_e32 v19, 1, v30
	v_cmp_eq_u32_e32 vcc, 0, v19
	v_lshlrev_b32_e32 v19, 30, v30
	v_and_b32_e32 v19, 0x80000000, v19
	v_cndmask_b32_e32 v11, v11, v27, vcc
	v_cndmask_b32_e32 v18, v18, v26, vcc
	v_xor_b32_e32 v11, v11, v19
	v_cndmask_b32_e64 v18, 0, v18, s[2:3]
	v_cndmask_b32_e64 v19, v31, v11, s[2:3]
	s_mov_b32 s2, 0
	s_brev_b32 s3, 8
	v_mul_f64 v[16:17], v[16:17], v[18:19]
	v_cmp_gt_f64_e32 vcc, s[2:3], v[14:15]
	v_fmac_f64_e32 v[16:17], v[24:25], v[6:7]
	v_mov_b32_e32 v11, 0xffffff80
	v_cndmask_b32_e64 v6, 0, 1, vcc
	v_lshlrev_b32_e32 v6, 8, v6
	v_ldexp_f64 v[6:7], v[14:15], v6
	v_rsq_f64_e32 v[14:15], v[6:7]
	v_cndmask_b32_e32 v11, 0, v11, vcc
	s_mov_b32 s2, 0x33d43651
	s_mov_b32 s3, 0x3fe98845
	v_mul_f64 v[18:19], v[6:7], v[14:15]
	v_mul_f64 v[14:15], v[14:15], 0.5
	v_fma_f64 v[20:21], -v[14:15], v[18:19], 0.5
	v_fmac_f64_e32 v[18:19], v[18:19], v[20:21]
	v_fma_f64 v[22:23], -v[18:19], v[18:19], v[6:7]
	v_fmac_f64_e32 v[14:15], v[14:15], v[20:21]
	v_fmac_f64_e32 v[18:19], v[22:23], v[14:15]
	v_fma_f64 v[20:21], -v[18:19], v[18:19], v[6:7]
	v_fmac_f64_e32 v[18:19], v[20:21], v[14:15]
	v_ldexp_f64 v[14:15], v[18:19], v11
	v_mov_b32_e32 v11, 0x260
	v_cmp_class_f64_e32 vcc, v[6:7], v11
	v_mul_f64 v[16:17], v[16:17], s[2:3]
	s_nop 0
	v_cndmask_b32_e32 v7, v15, v7, vcc
	v_cndmask_b32_e32 v6, v14, v6, vcc
	v_div_scale_f64 v[14:15], s[2:3], v[6:7], v[6:7], v[16:17]
	v_rcp_f64_e32 v[18:19], v[14:15]
	s_nop 0
	v_fma_f64 v[20:21], -v[14:15], v[18:19], 1.0
	v_fmac_f64_e32 v[18:19], v[18:19], v[20:21]
	v_fma_f64 v[20:21], -v[14:15], v[18:19], 1.0
	v_fmac_f64_e32 v[18:19], v[18:19], v[20:21]
	v_div_scale_f64 v[20:21], vcc, v[16:17], v[6:7], v[16:17]
	v_mul_f64 v[22:23], v[20:21], v[18:19]
	v_fma_f64 v[14:15], -v[14:15], v[22:23], v[20:21]
	s_nop 1
	v_div_fmas_f64 v[14:15], v[14:15], v[18:19], v[22:23]
	v_div_fixup_f64 v[6:7], v[14:15], v[6:7], v[16:17]
.LBB7_73:
	s_or_b64 exec, exec, s[8:9]
.LBB7_74:
	s_or_b64 exec, exec, s[6:7]
	v_or_b32_e32 v11, 0x300, v0
	v_cmp_gt_i32_e32 vcc, s23, v11
	s_and_saveexec_b64 s[6:7], vcc
	s_cbranch_execz .LBB7_88
; %bb.75:
	s_mov_b32 s2, 0
	s_mov_b32 s3, 0x40140000
	s_waitcnt vmcnt(0)
	v_cmp_ge_f64_e32 vcc, s[2:3], v[12:13]
	s_and_saveexec_b64 s[2:3], vcc
	s_xor_b64 s[2:3], exec, s[2:3]
	s_cbranch_execz .LBB7_85
; %bb.76:
	v_mov_b32_e32 v8, 0
	v_cmp_neq_f64_e32 vcc, 0, v[12:13]
	v_mov_b32_e32 v9, 0xfff00000
	s_and_saveexec_b64 s[8:9], vcc
	s_cbranch_execz .LBB7_84
; %bb.77:
	v_mov_b32_e32 v8, 0
	v_cmp_ngt_f64_e32 vcc, 0, v[12:13]
	v_mov_b32_e32 v9, 0x7ff80000
	s_and_saveexec_b64 s[10:11], vcc
	s_cbranch_execz .LBB7_83
; %bb.78:
	s_mov_b32 s12, 0x88e368f1
	v_mul_f64 v[8:9], v[12:13], v[12:13]
	s_mov_b32 s13, 0x3ee4f8b5
	v_mul_f64 v[16:17], v[8:9], 0
	v_cmp_ngt_f64_e32 vcc, s[12:13], v[12:13]
                                        ; implicit-def: $vgpr14_vgpr15
	s_and_saveexec_b64 s[12:13], vcc
	s_xor_b64 s[12:13], exec, s[12:13]
	s_cbranch_execz .LBB7_80
; %bb.79:
	s_mov_b32 s14, 0xad1c8325
	s_mov_b32 s15, 0xc1f1dc53
	v_add_f64 v[14:15], v[16:17], s[14:15]
	v_mov_b32_e32 v18, 0xc772990d
	v_mov_b32_e32 v19, 0x427c7751
	s_mov_b32 s14, 0xa696b78c
	v_fmac_f64_e32 v[18:19], v[8:9], v[14:15]
	v_mov_b32_e32 v14, 0xe0d900f7
	v_mov_b32_e32 v15, 0xc2ec5614
	s_mov_b32 s15, 0x407f3902
	v_fmac_f64_e32 v[14:15], v[8:9], v[18:19]
	v_add_f64 v[18:19], v[16:17], s[14:15]
	v_mov_b32_e32 v20, 0x36a21a67
	v_mov_b32_e32 v21, 0x410536cb
	v_fmac_f64_e32 v[20:21], v[8:9], v[18:19]
	v_mov_b32_e32 v18, 0x2eac0634
	v_mov_b32_e32 v19, 0x41871934
	v_fmac_f64_e32 v[18:19], v[8:9], v[20:21]
	;; [unrolled: 3-line block ×6, first 2 shown]
	v_mov_b32_e32 v20, 0xc7b662cc
	v_mov_b32_e32 v21, 0x43b7be34
	s_mov_b32 s14, 0x80462bbb
	v_fmac_f64_e32 v[20:21], v[8:9], v[18:19]
	v_mov_b32_e32 v18, 0x69ff5fb4
	v_mov_b32_e32 v19, 0x43413ef8
	s_mov_b32 s15, 0xc01721fb
	v_fmac_f64_e32 v[18:19], v[8:9], v[14:15]
	v_add_f64 v[14:15], v[8:9], s[14:15]
	s_mov_b32 s14, 0xa621dd6f
	s_mov_b32 s15, 0xc03e78a4
	v_add_f64 v[22:23], v[8:9], s[14:15]
	v_mul_f64 v[14:15], v[14:15], v[22:23]
	v_mul_f64 v[14:15], v[14:15], v[18:19]
	v_div_scale_f64 v[18:19], s[14:15], v[20:21], v[20:21], v[14:15]
	v_rcp_f64_e32 v[22:23], v[18:19]
	s_nop 0
	v_fma_f64 v[24:25], -v[18:19], v[22:23], 1.0
	v_fmac_f64_e32 v[22:23], v[22:23], v[24:25]
	v_fma_f64 v[24:25], -v[18:19], v[22:23], 1.0
	v_fmac_f64_e32 v[22:23], v[22:23], v[24:25]
	v_div_scale_f64 v[24:25], vcc, v[14:15], v[20:21], v[14:15]
	v_mul_f64 v[26:27], v[24:25], v[22:23]
	v_fma_f64 v[18:19], -v[18:19], v[26:27], v[24:25]
	s_nop 1
	v_div_fmas_f64 v[18:19], v[18:19], v[22:23], v[26:27]
	v_div_fixup_f64 v[14:15], v[18:19], v[20:21], v[14:15]
.LBB7_80:
	s_andn2_saveexec_b64 s[12:13], s[12:13]
; %bb.81:
	s_mov_b32 s14, 0
	s_mov_b32 s15, 0xbfd00000
	v_fma_f64 v[14:15], v[8:9], s[14:15], 1.0
; %bb.82:
	s_or_b64 exec, exec, s[12:13]
	s_mov_b32 s12, 0xe896898f
	s_mov_b32 s13, 0x40ce7437
	v_add_f64 v[18:19], v[16:17], s[12:13]
	v_mov_b32_e32 v20, 0x32e48896
	v_mov_b32_e32 v21, 0xc16bf81f
	v_fmac_f64_e32 v[20:21], v[8:9], v[18:19]
	v_mov_b32_e32 v18, 0xf0284cdd
	v_mov_b32_e32 v19, 0x41f43f78
	v_fmac_f64_e32 v[18:19], v[8:9], v[20:21]
	;; [unrolled: 3-line block ×4, first 2 shown]
	v_mov_b32_e32 v20, 0xd1d8cc02
	v_mov_b32_e32 v21, 0xc328a121
	s_mov_b32 s12, 0x576dfcb6
	v_fmac_f64_e32 v[20:21], v[8:9], v[18:19]
	v_mov_b32_e32 v18, 0x660b4003
	v_mov_b32_e32 v19, 0x4363a94b
	s_mov_b32 s13, 0x40904522
	v_fmac_f64_e32 v[18:19], v[8:9], v[20:21]
	v_add_f64 v[16:17], v[16:17], s[12:13]
	v_mov_b32_e32 v20, 0xa907bc0c
	v_mov_b32_e32 v21, 0x41231b76
	v_fmac_f64_e32 v[20:21], v[8:9], v[16:17]
	v_mov_b32_e32 v16, 0x5164d101
	v_mov_b32_e32 v17, 0x41b00763
	v_fmac_f64_e32 v[16:17], v[8:9], v[20:21]
	;; [unrolled: 3-line block ×7, first 2 shown]
	v_div_scale_f64 v[8:9], s[12:13], v[16:17], v[16:17], v[20:21]
	v_rcp_f64_e32 v[18:19], v[8:9]
	s_mov_b32 s12, 0x55555555
	v_frexp_exp_i32_f64_e32 v11, v[12:13]
	v_frexp_mant_f64_e32 v[12:13], v[12:13]
	v_fma_f64 v[22:23], -v[8:9], v[18:19], 1.0
	v_fmac_f64_e32 v[18:19], v[18:19], v[22:23]
	v_fma_f64 v[22:23], -v[8:9], v[18:19], 1.0
	v_fmac_f64_e32 v[18:19], v[18:19], v[22:23]
	v_div_scale_f64 v[22:23], vcc, v[20:21], v[16:17], v[20:21]
	v_mul_f64 v[24:25], v[22:23], v[18:19]
	v_fma_f64 v[8:9], -v[8:9], v[24:25], v[22:23]
	s_mov_b32 s13, 0x3fe55555
	s_nop 0
	v_div_fmas_f64 v[8:9], v[8:9], v[18:19], v[24:25]
	v_div_fixup_f64 v[8:9], v[8:9], v[16:17], v[20:21]
	v_mov_b32_e32 v16, 0x3ff00000
	v_cmp_gt_f64_e32 vcc, s[12:13], v[12:13]
	s_mov_b32 s12, 0xbf559e2b
	s_mov_b32 s13, 0x3fc3ab76
	v_cndmask_b32_e64 v17, v16, 2.0, vcc
	v_mov_b32_e32 v16, 0
	v_mul_f64 v[12:13], v[12:13], v[16:17]
	v_add_f64 v[16:17], v[12:13], 1.0
	v_rcp_f64_e32 v[18:19], v[16:17]
	v_add_f64 v[22:23], v[16:17], -1.0
	v_add_f64 v[20:21], v[12:13], -1.0
	v_add_f64 v[12:13], v[12:13], -v[22:23]
	v_fma_f64 v[22:23], -v[16:17], v[18:19], 1.0
	v_fmac_f64_e32 v[18:19], v[22:23], v[18:19]
	v_fma_f64 v[22:23], -v[16:17], v[18:19], 1.0
	v_fmac_f64_e32 v[18:19], v[22:23], v[18:19]
	v_mul_f64 v[22:23], v[20:21], v[18:19]
	v_mul_f64 v[24:25], v[16:17], v[22:23]
	v_fma_f64 v[16:17], v[22:23], v[16:17], -v[24:25]
	v_fmac_f64_e32 v[16:17], v[22:23], v[12:13]
	v_add_f64 v[12:13], v[24:25], v[16:17]
	v_add_f64 v[26:27], v[20:21], -v[12:13]
	v_add_f64 v[24:25], v[12:13], -v[24:25]
	;; [unrolled: 1-line block ×5, first 2 shown]
	v_add_f64 v[12:13], v[16:17], v[12:13]
	v_add_f64 v[12:13], v[26:27], v[12:13]
	v_mul_f64 v[12:13], v[18:19], v[12:13]
	v_add_f64 v[16:17], v[22:23], v[12:13]
	v_add_f64 v[18:19], v[16:17], -v[22:23]
	v_add_f64 v[12:13], v[12:13], -v[18:19]
	v_mul_f64 v[18:19], v[16:17], v[16:17]
	v_mov_b32_e32 v20, 0x6b47b09a
	v_mov_b32_e32 v21, 0x3fc38538
	v_fmac_f64_e32 v[20:21], s[12:13], v[18:19]
	v_mov_b32_e32 v22, 0xd7f4df2e
	v_mov_b32_e32 v23, 0x3fc7474d
	v_fmac_f64_e32 v[22:23], v[18:19], v[20:21]
	;; [unrolled: 3-line block ×6, first 2 shown]
	v_ldexp_f64 v[20:21], v[16:17], 1
	v_mul_f64 v[16:17], v[16:17], v[18:19]
	v_mul_f64 v[16:17], v[16:17], v[22:23]
	v_add_f64 v[18:19], v[20:21], v[16:17]
	v_add_f64 v[20:21], v[18:19], -v[20:21]
	v_ldexp_f64 v[12:13], v[12:13], 1
	v_add_f64 v[16:17], v[16:17], -v[20:21]
	v_add_f64 v[12:13], v[12:13], v[16:17]
	v_add_f64 v[16:17], v[18:19], v[12:13]
	v_subbrev_co_u32_e32 v11, vcc, 0, v11, vcc
	v_add_f64 v[18:19], v[16:17], -v[18:19]
	s_mov_b32 s12, 0xfefa39ef
	v_add_f64 v[12:13], v[12:13], -v[18:19]
	v_cvt_f64_i32_e32 v[18:19], v11
	s_mov_b32 s13, 0x3fe62e42
	v_mul_f64 v[20:21], v[18:19], s[12:13]
	v_fma_f64 v[22:23], v[18:19], s[12:13], -v[20:21]
	s_mov_b32 s12, 0x3b39803f
	s_mov_b32 s13, 0x3c7abc9e
	v_fmac_f64_e32 v[22:23], s[12:13], v[18:19]
	v_add_f64 v[18:19], v[20:21], v[22:23]
	v_add_f64 v[20:21], v[18:19], -v[20:21]
	v_add_f64 v[20:21], v[22:23], -v[20:21]
	v_add_f64 v[22:23], v[18:19], v[16:17]
	v_add_f64 v[24:25], v[22:23], -v[18:19]
	v_add_f64 v[26:27], v[22:23], -v[24:25]
	;; [unrolled: 1-line block ×4, first 2 shown]
	v_add_f64 v[16:17], v[16:17], v[18:19]
	v_add_f64 v[18:19], v[20:21], v[12:13]
	v_add_f64 v[24:25], v[18:19], -v[20:21]
	v_add_f64 v[26:27], v[18:19], -v[24:25]
	v_add_f64 v[16:17], v[18:19], v[16:17]
	v_add_f64 v[20:21], v[20:21], -v[26:27]
	v_add_f64 v[12:13], v[12:13], -v[24:25]
	v_add_f64 v[18:19], v[22:23], v[16:17]
	v_add_f64 v[12:13], v[12:13], v[20:21]
	v_add_f64 v[20:21], v[18:19], -v[22:23]
	v_add_f64 v[16:17], v[16:17], -v[20:21]
	v_add_f64 v[12:13], v[12:13], v[16:17]
	s_mov_b32 s12, 0x6dc9c883
	v_add_f64 v[12:13], v[18:19], v[12:13]
	s_mov_b32 s13, 0x3fe45f30
	v_mul_f64 v[12:13], v[12:13], s[12:13]
	v_fmac_f64_e32 v[8:9], v[12:13], v[14:15]
.LBB7_83:
	s_or_b64 exec, exec, s[10:11]
.LBB7_84:
	s_or_b64 exec, exec, s[8:9]
                                        ; implicit-def: $vgpr12_vgpr13
.LBB7_85:
	s_andn2_saveexec_b64 s[8:9], s[2:3]
	s_cbranch_execz .LBB7_100
; %bb.86:
	s_mov_b32 s13, 0xbfe921fb
	s_mov_b32 s12, 0x54442d18
	;; [unrolled: 1-line block ×3, first 2 shown]
	v_add_f64 v[8:9], v[12:13], s[12:13]
	s_mov_b32 s3, 0x41d00000
	v_cmp_nlt_f64_e64 s[10:11], |v[8:9]|, s[2:3]
	v_trig_preop_f64 v[26:27], |v[8:9]|, 0
	v_trig_preop_f64 v[24:25], |v[8:9]|, 1
	;; [unrolled: 1-line block ×3, first 2 shown]
                                        ; implicit-def: $vgpr11
                                        ; implicit-def: $vgpr14_vgpr15
                                        ; implicit-def: $vgpr16_vgpr17
	s_and_saveexec_b64 s[2:3], s[10:11]
	s_xor_b64 s[14:15], exec, s[2:3]
	s_cbranch_execz .LBB7_93
; %bb.87:
	s_mov_b32 s2, 0
	s_mov_b32 s3, 0x7b000000
	s_movk_i32 s13, 0xff80
	v_and_b32_e32 v11, 0x7fffffff, v9
	v_ldexp_f64 v[14:15], |v[8:9]|, s13
	v_cmp_ge_f64_e64 vcc, |v[8:9]|, s[2:3]
	s_mov_b32 s2, 0
	s_mov_b32 s3, 0x7ff00000
	v_cndmask_b32_e32 v15, v11, v15, vcc
	v_cndmask_b32_e32 v14, v8, v14, vcc
	v_mul_f64 v[18:19], v[26:27], v[14:15]
	v_mul_f64 v[16:17], v[24:25], v[14:15]
	v_fma_f64 v[20:21], v[26:27], v[14:15], -v[18:19]
	v_add_f64 v[28:29], v[16:17], v[20:21]
	v_add_f64 v[30:31], v[18:19], v[28:29]
	v_ldexp_f64 v[32:33], v[30:31], -2
	v_fract_f64_e32 v[34:35], v[32:33]
	v_cmp_neq_f64_e64 vcc, |v[32:33]|, s[2:3]
	v_add_f64 v[18:19], v[30:31], -v[18:19]
	v_add_f64 v[18:19], v[28:29], -v[18:19]
	v_cndmask_b32_e32 v33, 0, v35, vcc
	v_cndmask_b32_e32 v32, 0, v34, vcc
	v_add_f64 v[34:35], v[28:29], -v[16:17]
	v_add_f64 v[20:21], v[20:21], -v[34:35]
	;; [unrolled: 1-line block ×4, first 2 shown]
	v_add_f64 v[20:21], v[20:21], v[34:35]
	v_fma_f64 v[16:17], v[24:25], v[14:15], -v[16:17]
	v_mul_f64 v[34:35], v[22:23], v[14:15]
	v_add_f64 v[38:39], v[34:35], v[16:17]
	v_add_f64 v[40:41], v[38:39], v[20:21]
	v_add_f64 v[30:31], v[40:41], -v[38:39]
	v_add_f64 v[20:21], v[20:21], -v[30:31]
	;; [unrolled: 1-line block ×4, first 2 shown]
	v_add_f64 v[20:21], v[20:21], v[30:31]
	v_add_f64 v[30:31], v[38:39], -v[34:35]
	v_add_f64 v[16:17], v[16:17], -v[30:31]
	;; [unrolled: 1-line block ×4, first 2 shown]
	v_add_f64 v[28:29], v[18:19], v[40:41]
	v_add_f64 v[16:17], v[16:17], v[30:31]
	v_add_f64 v[18:19], v[28:29], -v[18:19]
	v_add_f64 v[16:17], v[16:17], v[20:21]
	v_fma_f64 v[14:15], v[22:23], v[14:15], -v[34:35]
	v_add_f64 v[18:19], v[40:41], -v[18:19]
	v_add_f64 v[14:15], v[14:15], v[16:17]
	v_ldexp_f64 v[16:17], v[32:33], 2
	v_add_f64 v[14:15], v[18:19], v[14:15]
	v_add_f64 v[18:19], v[28:29], v[16:17]
	v_mov_b32_e32 v11, 0x40100000
	v_cmp_gt_f64_e32 vcc, 0, v[18:19]
	v_mov_b32_e32 v36, 0
	s_mov_b32 s13, 0x3ff921fb
	v_cndmask_b32_e32 v37, 0, v11, vcc
	v_add_f64 v[16:17], v[16:17], v[36:37]
	v_add_f64 v[18:19], v[28:29], v[16:17]
	v_cvt_i32_f64_e32 v11, v[18:19]
	v_cvt_f64_i32_e32 v[18:19], v11
	v_add_f64 v[16:17], v[16:17], -v[18:19]
	v_add_f64 v[18:19], v[28:29], v[16:17]
	v_add_f64 v[16:17], v[18:19], -v[16:17]
	v_add_f64 v[16:17], v[28:29], -v[16:17]
	v_add_f64 v[14:15], v[14:15], v[16:17]
	v_cmp_le_f64_e32 vcc, 0.5, v[18:19]
	v_mov_b32_e32 v16, 0x3ff00000
	s_nop 0
	v_cndmask_b32_e32 v37, 0, v16, vcc
	v_add_f64 v[16:17], v[18:19], -v[36:37]
	v_add_f64 v[18:19], v[16:17], v[14:15]
	v_addc_co_u32_e64 v11, s[2:3], 0, v11, vcc
	v_add_f64 v[16:17], v[18:19], -v[16:17]
	v_add_f64 v[14:15], v[14:15], -v[16:17]
	v_mul_f64 v[16:17], v[18:19], s[12:13]
	s_mov_b32 s2, 0x33145c07
	v_fma_f64 v[20:21], v[18:19], s[12:13], -v[16:17]
	s_mov_b32 s3, 0x3c91a626
	v_fmac_f64_e32 v[20:21], s[2:3], v[18:19]
	v_fmac_f64_e32 v[20:21], s[12:13], v[14:15]
	v_add_f64 v[14:15], v[16:17], v[20:21]
	v_add_f64 v[16:17], v[14:15], -v[16:17]
	v_add_f64 v[16:17], v[20:21], -v[16:17]
	s_andn2_saveexec_b64 s[2:3], s[14:15]
	s_cbranch_execz .LBB7_95
	s_branch .LBB7_94
.LBB7_88:
	s_or_b64 exec, exec, s[6:7]
	s_and_saveexec_b64 s[2:3], s[0:1]
	s_xor_b64 s[0:1], exec, s[2:3]
	s_cbranch_execz .LBB7_101
.LBB7_89:
	v_mov_b32_e32 v11, 0
	v_lshl_add_u64 v[10:11], v[10:11], 3, s[4:5]
	v_mov_b32_e32 v0, v1
	global_store_dwordx2 v[10:11], v[2:3], off
	s_or_b64 exec, exec, s[0:1]
	v_cmp_gt_i32_e32 vcc, s23, v0
	s_and_saveexec_b64 s[0:1], vcc
	s_cbranch_execnz .LBB7_102
.LBB7_90:
	s_or_b64 exec, exec, s[0:1]
	v_cmp_gt_i32_e32 vcc, s23, v0
	s_and_saveexec_b64 s[0:1], vcc
	s_cbranch_execz .LBB7_103
.LBB7_91:
	v_add_u32_e32 v2, 0x100, v0
	v_add_u32_e32 v0, s22, v0
	v_mov_b32_e32 v1, 0
	v_lshl_add_u64 v[0:1], v[0:1], 3, s[4:5]
	global_store_dwordx2 v[0:1], v[6:7], off
	v_mov_b32_e32 v0, v2
	s_or_b64 exec, exec, s[0:1]
	v_cmp_gt_i32_e32 vcc, s23, v0
	s_and_saveexec_b64 s[0:1], vcc
	s_cbranch_execnz .LBB7_104
.LBB7_92:
	s_endpgm
.LBB7_93:
	s_andn2_saveexec_b64 s[2:3], s[14:15]
	s_cbranch_execz .LBB7_95
.LBB7_94:
	s_mov_b32 s12, 0x6dc9c883
	s_mov_b32 s13, 0x3fe45f30
	v_mul_f64 v[14:15], |v[8:9]|, s[12:13]
	s_mov_b32 s12, 0x54442d18
	v_rndne_f64_e32 v[18:19], v[14:15]
	s_mov_b32 s13, 0xbff921fb
	v_fma_f64 v[14:15], v[18:19], s[12:13], |v[8:9]|
	s_mov_b32 s13, 0xbc91a626
	s_mov_b32 s12, 0x33145c00
	v_mul_f64 v[20:21], v[18:19], s[12:13]
	v_add_f64 v[30:31], v[14:15], v[20:21]
	v_fma_f64 v[16:17], s[12:13], v[18:19], v[14:15]
	s_mov_b32 s13, 0x3c91a626
	v_add_f64 v[14:15], v[14:15], -v[30:31]
	v_fma_f64 v[28:29], s[12:13], v[18:19], v[20:21]
	v_add_f64 v[14:15], v[14:15], v[20:21]
	v_add_f64 v[20:21], v[30:31], -v[16:17]
	v_add_f64 v[14:15], v[20:21], v[14:15]
	s_mov_b32 s12, 0x252049c0
	v_add_f64 v[20:21], v[14:15], -v[28:29]
	s_mov_b32 s13, 0xb97b839a
	v_fmac_f64_e32 v[20:21], s[12:13], v[18:19]
	v_add_f64 v[14:15], v[16:17], v[20:21]
	v_add_f64 v[16:17], v[14:15], -v[16:17]
	v_add_f64 v[16:17], v[20:21], -v[16:17]
	v_cvt_i32_f64_e32 v11, v[18:19]
.LBB7_95:
	s_or_b64 exec, exec, s[2:3]
                                        ; implicit-def: $vgpr28
                                        ; implicit-def: $vgpr18_vgpr19
                                        ; implicit-def: $vgpr20_vgpr21
	s_and_saveexec_b64 s[2:3], s[10:11]
	s_xor_b64 s[10:11], exec, s[2:3]
	s_cbranch_execz .LBB7_97
; %bb.96:
	s_mov_b32 s2, 0
	s_mov_b32 s3, 0x7b000000
	s_movk_i32 s12, 0xff80
	v_and_b32_e32 v20, 0x7fffffff, v9
	v_ldexp_f64 v[18:19], |v[8:9]|, s12
	v_cmp_ge_f64_e64 vcc, |v[8:9]|, s[2:3]
	s_mov_b32 s2, 0
	s_mov_b32 s3, 0x7ff00000
	v_cndmask_b32_e32 v19, v20, v19, vcc
	v_cndmask_b32_e32 v18, v8, v18, vcc
	v_mul_f64 v[28:29], v[26:27], v[18:19]
	v_mul_f64 v[20:21], v[24:25], v[18:19]
	v_fma_f64 v[26:27], v[26:27], v[18:19], -v[28:29]
	v_add_f64 v[30:31], v[20:21], v[26:27]
	v_add_f64 v[32:33], v[28:29], v[30:31]
	v_ldexp_f64 v[34:35], v[32:33], -2
	v_fract_f64_e32 v[36:37], v[34:35]
	v_cmp_neq_f64_e64 vcc, |v[34:35]|, s[2:3]
	v_add_f64 v[28:29], v[32:33], -v[28:29]
	v_add_f64 v[28:29], v[30:31], -v[28:29]
	v_cndmask_b32_e32 v35, 0, v37, vcc
	v_cndmask_b32_e32 v34, 0, v36, vcc
	v_add_f64 v[36:37], v[30:31], -v[20:21]
	v_add_f64 v[26:27], v[26:27], -v[36:37]
	;; [unrolled: 1-line block ×4, first 2 shown]
	v_fma_f64 v[20:21], v[24:25], v[18:19], -v[20:21]
	v_mul_f64 v[24:25], v[22:23], v[18:19]
	v_add_f64 v[26:27], v[26:27], v[36:37]
	v_add_f64 v[36:37], v[24:25], v[20:21]
	;; [unrolled: 1-line block ×3, first 2 shown]
	v_add_f64 v[32:33], v[40:41], -v[36:37]
	v_add_f64 v[26:27], v[26:27], -v[32:33]
	;; [unrolled: 1-line block ×4, first 2 shown]
	v_add_f64 v[26:27], v[26:27], v[32:33]
	v_add_f64 v[32:33], v[36:37], -v[24:25]
	v_add_f64 v[20:21], v[20:21], -v[32:33]
	;; [unrolled: 1-line block ×4, first 2 shown]
	v_add_f64 v[20:21], v[20:21], v[32:33]
	v_add_f64 v[20:21], v[20:21], v[26:27]
	v_fma_f64 v[18:19], v[22:23], v[18:19], -v[24:25]
	v_add_f64 v[30:31], v[28:29], v[40:41]
	v_add_f64 v[18:19], v[18:19], v[20:21]
	v_ldexp_f64 v[20:21], v[34:35], 2
	v_add_f64 v[22:23], v[30:31], v[20:21]
	v_mov_b32_e32 v24, 0x40100000
	v_cmp_gt_f64_e32 vcc, 0, v[22:23]
	v_mov_b32_e32 v38, 0
	v_add_f64 v[28:29], v[30:31], -v[28:29]
	v_cndmask_b32_e32 v39, 0, v24, vcc
	v_add_f64 v[20:21], v[20:21], v[38:39]
	v_add_f64 v[22:23], v[30:31], v[20:21]
	v_cvt_i32_f64_e32 v24, v[22:23]
	v_cvt_f64_i32_e32 v[22:23], v24
	v_add_f64 v[20:21], v[20:21], -v[22:23]
	v_add_f64 v[22:23], v[30:31], v[20:21]
	v_add_f64 v[28:29], v[40:41], -v[28:29]
	v_add_f64 v[20:21], v[22:23], -v[20:21]
	v_add_f64 v[18:19], v[28:29], v[18:19]
	v_add_f64 v[20:21], v[30:31], -v[20:21]
	v_add_f64 v[18:19], v[18:19], v[20:21]
	v_cmp_le_f64_e32 vcc, 0.5, v[22:23]
	v_mov_b32_e32 v20, 0x3ff00000
	s_mov_b32 s12, 0x33145c07
	v_cndmask_b32_e32 v39, 0, v20, vcc
	v_addc_co_u32_e64 v28, s[2:3], 0, v24, vcc
	v_add_f64 v[20:21], v[22:23], -v[38:39]
	v_add_f64 v[22:23], v[20:21], v[18:19]
	s_mov_b32 s2, 0x54442d18
	v_add_f64 v[20:21], v[22:23], -v[20:21]
	s_mov_b32 s3, 0x3ff921fb
	v_add_f64 v[18:19], v[18:19], -v[20:21]
	v_mul_f64 v[20:21], v[22:23], s[2:3]
	v_fma_f64 v[24:25], v[22:23], s[2:3], -v[20:21]
	s_mov_b32 s13, 0x3c91a626
	v_fmac_f64_e32 v[24:25], s[12:13], v[22:23]
	v_fmac_f64_e32 v[24:25], s[2:3], v[18:19]
	v_add_f64 v[18:19], v[20:21], v[24:25]
	v_add_f64 v[20:21], v[18:19], -v[20:21]
	v_add_f64 v[20:21], v[24:25], -v[20:21]
	s_andn2_saveexec_b64 s[2:3], s[10:11]
	s_cbranch_execnz .LBB7_98
	s_branch .LBB7_99
.LBB7_97:
	s_andn2_saveexec_b64 s[2:3], s[10:11]
	s_cbranch_execz .LBB7_99
.LBB7_98:
	s_mov_b32 s10, 0x6dc9c883
	s_mov_b32 s11, 0x3fe45f30
	v_mul_f64 v[18:19], |v[8:9]|, s[10:11]
	s_mov_b32 s10, 0x54442d18
	v_rndne_f64_e32 v[22:23], v[18:19]
	s_mov_b32 s11, 0xbff921fb
	v_fma_f64 v[18:19], v[22:23], s[10:11], |v[8:9]|
	s_mov_b32 s11, 0xbc91a626
	s_mov_b32 s10, 0x33145c00
	v_mul_f64 v[24:25], v[22:23], s[10:11]
	v_add_f64 v[28:29], v[18:19], v[24:25]
	v_fma_f64 v[20:21], s[10:11], v[22:23], v[18:19]
	s_mov_b32 s11, 0x3c91a626
	v_add_f64 v[18:19], v[18:19], -v[28:29]
	v_fma_f64 v[26:27], s[10:11], v[22:23], v[24:25]
	v_add_f64 v[18:19], v[18:19], v[24:25]
	v_add_f64 v[24:25], v[28:29], -v[20:21]
	v_add_f64 v[18:19], v[24:25], v[18:19]
	s_mov_b32 s10, 0x252049c0
	v_add_f64 v[24:25], v[18:19], -v[26:27]
	s_mov_b32 s11, 0xb97b839a
	v_fmac_f64_e32 v[24:25], s[10:11], v[22:23]
	v_add_f64 v[18:19], v[20:21], v[24:25]
	v_add_f64 v[20:21], v[18:19], -v[20:21]
	v_add_f64 v[20:21], v[24:25], -v[20:21]
	v_cvt_i32_f64_e32 v28, v[22:23]
.LBB7_99:
	s_or_b64 exec, exec, s[2:3]
	s_mov_b32 s2, 0
	v_mul_f64 v[22:23], v[12:13], v[12:13]
	s_mov_b32 s3, 0x40390000
	v_div_scale_f64 v[24:25], s[10:11], v[22:23], v[22:23], s[2:3]
	v_rcp_f64_e32 v[26:27], v[24:25]
	v_mov_b32_e32 v34, 0xb1759c7f
	v_mov_b32_e32 v35, 0x408ac370
	;; [unrolled: 1-line block ×3, first 2 shown]
	v_fma_f64 v[30:31], -v[24:25], v[26:27], 1.0
	v_fmac_f64_e32 v[26:27], v[26:27], v[30:31]
	v_fma_f64 v[30:31], -v[24:25], v[26:27], 1.0
	v_fmac_f64_e32 v[26:27], v[26:27], v[30:31]
	v_div_scale_f64 v[30:31], vcc, s[2:3], v[22:23], s[2:3]
	v_mul_f64 v[32:33], v[30:31], v[26:27]
	v_fma_f64 v[24:25], -v[24:25], v[32:33], v[30:31]
	v_mov_b32_e32 v30, 0xab5454e3
	s_nop 0
	v_div_fmas_f64 v[24:25], v[24:25], v[26:27], v[32:33]
	v_div_fixup_f64 v[22:23], v[24:25], v[22:23], s[2:3]
	v_mov_b32_e32 v24, 0x983b6b27
	v_mov_b32_e32 v25, 0x3f4a1d30
	v_fmac_f64_e32 v[24:25], 0, v[22:23]
	v_mov_b32_e32 v26, 0xb35dd1cf
	v_mov_b32_e32 v27, 0x3fb534b0
	v_fmac_f64_e32 v[26:27], v[22:23], v[24:25]
	;; [unrolled: 3-line block ×7, first 2 shown]
	v_mov_b32_e32 v31, 0x3fb5ebc5
	v_fmac_f64_e32 v[30:31], v[22:23], v[24:25]
	v_mov_b32_e32 v24, 0xc9b3069f
	v_mov_b32_e32 v25, 0x3ff40e72
	v_fmac_f64_e32 v[24:25], v[22:23], v[30:31]
	v_mov_b32_e32 v30, 0xe68162bb
	;; [unrolled: 3-line block ×4, first 2 shown]
	v_mov_b32_e32 v31, 0x40153965
	v_fmac_f64_e32 v[30:31], v[22:23], v[24:25]
	v_fma_f64 v[24:25], v[22:23], v[30:31], 1.0
	v_mov_b32_e32 v30, 0x38a5384a
	v_mov_b32_e32 v31, 0xbf874742
	v_fmac_f64_e32 v[30:31], 0, v[22:23]
	v_mov_b32_e32 v32, 0x3a321174
	v_mov_b32_e32 v33, 0xbff4853b
	v_fmac_f64_e32 v[32:33], v[22:23], v[30:31]
	;; [unrolled: 3-line block ×9, first 2 shown]
	v_fmac_f64_e32 v[34:35], v[22:23], v[30:31]
	v_mov_b32_e32 v30, 0xbd748cb5
	v_mov_b32_e32 v31, 0x40ae54cd
	v_fmac_f64_e32 v[30:31], v[22:23], v[34:35]
	v_mov_b32_e32 v34, 0xbdefd63e
	v_mov_b32_e32 v35, 0x40bc4877
	v_fmac_f64_e32 v[34:35], v[22:23], v[30:31]
	v_mov_b32_e32 v30, 0x1d733b11
	v_mov_b32_e32 v31, 0x40b72aba
	v_fmac_f64_e32 v[30:31], v[22:23], v[34:35]
	v_mov_b32_e32 v34, 0xc7319e82
	v_mov_b32_e32 v35, 0x40a01c2f
	v_fma_f64 v[26:27], v[22:23], v[26:27], 1.0
	v_fmac_f64_e32 v[34:35], v[22:23], v[30:31]
	v_div_scale_f64 v[30:31], s[2:3], v[24:25], v[24:25], v[26:27]
	v_rcp_f64_e32 v[36:37], v[30:31]
	v_mov_b32_e32 v39, 0x406e402f
	v_fmac_f64_e32 v[38:39], v[22:23], v[34:35]
	s_mov_b32 s2, 0x9037ab78
	v_fma_f64 v[22:23], -v[30:31], v[36:37], 1.0
	v_fmac_f64_e32 v[36:37], v[36:37], v[22:23]
	v_fma_f64 v[22:23], -v[30:31], v[36:37], 1.0
	v_fmac_f64_e32 v[36:37], v[36:37], v[22:23]
	v_div_scale_f64 v[22:23], vcc, v[26:27], v[24:25], v[26:27]
	v_mul_f64 v[34:35], v[22:23], v[36:37]
	v_fma_f64 v[22:23], -v[30:31], v[34:35], v[22:23]
	s_mov_b32 s3, 0x3e21eeb6
	s_nop 0
	v_div_fmas_f64 v[22:23], v[22:23], v[36:37], v[34:35]
	s_mov_b32 s10, 0x46cc5e42
	v_div_fixup_f64 v[22:23], v[22:23], v[24:25], v[26:27]
	v_mul_f64 v[24:25], v[14:15], v[14:15]
	s_mov_b32 s11, 0xbda907db
	v_mov_b64_e32 v[36:37], s[2:3]
	s_mov_b32 s12, 0xa17f65f6
	v_mul_f64 v[26:27], v[24:25], 0.5
	v_fma_f64 v[40:41], s[10:11], v[24:25], v[36:37]
	s_mov_b32 s13, 0xbe927e4f
	s_mov_b32 s14, 0x19f4ec90
	v_add_f64 v[30:31], -v[26:27], 1.0
	v_fma_f64 v[40:41], v[24:25], v[40:41], s[12:13]
	s_mov_b32 s15, 0x3efa01a0
	s_mov_b32 s16, 0x16c16967
	v_add_f64 v[34:35], -v[30:31], 1.0
	v_fma_f64 v[40:41], v[24:25], v[40:41], s[14:15]
	s_mov_b32 s17, 0xbf56c16c
	s_mov_b32 s18, 0x55555555
	v_add_f64 v[26:27], v[34:35], -v[26:27]
	v_fma_f64 v[40:41], v[24:25], v[40:41], s[16:17]
	s_mov_b32 s19, 0x3fa55555
	v_mul_f64 v[34:35], v[24:25], v[24:25]
	v_fma_f64 v[40:41], v[24:25], v[40:41], s[18:19]
	v_fma_f64 v[26:27], v[14:15], -v[16:17], v[26:27]
	s_mov_b32 s2, 0xb42fdfa7
	v_fmac_f64_e32 v[26:27], v[34:35], v[40:41]
	s_mov_b32 s3, 0xbe5ae600
	s_mov_b32 s20, 0xf9a43bb8
	v_add_f64 v[26:27], v[30:31], v[26:27]
	s_mov_b32 s21, 0x3de5e0b2
	v_mov_b64_e32 v[30:31], s[2:3]
	s_mov_b32 s24, 0x796cde01
	v_fma_f64 v[34:35], s[20:21], v[24:25], v[30:31]
	s_mov_b32 s25, 0x3ec71de3
	s_mov_b32 s26, 0x19e83e5c
	v_fma_f64 v[34:35], v[24:25], v[34:35], s[24:25]
	s_mov_b32 s27, 0xbf2a01a0
	;; [unrolled: 3-line block ×3, first 2 shown]
	v_fma_f64 v[34:35], v[24:25], v[34:35], s[28:29]
	v_mul_f64 v[40:41], v[14:15], -v[24:25]
	v_mul_f64 v[42:43], v[16:17], 0.5
	v_fmac_f64_e32 v[42:43], v[40:41], v[34:35]
	v_fma_f64 v[16:17], v[24:25], v[42:43], -v[16:17]
	s_mov_b32 s31, 0xbfc55555
	s_mov_b32 s30, s18
	v_fmac_f64_e32 v[16:17], s[30:31], v[40:41]
	v_add_f64 v[14:15], v[14:15], -v[16:17]
	v_and_b32_e32 v16, 1, v11
	v_lshlrev_b32_e32 v11, 30, v11
	v_cmp_eq_u32_e32 vcc, 0, v16
	v_xor_b32_e32 v11, v11, v9
	s_mov_b32 s34, 0
	v_cndmask_b32_e32 v24, v26, v14, vcc
	v_cndmask_b32_e32 v14, v27, v15, vcc
	v_and_b32_e32 v11, 0x80000000, v11
	s_mov_b32 s35, 0x40140000
	v_xor_b32_e32 v11, v14, v11
	v_div_scale_f64 v[14:15], s[2:3], v[12:13], v[12:13], s[34:35]
	v_rcp_f64_e32 v[16:17], v[14:15]
	s_movk_i32 s33, 0x1f8
	v_cmp_class_f64_e64 s[2:3], v[8:9], s33
	v_mov_b32_e32 v29, 0x7ff80000
	s_nop 0
	v_cndmask_b32_e64 v8, 0, v24, s[2:3]
	v_fma_f64 v[24:25], -v[14:15], v[16:17], 1.0
	v_fmac_f64_e32 v[16:17], v[16:17], v[24:25]
	v_fma_f64 v[24:25], -v[14:15], v[16:17], 1.0
	v_fmac_f64_e32 v[16:17], v[16:17], v[24:25]
	v_div_scale_f64 v[24:25], vcc, s[34:35], v[12:13], s[34:35]
	v_mul_f64 v[26:27], v[24:25], v[16:17]
	v_fma_f64 v[14:15], -v[14:15], v[26:27], v[24:25]
	v_div_scale_f64 v[24:25], s[36:37], v[38:39], v[38:39], v[32:33]
	v_rcp_f64_e32 v[34:35], v[24:25]
	v_div_fmas_f64 v[14:15], v[14:15], v[16:17], v[26:27]
	v_div_fixup_f64 v[14:15], v[14:15], v[12:13], s[34:35]
	v_cndmask_b32_e64 v9, v29, v11, s[2:3]
	v_fma_f64 v[16:17], -v[24:25], v[34:35], 1.0
	v_fmac_f64_e32 v[34:35], v[34:35], v[16:17]
	v_fma_f64 v[16:17], -v[24:25], v[34:35], 1.0
	v_fmac_f64_e32 v[34:35], v[34:35], v[16:17]
	v_div_scale_f64 v[16:17], vcc, v[32:33], v[38:39], v[32:33]
	v_mul_f64 v[26:27], v[16:17], v[34:35]
	v_fma_f64 v[16:17], -v[24:25], v[26:27], v[16:17]
	s_nop 1
	v_div_fmas_f64 v[16:17], v[16:17], v[34:35], v[26:27]
	v_div_fixup_f64 v[16:17], v[16:17], v[38:39], v[32:33]
	v_mul_f64 v[14:15], v[14:15], v[16:17]
	v_mul_f64 v[16:17], v[18:19], v[18:19]
	v_mul_f64 v[24:25], v[16:17], 0.5
	v_fmac_f64_e32 v[36:37], s[10:11], v[16:17]
	v_add_f64 v[26:27], -v[24:25], 1.0
	v_fma_f64 v[34:35], v[16:17], v[36:37], s[12:13]
	v_add_f64 v[32:33], -v[26:27], 1.0
	v_fma_f64 v[34:35], v[16:17], v[34:35], s[14:15]
	v_add_f64 v[24:25], v[32:33], -v[24:25]
	v_fma_f64 v[34:35], v[16:17], v[34:35], s[16:17]
	v_mul_f64 v[32:33], v[16:17], v[16:17]
	v_fma_f64 v[34:35], v[16:17], v[34:35], s[18:19]
	v_fma_f64 v[24:25], v[18:19], -v[20:21], v[24:25]
	v_fmac_f64_e32 v[24:25], v[32:33], v[34:35]
	v_fmac_f64_e32 v[30:31], s[20:21], v[16:17]
	v_add_f64 v[24:25], v[26:27], v[24:25]
	v_fma_f64 v[26:27], v[16:17], v[30:31], s[24:25]
	v_fma_f64 v[26:27], v[16:17], v[26:27], s[26:27]
	v_fma_f64 v[26:27], v[16:17], v[26:27], s[28:29]
	v_mul_f64 v[30:31], v[18:19], -v[16:17]
	v_mul_f64 v[32:33], v[20:21], 0.5
	v_fmac_f64_e32 v[32:33], v[30:31], v[26:27]
	v_fma_f64 v[16:17], v[16:17], v[32:33], -v[20:21]
	v_fmac_f64_e32 v[16:17], s[30:31], v[30:31]
	v_add_f64 v[16:17], v[18:19], -v[16:17]
	v_xor_b32_e32 v11, 0x80000000, v17
	v_and_b32_e32 v17, 1, v28
	v_cmp_eq_u32_e32 vcc, 0, v17
	v_lshlrev_b32_e32 v17, 30, v28
	v_and_b32_e32 v17, 0x80000000, v17
	v_cndmask_b32_e32 v11, v11, v25, vcc
	v_cndmask_b32_e32 v16, v16, v24, vcc
	v_xor_b32_e32 v11, v11, v17
	v_cndmask_b32_e64 v16, 0, v16, s[2:3]
	v_cndmask_b32_e64 v17, v29, v11, s[2:3]
	s_mov_b32 s2, 0
	s_brev_b32 s3, 8
	v_mul_f64 v[14:15], v[14:15], v[16:17]
	v_cmp_gt_f64_e32 vcc, s[2:3], v[12:13]
	v_fmac_f64_e32 v[14:15], v[22:23], v[8:9]
	v_mov_b32_e32 v11, 0xffffff80
	v_cndmask_b32_e64 v8, 0, 1, vcc
	v_lshlrev_b32_e32 v8, 8, v8
	v_ldexp_f64 v[8:9], v[12:13], v8
	v_rsq_f64_e32 v[12:13], v[8:9]
	v_cndmask_b32_e32 v11, 0, v11, vcc
	s_mov_b32 s2, 0x33d43651
	s_mov_b32 s3, 0x3fe98845
	v_mul_f64 v[16:17], v[8:9], v[12:13]
	v_mul_f64 v[12:13], v[12:13], 0.5
	v_fma_f64 v[18:19], -v[12:13], v[16:17], 0.5
	v_fmac_f64_e32 v[16:17], v[16:17], v[18:19]
	v_fma_f64 v[20:21], -v[16:17], v[16:17], v[8:9]
	v_fmac_f64_e32 v[12:13], v[12:13], v[18:19]
	v_fmac_f64_e32 v[16:17], v[20:21], v[12:13]
	v_fma_f64 v[18:19], -v[16:17], v[16:17], v[8:9]
	v_fmac_f64_e32 v[16:17], v[18:19], v[12:13]
	v_ldexp_f64 v[12:13], v[16:17], v11
	v_mov_b32_e32 v11, 0x260
	v_cmp_class_f64_e32 vcc, v[8:9], v11
	v_mul_f64 v[14:15], v[14:15], s[2:3]
	s_nop 0
	v_cndmask_b32_e32 v9, v13, v9, vcc
	v_cndmask_b32_e32 v8, v12, v8, vcc
	v_div_scale_f64 v[12:13], s[2:3], v[8:9], v[8:9], v[14:15]
	v_rcp_f64_e32 v[16:17], v[12:13]
	s_nop 0
	v_fma_f64 v[18:19], -v[12:13], v[16:17], 1.0
	v_fmac_f64_e32 v[16:17], v[16:17], v[18:19]
	v_fma_f64 v[18:19], -v[12:13], v[16:17], 1.0
	v_fmac_f64_e32 v[16:17], v[16:17], v[18:19]
	v_div_scale_f64 v[18:19], vcc, v[14:15], v[8:9], v[14:15]
	v_mul_f64 v[20:21], v[18:19], v[16:17]
	v_fma_f64 v[12:13], -v[12:13], v[20:21], v[18:19]
	s_nop 1
	v_div_fmas_f64 v[12:13], v[12:13], v[16:17], v[20:21]
	v_div_fixup_f64 v[8:9], v[12:13], v[8:9], v[14:15]
.LBB7_100:
	s_or_b64 exec, exec, s[8:9]
	s_or_b64 exec, exec, s[6:7]
	s_and_saveexec_b64 s[2:3], s[0:1]
	s_xor_b64 s[0:1], exec, s[2:3]
	s_cbranch_execnz .LBB7_89
.LBB7_101:
	s_or_b64 exec, exec, s[0:1]
	v_cmp_gt_i32_e32 vcc, s23, v0
	s_and_saveexec_b64 s[0:1], vcc
	s_cbranch_execz .LBB7_90
.LBB7_102:
	v_add_u32_e32 v2, 0x100, v0
	v_add_u32_e32 v0, s22, v0
	v_mov_b32_e32 v1, 0
	v_lshl_add_u64 v[0:1], v[0:1], 3, s[4:5]
	global_store_dwordx2 v[0:1], v[4:5], off
	v_mov_b32_e32 v0, v2
	s_or_b64 exec, exec, s[0:1]
	v_cmp_gt_i32_e32 vcc, s23, v0
	s_and_saveexec_b64 s[0:1], vcc
	s_cbranch_execnz .LBB7_91
.LBB7_103:
	s_or_b64 exec, exec, s[0:1]
	v_cmp_gt_i32_e32 vcc, s23, v0
	s_and_saveexec_b64 s[0:1], vcc
	s_cbranch_execz .LBB7_92
.LBB7_104:
	v_add_u32_e32 v0, s22, v0
	v_mov_b32_e32 v1, 0
	v_lshl_add_u64 v[0:1], v[0:1], 3, s[4:5]
	global_store_dwordx2 v[0:1], v[8:9], off
	s_endpgm
	.section	.rodata,"a",@progbits
	.p2align	6, 0x0
	.amdhsa_kernel _ZN2at6native27unrolled_elementwise_kernelIZZZNS0_12_GLOBAL__N_121bessel_y0_kernel_cudaERNS_18TensorIteratorBaseEENKUlvE_clEvENKUlvE_clEvEUldE_St5arrayIPcLm2EELi4E23TrivialOffsetCalculatorILi1EjESC_NS0_6memory15LoadWithoutCastENSD_16StoreWithoutCastEEEviT_T0_T2_T3_T4_T5_
		.amdhsa_group_segment_fixed_size 0
		.amdhsa_private_segment_fixed_size 0
		.amdhsa_kernarg_size 28
		.amdhsa_user_sgpr_count 2
		.amdhsa_user_sgpr_dispatch_ptr 0
		.amdhsa_user_sgpr_queue_ptr 0
		.amdhsa_user_sgpr_kernarg_segment_ptr 1
		.amdhsa_user_sgpr_dispatch_id 0
		.amdhsa_user_sgpr_kernarg_preload_length 0
		.amdhsa_user_sgpr_kernarg_preload_offset 0
		.amdhsa_user_sgpr_private_segment_size 0
		.amdhsa_uses_dynamic_stack 0
		.amdhsa_enable_private_segment 0
		.amdhsa_system_sgpr_workgroup_id_x 1
		.amdhsa_system_sgpr_workgroup_id_y 0
		.amdhsa_system_sgpr_workgroup_id_z 0
		.amdhsa_system_sgpr_workgroup_info 0
		.amdhsa_system_vgpr_workitem_id 0
		.amdhsa_next_free_vgpr 48
		.amdhsa_next_free_sgpr 38
		.amdhsa_accum_offset 48
		.amdhsa_reserve_vcc 1
		.amdhsa_float_round_mode_32 0
		.amdhsa_float_round_mode_16_64 0
		.amdhsa_float_denorm_mode_32 3
		.amdhsa_float_denorm_mode_16_64 3
		.amdhsa_dx10_clamp 1
		.amdhsa_ieee_mode 1
		.amdhsa_fp16_overflow 0
		.amdhsa_tg_split 0
		.amdhsa_exception_fp_ieee_invalid_op 0
		.amdhsa_exception_fp_denorm_src 0
		.amdhsa_exception_fp_ieee_div_zero 0
		.amdhsa_exception_fp_ieee_overflow 0
		.amdhsa_exception_fp_ieee_underflow 0
		.amdhsa_exception_fp_ieee_inexact 0
		.amdhsa_exception_int_div_zero 0
	.end_amdhsa_kernel
	.section	.text._ZN2at6native27unrolled_elementwise_kernelIZZZNS0_12_GLOBAL__N_121bessel_y0_kernel_cudaERNS_18TensorIteratorBaseEENKUlvE_clEvENKUlvE_clEvEUldE_St5arrayIPcLm2EELi4E23TrivialOffsetCalculatorILi1EjESC_NS0_6memory15LoadWithoutCastENSD_16StoreWithoutCastEEEviT_T0_T2_T3_T4_T5_,"axG",@progbits,_ZN2at6native27unrolled_elementwise_kernelIZZZNS0_12_GLOBAL__N_121bessel_y0_kernel_cudaERNS_18TensorIteratorBaseEENKUlvE_clEvENKUlvE_clEvEUldE_St5arrayIPcLm2EELi4E23TrivialOffsetCalculatorILi1EjESC_NS0_6memory15LoadWithoutCastENSD_16StoreWithoutCastEEEviT_T0_T2_T3_T4_T5_,comdat
.Lfunc_end7:
	.size	_ZN2at6native27unrolled_elementwise_kernelIZZZNS0_12_GLOBAL__N_121bessel_y0_kernel_cudaERNS_18TensorIteratorBaseEENKUlvE_clEvENKUlvE_clEvEUldE_St5arrayIPcLm2EELi4E23TrivialOffsetCalculatorILi1EjESC_NS0_6memory15LoadWithoutCastENSD_16StoreWithoutCastEEEviT_T0_T2_T3_T4_T5_, .Lfunc_end7-_ZN2at6native27unrolled_elementwise_kernelIZZZNS0_12_GLOBAL__N_121bessel_y0_kernel_cudaERNS_18TensorIteratorBaseEENKUlvE_clEvENKUlvE_clEvEUldE_St5arrayIPcLm2EELi4E23TrivialOffsetCalculatorILi1EjESC_NS0_6memory15LoadWithoutCastENSD_16StoreWithoutCastEEEviT_T0_T2_T3_T4_T5_
                                        ; -- End function
	.section	.AMDGPU.csdata,"",@progbits
; Kernel info:
; codeLenInByte = 21564
; NumSgprs: 44
; NumVgprs: 48
; NumAgprs: 0
; TotalNumVgprs: 48
; ScratchSize: 0
; MemoryBound: 0
; FloatMode: 240
; IeeeMode: 1
; LDSByteSize: 0 bytes/workgroup (compile time only)
; SGPRBlocks: 5
; VGPRBlocks: 5
; NumSGPRsForWavesPerEU: 44
; NumVGPRsForWavesPerEU: 48
; AccumOffset: 48
; Occupancy: 8
; WaveLimiterHint : 0
; COMPUTE_PGM_RSRC2:SCRATCH_EN: 0
; COMPUTE_PGM_RSRC2:USER_SGPR: 2
; COMPUTE_PGM_RSRC2:TRAP_HANDLER: 0
; COMPUTE_PGM_RSRC2:TGID_X_EN: 1
; COMPUTE_PGM_RSRC2:TGID_Y_EN: 0
; COMPUTE_PGM_RSRC2:TGID_Z_EN: 0
; COMPUTE_PGM_RSRC2:TIDIG_COMP_CNT: 0
; COMPUTE_PGM_RSRC3_GFX90A:ACCUM_OFFSET: 11
; COMPUTE_PGM_RSRC3_GFX90A:TG_SPLIT: 0
	.section	.text._ZN2at6native32elementwise_kernel_manual_unrollILi128ELi4EZNS0_22gpu_kernel_impl_nocastIZZZNS0_12_GLOBAL__N_121bessel_y0_kernel_cudaERNS_18TensorIteratorBaseEENKUlvE_clEvENKUlvE_clEvEUldE_EEvS5_RKT_EUlibE_EEviT1_,"axG",@progbits,_ZN2at6native32elementwise_kernel_manual_unrollILi128ELi4EZNS0_22gpu_kernel_impl_nocastIZZZNS0_12_GLOBAL__N_121bessel_y0_kernel_cudaERNS_18TensorIteratorBaseEENKUlvE_clEvENKUlvE_clEvEUldE_EEvS5_RKT_EUlibE_EEviT1_,comdat
	.globl	_ZN2at6native32elementwise_kernel_manual_unrollILi128ELi4EZNS0_22gpu_kernel_impl_nocastIZZZNS0_12_GLOBAL__N_121bessel_y0_kernel_cudaERNS_18TensorIteratorBaseEENKUlvE_clEvENKUlvE_clEvEUldE_EEvS5_RKT_EUlibE_EEviT1_ ; -- Begin function _ZN2at6native32elementwise_kernel_manual_unrollILi128ELi4EZNS0_22gpu_kernel_impl_nocastIZZZNS0_12_GLOBAL__N_121bessel_y0_kernel_cudaERNS_18TensorIteratorBaseEENKUlvE_clEvENKUlvE_clEvEUldE_EEvS5_RKT_EUlibE_EEviT1_
	.p2align	8
	.type	_ZN2at6native32elementwise_kernel_manual_unrollILi128ELi4EZNS0_22gpu_kernel_impl_nocastIZZZNS0_12_GLOBAL__N_121bessel_y0_kernel_cudaERNS_18TensorIteratorBaseEENKUlvE_clEvENKUlvE_clEvEUldE_EEvS5_RKT_EUlibE_EEviT1_,@function
_ZN2at6native32elementwise_kernel_manual_unrollILi128ELi4EZNS0_22gpu_kernel_impl_nocastIZZZNS0_12_GLOBAL__N_121bessel_y0_kernel_cudaERNS_18TensorIteratorBaseEENKUlvE_clEvENKUlvE_clEvEUldE_EEvS5_RKT_EUlibE_EEviT1_: ; @_ZN2at6native32elementwise_kernel_manual_unrollILi128ELi4EZNS0_22gpu_kernel_impl_nocastIZZZNS0_12_GLOBAL__N_121bessel_y0_kernel_cudaERNS_18TensorIteratorBaseEENKUlvE_clEvENKUlvE_clEvEUldE_EEvS5_RKT_EUlibE_EEviT1_
; %bb.0:
	s_load_dword s57, s[0:1], 0x0
	s_load_dword s33, s[0:1], 0x8
	s_or_b32 s0, s0, 8
	v_lshl_or_b32 v22, s2, 9, v0
	v_or_b32_e32 v11, 0x180, v22
	s_waitcnt lgkmcnt(0)
	v_cmp_le_i32_e32 vcc, s57, v11
	s_add_i32 s56, s33, -1
	s_cmp_gt_u32 s56, 1
	s_cselect_b64 s[34:35], -1, 0
	s_and_saveexec_b64 s[2:3], vcc
	s_xor_b64 s[40:41], exec, s[2:3]
	s_cbranch_execz .LBB8_8
; %bb.1:
	s_load_dwordx4 s[28:31], s[0:1], 0x4
	s_load_dwordx2 s[42:43], s[0:1], 0x14
	s_load_dwordx4 s[24:27], s[0:1], 0xc4
	s_load_dwordx4 s[20:23], s[0:1], 0x148
	s_cmp_lg_u32 s33, 0
	s_cselect_b64 s[48:49], -1, 0
	s_add_u32 s46, s0, 0xc4
	s_addc_u32 s47, s1, 0
	s_min_u32 s58, s56, 15
	s_cmp_gt_u32 s33, 1
	s_cselect_b64 s[44:45], -1, 0
	v_cmp_gt_i32_e32 vcc, s57, v22
	s_and_saveexec_b64 s[50:51], vcc
	s_cbranch_execz .LBB8_16
; %bb.2:
	s_andn2_b64 vcc, exec, s[34:35]
	s_cbranch_vccnz .LBB8_24
; %bb.3:
	s_mov_b32 s2, 0
	s_andn2_b64 vcc, exec, s[48:49]
	v_mov_b32_e32 v2, 0
	v_mov_b32_e32 v0, 0
	s_cbranch_vccnz .LBB8_160
; %bb.4:
	s_add_i32 s59, s58, 1
	s_cmp_eq_u32 s56, 2
	s_cbranch_scc1 .LBB8_155
; %bb.5:
	s_and_b32 s2, s59, 28
	s_mov_b32 s3, 0
	v_mov_b32_e32 v0, 0
	s_mov_b64 s[52:53], s[0:1]
	s_mov_b64 s[54:55], s[46:47]
	v_mov_b32_e32 v3, v22
	v_mov_b32_e32 v2, 0
.LBB8_6:                                ; =>This Inner Loop Header: Depth=1
	s_load_dwordx8 s[12:19], s[52:53], 0x4
	s_load_dwordx4 s[36:39], s[52:53], 0x24
	s_load_dwordx8 s[4:11], s[54:55], 0x0
	s_add_u32 s52, s52, 48
	s_addc_u32 s53, s53, 0
	s_waitcnt lgkmcnt(0)
	v_mul_hi_u32 v1, s13, v3
	v_add_u32_e32 v1, v3, v1
	v_lshrrev_b32_e32 v1, s14, v1
	v_mul_lo_u32 v4, v1, s12
	v_mul_hi_u32 v5, s16, v1
	v_sub_u32_e32 v3, v3, v4
	v_add_u32_e32 v4, v1, v5
	v_lshrrev_b32_e32 v4, s17, v4
	v_mul_lo_u32 v6, v4, s15
	v_mul_hi_u32 v7, s19, v4
	v_sub_u32_e32 v1, v1, v6
	v_add_u32_e32 v6, v4, v7
	v_mul_lo_u32 v5, v3, s5
	v_mul_lo_u32 v3, v3, s4
	;; [unrolled: 1-line block ×4, first 2 shown]
	v_lshrrev_b32_e32 v6, s36, v6
	v_add3_u32 v0, v3, v0, v1
	v_mul_hi_u32 v3, s38, v6
	v_add_u32_e32 v3, v6, v3
	v_lshrrev_b32_e32 v3, s39, v3
	s_add_i32 s3, s3, 4
	v_add3_u32 v1, v5, v2, v7
	v_mul_lo_u32 v2, v6, s18
	v_mul_lo_u32 v5, v3, s37
	s_add_u32 s54, s54, 32
	v_sub_u32_e32 v2, v4, v2
	v_sub_u32_e32 v5, v6, v5
	s_addc_u32 s55, s55, 0
	v_mul_lo_u32 v4, v2, s8
	v_mul_lo_u32 v2, v2, s9
	;; [unrolled: 1-line block ×4, first 2 shown]
	s_cmp_lg_u32 s2, s3
	v_add3_u32 v2, v2, v1, v5
	v_add3_u32 v0, v4, v0, v6
	s_cbranch_scc1 .LBB8_6
; %bb.7:
	v_mov_b32_e32 v1, v2
	s_branch .LBB8_156
.LBB8_8:
	s_andn2_saveexec_b64 s[2:3], s[40:41]
	s_cbranch_execz .LBB8_223
.LBB8_9:
	v_cndmask_b32_e64 v0, 0, 1, s[34:35]
	v_cmp_ne_u32_e64 s[2:3], 1, v0
	s_andn2_b64 vcc, exec, s[34:35]
	s_cbranch_vccnz .LBB8_23
; %bb.10:
	s_waitcnt lgkmcnt(0)
	s_mov_b32 s24, 0
	s_cmp_lg_u32 s33, 0
	v_mov_b32_e32 v8, 0
	v_mov_b32_e32 v0, 0
	s_cbranch_scc0 .LBB8_15
; %bb.11:
	s_min_u32 s30, s56, 15
	s_add_i32 s30, s30, 1
	s_cmp_eq_u32 s56, 2
	s_cbranch_scc1 .LBB8_26
; %bb.12:
	s_add_u32 s26, s0, 0xc4
	s_addc_u32 s27, s1, 0
	s_and_b32 s24, s30, 28
	s_mov_b32 s25, 0
	v_mov_b32_e32 v0, 0
	s_mov_b64 s[28:29], s[0:1]
	v_mov_b32_e32 v2, v22
	v_mov_b32_e32 v8, 0
.LBB8_13:                               ; =>This Inner Loop Header: Depth=1
	s_load_dwordx8 s[12:19], s[28:29], 0x4
	s_load_dwordx4 s[20:23], s[28:29], 0x24
	s_load_dwordx8 s[4:11], s[26:27], 0x0
	s_add_u32 s28, s28, 48
	s_addc_u32 s29, s29, 0
	s_waitcnt lgkmcnt(0)
	v_mul_hi_u32 v1, s13, v2
	v_add_u32_e32 v1, v2, v1
	v_lshrrev_b32_e32 v1, s14, v1
	v_mul_lo_u32 v3, v1, s12
	v_mul_hi_u32 v4, s16, v1
	v_sub_u32_e32 v2, v2, v3
	v_add_u32_e32 v3, v1, v4
	v_lshrrev_b32_e32 v3, s17, v3
	v_mul_lo_u32 v5, v3, s15
	v_mul_hi_u32 v6, s19, v3
	v_sub_u32_e32 v1, v1, v5
	v_add_u32_e32 v5, v3, v6
	v_mul_lo_u32 v4, v2, s5
	v_mul_lo_u32 v2, v2, s4
	;; [unrolled: 1-line block ×4, first 2 shown]
	v_lshrrev_b32_e32 v5, s20, v5
	v_add3_u32 v0, v2, v0, v1
	v_add3_u32 v1, v4, v8, v6
	v_mul_lo_u32 v2, v5, s18
	v_mul_hi_u32 v4, s22, v5
	v_sub_u32_e32 v2, v3, v2
	v_add_u32_e32 v3, v5, v4
	v_mul_lo_u32 v4, v2, s8
	v_mul_lo_u32 v6, v2, s9
	v_lshrrev_b32_e32 v2, s23, v3
	s_add_i32 s25, s25, 4
	v_mul_lo_u32 v3, v2, s21
	s_add_u32 s26, s26, 32
	v_sub_u32_e32 v3, v5, v3
	s_addc_u32 s27, s27, 0
	v_mul_lo_u32 v5, v3, s10
	v_mul_lo_u32 v3, v3, s11
	s_cmp_lg_u32 s24, s25
	v_add3_u32 v8, v6, v1, v3
	v_add3_u32 v0, v4, v0, v5
	s_cbranch_scc1 .LBB8_13
; %bb.14:
	v_mov_b32_e32 v1, v8
	s_and_b32 s8, s30, 3
	s_cmp_eq_u32 s8, 0
	s_cbranch_scc0 .LBB8_27
.LBB8_15:
	s_cbranch_execz .LBB8_30
	s_branch .LBB8_32
.LBB8_16:
	s_or_b64 exec, exec, s[50:51]
	v_cmp_gt_i32_e32 vcc, s57, v22
	s_and_saveexec_b64 s[50:51], vcc
	s_cbranch_execz .LBB8_184
.LBB8_17:
	s_andn2_b64 vcc, exec, s[34:35]
	s_cbranch_vccnz .LBB8_25
; %bb.18:
	s_mov_b32 s2, 0
	s_andn2_b64 vcc, exec, s[48:49]
	v_mov_b32_e32 v2, 0
	v_mov_b32_e32 v0, 0
	s_cbranch_vccnz .LBB8_197
; %bb.19:
	s_add_i32 s59, s58, 1
	s_cmp_eq_u32 s56, 2
	s_cbranch_scc1 .LBB8_192
; %bb.20:
	s_and_b32 s2, s59, 28
	s_mov_b32 s3, 0
	v_mov_b32_e32 v0, 0
	s_mov_b64 s[52:53], s[0:1]
	s_mov_b64 s[54:55], s[46:47]
	v_mov_b32_e32 v3, v22
	v_mov_b32_e32 v2, 0
.LBB8_21:                               ; =>This Inner Loop Header: Depth=1
	s_load_dwordx8 s[12:19], s[52:53], 0x4
	s_load_dwordx4 s[36:39], s[52:53], 0x24
	s_load_dwordx8 s[4:11], s[54:55], 0x0
	s_add_u32 s52, s52, 48
	s_addc_u32 s53, s53, 0
	s_waitcnt lgkmcnt(0)
	v_mul_hi_u32 v1, s13, v3
	v_add_u32_e32 v1, v3, v1
	v_lshrrev_b32_e32 v1, s14, v1
	v_mul_lo_u32 v4, v1, s12
	v_mul_hi_u32 v5, s16, v1
	v_sub_u32_e32 v3, v3, v4
	v_add_u32_e32 v4, v1, v5
	v_lshrrev_b32_e32 v4, s17, v4
	v_mul_lo_u32 v6, v4, s15
	v_mul_hi_u32 v7, s19, v4
	v_sub_u32_e32 v1, v1, v6
	v_add_u32_e32 v6, v4, v7
	v_mul_lo_u32 v5, v3, s5
	v_mul_lo_u32 v3, v3, s4
	;; [unrolled: 1-line block ×4, first 2 shown]
	v_lshrrev_b32_e32 v6, s36, v6
	v_add3_u32 v0, v3, v0, v1
	v_mul_hi_u32 v3, s38, v6
	v_add_u32_e32 v3, v6, v3
	v_lshrrev_b32_e32 v3, s39, v3
	s_add_i32 s3, s3, 4
	v_add3_u32 v1, v5, v2, v7
	v_mul_lo_u32 v2, v6, s18
	v_mul_lo_u32 v5, v3, s37
	s_add_u32 s54, s54, 32
	v_sub_u32_e32 v2, v4, v2
	v_sub_u32_e32 v5, v6, v5
	s_addc_u32 s55, s55, 0
	v_mul_lo_u32 v4, v2, s8
	v_mul_lo_u32 v2, v2, s9
	v_mul_lo_u32 v6, v5, s10
	v_mul_lo_u32 v5, v5, s11
	s_cmp_eq_u32 s2, s3
	v_add3_u32 v2, v2, v1, v5
	v_add3_u32 v0, v4, v0, v6
	s_cbranch_scc0 .LBB8_21
; %bb.22:
	v_mov_b32_e32 v1, v2
	s_branch .LBB8_193
.LBB8_23:
                                        ; implicit-def: $vgpr8
                                        ; implicit-def: $vgpr0
	s_branch .LBB8_30
.LBB8_24:
                                        ; implicit-def: $vgpr2
                                        ; implicit-def: $vgpr0
	s_branch .LBB8_161
.LBB8_25:
                                        ; implicit-def: $vgpr2
                                        ; implicit-def: $vgpr0
	s_branch .LBB8_198
.LBB8_26:
	s_mov_b32 s25, s24
	v_mov_b64_e32 v[0:1], s[24:25]
                                        ; implicit-def: $vgpr8
	v_mov_b32_e32 v2, v22
	s_and_b32 s8, s30, 3
	s_cmp_eq_u32 s8, 0
	s_cbranch_scc1 .LBB8_15
.LBB8_27:
	s_lshl_b32 s4, s24, 3
	s_add_u32 s4, s4, s0
	s_addc_u32 s5, 0, s1
	s_add_u32 s4, s4, 0xc4
	s_addc_u32 s5, s5, 0
	s_mul_i32 s6, s24, 12
	s_add_u32 s6, s0, s6
	s_addc_u32 s7, 0, s1
.LBB8_28:                               ; =>This Inner Loop Header: Depth=1
	s_load_dwordx2 s[10:11], s[6:7], 0x4
	s_load_dword s9, s[6:7], 0xc
	s_load_dwordx2 s[12:13], s[4:5], 0x0
	v_mov_b32_e32 v4, v1
	s_add_u32 s6, s6, 12
	s_waitcnt lgkmcnt(0)
	v_mul_hi_u32 v1, s11, v2
	v_add_u32_e32 v1, v2, v1
	v_lshrrev_b32_e32 v1, s9, v1
	s_addc_u32 s7, s7, 0
	v_mul_lo_u32 v3, v1, s10
	s_add_u32 s4, s4, 8
	v_sub_u32_e32 v3, v2, v3
	s_addc_u32 s5, s5, 0
	s_add_i32 s8, s8, -1
	v_mov_b32_e32 v2, v1
	v_mad_u64_u32 v[4:5], s[10:11], v3, s13, v[4:5]
	v_mad_u64_u32 v[0:1], s[10:11], v3, s12, v[0:1]
	s_cmp_lg_u32 s8, 0
	v_mov_b32_e32 v1, v4
	s_cbranch_scc1 .LBB8_28
; %bb.29:
	v_mov_b32_e32 v8, v1
	s_cbranch_execnz .LBB8_32
.LBB8_30:
	s_load_dwordx4 s[4:7], s[0:1], 0x4
	s_load_dwordx2 s[8:9], s[0:1], 0xc4
	s_cmp_lt_u32 s33, 2
	s_waitcnt lgkmcnt(0)
	v_mul_hi_u32 v0, s5, v22
	v_add_u32_e32 v0, v22, v0
	v_lshrrev_b32_e32 v1, s6, v0
	v_mul_lo_u32 v0, v1, s4
	v_sub_u32_e32 v0, v22, v0
	v_mul_lo_u32 v8, v0, s9
	v_mul_lo_u32 v0, v0, s8
	s_cbranch_scc1 .LBB8_32
; %bb.31:
	s_load_dwordx4 s[4:7], s[0:1], 0x10
	s_load_dwordx2 s[8:9], s[0:1], 0xcc
	s_waitcnt lgkmcnt(0)
	v_mul_hi_u32 v2, s5, v1
	v_add_u32_e32 v2, v1, v2
	v_lshrrev_b32_e32 v2, s6, v2
	v_mul_lo_u32 v2, v2, s4
	v_sub_u32_e32 v2, v1, v2
	v_mad_u64_u32 v[0:1], s[4:5], v2, s8, v[0:1]
	v_mad_u64_u32 v[8:9], s[4:5], v2, s9, v[8:9]
.LBB8_32:
	s_and_b64 vcc, exec, s[2:3]
	v_add_u32_e32 v1, 0x80, v22
	s_cbranch_vccnz .LBB8_39
; %bb.33:
	s_waitcnt lgkmcnt(0)
	s_mov_b32 s24, 0
	s_cmp_lg_u32 s33, 0
	v_mov_b32_e32 v14, 0
	v_mov_b32_e32 v2, 0
	s_cbranch_scc0 .LBB8_38
; %bb.34:
	s_min_u32 s30, s56, 15
	s_add_i32 s30, s30, 1
	s_cmp_eq_u32 s56, 2
	s_cbranch_scc1 .LBB8_40
; %bb.35:
	s_add_u32 s26, s0, 0xc4
	s_addc_u32 s27, s1, 0
	s_and_b32 s24, s30, 28
	s_mov_b32 s25, 0
	v_mov_b32_e32 v2, 0
	s_mov_b64 s[28:29], s[0:1]
	v_mov_b32_e32 v4, v1
	v_mov_b32_e32 v14, 0
.LBB8_36:                               ; =>This Inner Loop Header: Depth=1
	s_load_dwordx8 s[12:19], s[28:29], 0x4
	s_load_dwordx4 s[20:23], s[28:29], 0x24
	s_load_dwordx8 s[4:11], s[26:27], 0x0
	s_add_u32 s28, s28, 48
	s_addc_u32 s29, s29, 0
	s_waitcnt lgkmcnt(0)
	v_mul_hi_u32 v3, s13, v4
	v_add_u32_e32 v3, v4, v3
	v_lshrrev_b32_e32 v3, s14, v3
	v_mul_lo_u32 v5, v3, s12
	v_mul_hi_u32 v6, s16, v3
	v_sub_u32_e32 v4, v4, v5
	v_add_u32_e32 v5, v3, v6
	v_lshrrev_b32_e32 v5, s17, v5
	v_mul_lo_u32 v7, v5, s15
	v_mul_hi_u32 v9, s19, v5
	v_sub_u32_e32 v3, v3, v7
	v_add_u32_e32 v7, v5, v9
	v_mul_lo_u32 v6, v4, s5
	v_mul_lo_u32 v4, v4, s4
	;; [unrolled: 1-line block ×4, first 2 shown]
	v_lshrrev_b32_e32 v7, s20, v7
	v_add3_u32 v2, v4, v2, v3
	v_add3_u32 v3, v6, v14, v9
	v_mul_lo_u32 v4, v7, s18
	v_mul_hi_u32 v6, s22, v7
	v_sub_u32_e32 v4, v5, v4
	v_add_u32_e32 v5, v7, v6
	v_mul_lo_u32 v6, v4, s8
	v_mul_lo_u32 v9, v4, s9
	v_lshrrev_b32_e32 v4, s23, v5
	s_add_i32 s25, s25, 4
	v_mul_lo_u32 v5, v4, s21
	s_add_u32 s26, s26, 32
	v_sub_u32_e32 v5, v7, v5
	s_addc_u32 s27, s27, 0
	v_mul_lo_u32 v7, v5, s10
	v_mul_lo_u32 v5, v5, s11
	s_cmp_lg_u32 s24, s25
	v_add3_u32 v14, v9, v3, v5
	v_add3_u32 v2, v6, v2, v7
	s_cbranch_scc1 .LBB8_36
; %bb.37:
	v_mov_b32_e32 v3, v14
	s_and_b32 s8, s30, 3
	s_cmp_eq_u32 s8, 0
	s_cbranch_scc0 .LBB8_41
.LBB8_38:
	s_cbranch_execz .LBB8_44
	s_branch .LBB8_46
.LBB8_39:
                                        ; implicit-def: $vgpr14
                                        ; implicit-def: $vgpr2
	s_branch .LBB8_44
.LBB8_40:
	s_mov_b32 s25, s24
	v_mov_b64_e32 v[2:3], s[24:25]
                                        ; implicit-def: $vgpr14
	v_mov_b32_e32 v4, v1
	s_and_b32 s8, s30, 3
	s_cmp_eq_u32 s8, 0
	s_cbranch_scc1 .LBB8_38
.LBB8_41:
	s_lshl_b32 s4, s24, 3
	s_add_u32 s4, s4, s0
	s_addc_u32 s5, 0, s1
	s_add_u32 s4, s4, 0xc4
	s_addc_u32 s5, s5, 0
	s_mul_i32 s6, s24, 12
	s_add_u32 s6, s0, s6
	s_addc_u32 s7, 0, s1
.LBB8_42:                               ; =>This Inner Loop Header: Depth=1
	s_load_dwordx2 s[10:11], s[6:7], 0x4
	s_load_dword s9, s[6:7], 0xc
	s_load_dwordx2 s[12:13], s[4:5], 0x0
	v_mov_b32_e32 v6, v3
	s_add_u32 s6, s6, 12
	s_waitcnt lgkmcnt(0)
	v_mul_hi_u32 v3, s11, v4
	v_add_u32_e32 v3, v4, v3
	v_lshrrev_b32_e32 v3, s9, v3
	s_addc_u32 s7, s7, 0
	v_mul_lo_u32 v5, v3, s10
	s_add_u32 s4, s4, 8
	v_sub_u32_e32 v5, v4, v5
	s_addc_u32 s5, s5, 0
	s_add_i32 s8, s8, -1
	v_mov_b32_e32 v4, v3
	v_mad_u64_u32 v[6:7], s[10:11], v5, s13, v[6:7]
	v_mad_u64_u32 v[2:3], s[10:11], v5, s12, v[2:3]
	s_cmp_lg_u32 s8, 0
	v_mov_b32_e32 v3, v6
	s_cbranch_scc1 .LBB8_42
; %bb.43:
	v_mov_b32_e32 v14, v3
	s_cbranch_execnz .LBB8_46
.LBB8_44:
	s_load_dwordx4 s[4:7], s[0:1], 0x4
	s_load_dwordx2 s[8:9], s[0:1], 0xc4
	s_cmp_lt_u32 s33, 2
	s_waitcnt lgkmcnt(0)
	v_mul_hi_u32 v2, s5, v1
	v_add_u32_e32 v2, v1, v2
	v_lshrrev_b32_e32 v3, s6, v2
	v_mul_lo_u32 v2, v3, s4
	v_sub_u32_e32 v1, v1, v2
	v_mul_lo_u32 v14, v1, s9
	v_mul_lo_u32 v2, v1, s8
	s_cbranch_scc1 .LBB8_46
; %bb.45:
	s_load_dwordx4 s[4:7], s[0:1], 0x10
	s_load_dwordx2 s[8:9], s[0:1], 0xcc
	s_waitcnt lgkmcnt(0)
	v_mul_hi_u32 v1, s5, v3
	v_add_u32_e32 v1, v3, v1
	v_lshrrev_b32_e32 v1, s6, v1
	v_mul_lo_u32 v1, v1, s4
	v_sub_u32_e32 v1, v3, v1
	v_mad_u64_u32 v[2:3], s[4:5], v1, s8, v[2:3]
	v_mad_u64_u32 v[14:15], s[4:5], v1, s9, v[14:15]
.LBB8_46:
	s_and_b64 vcc, exec, s[2:3]
	v_add_u32_e32 v1, 0x100, v22
	s_cbranch_vccnz .LBB8_53
; %bb.47:
	s_waitcnt lgkmcnt(0)
	s_mov_b32 s24, 0
	s_cmp_lg_u32 s33, 0
	v_mov_b32_e32 v12, 0
	v_mov_b32_e32 v4, 0
	s_cbranch_scc0 .LBB8_52
; %bb.48:
	s_min_u32 s30, s56, 15
	s_add_i32 s30, s30, 1
	s_cmp_eq_u32 s56, 2
	s_cbranch_scc1 .LBB8_54
; %bb.49:
	s_add_u32 s26, s0, 0xc4
	s_addc_u32 s27, s1, 0
	s_and_b32 s24, s30, 28
	s_mov_b32 s25, 0
	v_mov_b32_e32 v4, 0
	s_mov_b64 s[28:29], s[0:1]
	v_mov_b32_e32 v3, v1
	v_mov_b32_e32 v12, 0
.LBB8_50:                               ; =>This Inner Loop Header: Depth=1
	s_load_dwordx8 s[12:19], s[28:29], 0x4
	s_load_dwordx4 s[20:23], s[28:29], 0x24
	s_load_dwordx8 s[4:11], s[26:27], 0x0
	s_add_u32 s28, s28, 48
	s_addc_u32 s29, s29, 0
	s_waitcnt lgkmcnt(0)
	v_mul_hi_u32 v5, s13, v3
	v_add_u32_e32 v5, v3, v5
	v_lshrrev_b32_e32 v5, s14, v5
	v_mul_lo_u32 v6, v5, s12
	v_mul_hi_u32 v7, s16, v5
	v_sub_u32_e32 v3, v3, v6
	v_add_u32_e32 v6, v5, v7
	v_lshrrev_b32_e32 v6, s17, v6
	v_mul_lo_u32 v9, v6, s15
	v_mul_hi_u32 v10, s19, v6
	v_sub_u32_e32 v5, v5, v9
	v_add_u32_e32 v9, v6, v10
	v_mul_lo_u32 v7, v3, s5
	v_mul_lo_u32 v3, v3, s4
	;; [unrolled: 1-line block ×4, first 2 shown]
	v_lshrrev_b32_e32 v9, s20, v9
	v_add3_u32 v4, v3, v4, v5
	v_add3_u32 v5, v7, v12, v10
	v_mul_lo_u32 v3, v9, s18
	v_mul_hi_u32 v7, s22, v9
	v_sub_u32_e32 v3, v6, v3
	v_add_u32_e32 v6, v9, v7
	v_mul_lo_u32 v7, v3, s8
	v_mul_lo_u32 v10, v3, s9
	v_lshrrev_b32_e32 v3, s23, v6
	s_add_i32 s25, s25, 4
	v_mul_lo_u32 v6, v3, s21
	s_add_u32 s26, s26, 32
	v_sub_u32_e32 v6, v9, v6
	s_addc_u32 s27, s27, 0
	v_mul_lo_u32 v9, v6, s10
	v_mul_lo_u32 v6, v6, s11
	s_cmp_lg_u32 s24, s25
	v_add3_u32 v12, v10, v5, v6
	v_add3_u32 v4, v7, v4, v9
	s_cbranch_scc1 .LBB8_50
; %bb.51:
	v_mov_b32_e32 v5, v12
	s_and_b32 s8, s30, 3
	s_cmp_eq_u32 s8, 0
	s_cbranch_scc0 .LBB8_55
.LBB8_52:
	s_cbranch_execz .LBB8_58
	s_branch .LBB8_60
.LBB8_53:
                                        ; implicit-def: $vgpr12
                                        ; implicit-def: $vgpr4
	s_branch .LBB8_58
.LBB8_54:
	s_mov_b32 s25, s24
	v_mov_b64_e32 v[4:5], s[24:25]
                                        ; implicit-def: $vgpr12
	v_mov_b32_e32 v3, v1
	s_and_b32 s8, s30, 3
	s_cmp_eq_u32 s8, 0
	s_cbranch_scc1 .LBB8_52
.LBB8_55:
	s_lshl_b32 s4, s24, 3
	s_add_u32 s4, s4, s0
	s_addc_u32 s5, 0, s1
	s_add_u32 s4, s4, 0xc4
	s_addc_u32 s5, s5, 0
	s_mul_i32 s6, s24, 12
	s_add_u32 s6, s0, s6
	s_addc_u32 s7, 0, s1
.LBB8_56:                               ; =>This Inner Loop Header: Depth=1
	s_load_dwordx2 s[10:11], s[6:7], 0x4
	s_load_dword s9, s[6:7], 0xc
	s_load_dwordx2 s[12:13], s[4:5], 0x0
	v_mov_b32_e32 v6, v5
	s_add_u32 s6, s6, 12
	s_waitcnt lgkmcnt(0)
	v_mul_hi_u32 v5, s11, v3
	v_add_u32_e32 v5, v3, v5
	v_lshrrev_b32_e32 v5, s9, v5
	s_addc_u32 s7, s7, 0
	v_mul_lo_u32 v7, v5, s10
	s_add_u32 s4, s4, 8
	v_sub_u32_e32 v9, v3, v7
	s_addc_u32 s5, s5, 0
	s_add_i32 s8, s8, -1
	v_mov_b32_e32 v3, v5
	v_mad_u64_u32 v[6:7], s[10:11], v9, s13, v[6:7]
	v_mad_u64_u32 v[4:5], s[10:11], v9, s12, v[4:5]
	s_cmp_lg_u32 s8, 0
	v_mov_b32_e32 v5, v6
	s_cbranch_scc1 .LBB8_56
; %bb.57:
	v_mov_b32_e32 v12, v5
	s_cbranch_execnz .LBB8_60
.LBB8_58:
	s_load_dwordx4 s[4:7], s[0:1], 0x4
	s_load_dwordx2 s[8:9], s[0:1], 0xc4
	s_cmp_lt_u32 s33, 2
	s_waitcnt lgkmcnt(0)
	v_mul_hi_u32 v3, s5, v1
	v_add_u32_e32 v3, v1, v3
	v_lshrrev_b32_e32 v3, s6, v3
	v_mul_lo_u32 v4, v3, s4
	v_sub_u32_e32 v1, v1, v4
	v_mul_lo_u32 v12, v1, s9
	v_mul_lo_u32 v4, v1, s8
	s_cbranch_scc1 .LBB8_60
; %bb.59:
	s_load_dwordx4 s[4:7], s[0:1], 0x10
	s_load_dwordx2 s[8:9], s[0:1], 0xcc
	s_waitcnt lgkmcnt(0)
	v_mul_hi_u32 v1, s5, v3
	v_add_u32_e32 v1, v3, v1
	v_lshrrev_b32_e32 v1, s6, v1
	v_mul_lo_u32 v1, v1, s4
	v_sub_u32_e32 v1, v3, v1
	v_mad_u64_u32 v[4:5], s[4:5], v1, s8, v[4:5]
	v_mad_u64_u32 v[12:13], s[4:5], v1, s9, v[12:13]
.LBB8_60:
	s_and_b64 vcc, exec, s[2:3]
	s_cbranch_vccnz .LBB8_67
; %bb.61:
	s_mov_b32 s2, 0
	s_cmp_lg_u32 s33, 0
	v_mov_b32_e32 v10, 0
	v_mov_b32_e32 v6, 0
	s_cbranch_scc0 .LBB8_66
; %bb.62:
	s_waitcnt lgkmcnt(0)
	s_min_u32 s28, s56, 15
	s_add_i32 s28, s28, 1
	s_cmp_eq_u32 s56, 2
	s_cbranch_scc1 .LBB8_68
; %bb.63:
	s_add_u32 s24, s0, 0xc4
	s_addc_u32 s25, s1, 0
	s_and_b32 s2, s28, 28
	s_mov_b32 s3, 0
	v_mov_b32_e32 v6, 0
	s_mov_b64 s[26:27], s[0:1]
	v_mov_b32_e32 v1, v11
	v_mov_b32_e32 v10, 0
.LBB8_64:                               ; =>This Inner Loop Header: Depth=1
	s_load_dwordx8 s[12:19], s[26:27], 0x4
	s_load_dwordx4 s[20:23], s[26:27], 0x24
	s_load_dwordx8 s[4:11], s[24:25], 0x0
	s_add_u32 s26, s26, 48
	s_addc_u32 s27, s27, 0
	s_waitcnt lgkmcnt(0)
	v_mul_hi_u32 v3, s13, v1
	v_add_u32_e32 v3, v1, v3
	v_lshrrev_b32_e32 v3, s14, v3
	v_mul_lo_u32 v5, v3, s12
	v_mul_hi_u32 v7, s16, v3
	v_sub_u32_e32 v1, v1, v5
	v_add_u32_e32 v5, v3, v7
	v_lshrrev_b32_e32 v5, s17, v5
	v_mul_lo_u32 v9, v5, s15
	v_mul_hi_u32 v13, s19, v5
	v_sub_u32_e32 v3, v3, v9
	v_add_u32_e32 v9, v5, v13
	v_mul_lo_u32 v7, v1, s5
	v_mul_lo_u32 v1, v1, s4
	;; [unrolled: 1-line block ×4, first 2 shown]
	v_lshrrev_b32_e32 v9, s20, v9
	v_add3_u32 v3, v1, v6, v3
	v_add3_u32 v6, v7, v10, v13
	v_mul_lo_u32 v1, v9, s18
	v_mul_hi_u32 v7, s22, v9
	v_sub_u32_e32 v1, v5, v1
	v_add_u32_e32 v5, v9, v7
	v_mul_lo_u32 v7, v1, s8
	v_mul_lo_u32 v10, v1, s9
	v_lshrrev_b32_e32 v1, s23, v5
	s_add_i32 s3, s3, 4
	v_mul_lo_u32 v5, v1, s21
	s_add_u32 s24, s24, 32
	v_sub_u32_e32 v5, v9, v5
	s_addc_u32 s25, s25, 0
	v_mul_lo_u32 v9, v5, s10
	v_mul_lo_u32 v5, v5, s11
	s_cmp_lg_u32 s2, s3
	v_add3_u32 v10, v10, v6, v5
	v_add3_u32 v6, v7, v3, v9
	s_cbranch_scc1 .LBB8_64
; %bb.65:
	v_mov_b32_e32 v7, v10
	s_and_b32 s6, s28, 3
	s_cmp_eq_u32 s6, 0
	s_cbranch_scc0 .LBB8_69
.LBB8_66:
	s_cbranch_execz .LBB8_72
	s_branch .LBB8_74
.LBB8_67:
                                        ; implicit-def: $vgpr10
                                        ; implicit-def: $vgpr6
	s_branch .LBB8_72
.LBB8_68:
	s_mov_b32 s3, s2
	v_mov_b64_e32 v[6:7], s[2:3]
                                        ; implicit-def: $vgpr10
	v_mov_b32_e32 v1, v11
	s_and_b32 s6, s28, 3
	s_cmp_eq_u32 s6, 0
	s_cbranch_scc1 .LBB8_66
.LBB8_69:
	s_lshl_b32 s3, s2, 3
	s_add_u32 s3, s3, s0
	s_addc_u32 s5, 0, s1
	s_add_u32 s4, s3, 0xc4
	s_addc_u32 s5, s5, 0
	s_mul_i32 s2, s2, 12
	s_add_u32 s2, s0, s2
	s_addc_u32 s3, 0, s1
.LBB8_70:                               ; =>This Inner Loop Header: Depth=1
	s_load_dwordx2 s[8:9], s[2:3], 0x4
	s_load_dword s7, s[2:3], 0xc
	s_load_dwordx2 s[10:11], s[4:5], 0x0
	s_add_u32 s2, s2, 12
	s_addc_u32 s3, s3, 0
	s_waitcnt lgkmcnt(0)
	v_mul_hi_u32 v3, s9, v1
	v_add_u32_e32 v3, v1, v3
	v_lshrrev_b32_e32 v3, s7, v3
	v_mul_lo_u32 v5, v3, s8
	v_mov_b32_e32 v10, v7
	s_add_u32 s4, s4, 8
	v_sub_u32_e32 v5, v1, v5
	s_addc_u32 s5, s5, 0
	s_add_i32 s6, s6, -1
	v_mad_u64_u32 v[16:17], s[8:9], v5, s11, v[10:11]
	v_mad_u64_u32 v[6:7], s[8:9], v5, s10, v[6:7]
	s_cmp_lg_u32 s6, 0
	v_mov_b32_e32 v1, v3
	v_mov_b32_e32 v7, v16
	s_cbranch_scc1 .LBB8_70
; %bb.71:
	v_mov_b32_e32 v10, v7
	s_cbranch_execnz .LBB8_74
.LBB8_72:
	s_load_dwordx4 s[4:7], s[0:1], 0x4
	s_load_dwordx2 s[2:3], s[0:1], 0xc4
	s_cmp_lt_u32 s33, 2
	s_waitcnt lgkmcnt(0)
	v_mul_hi_u32 v1, s5, v11
	v_add_u32_e32 v1, v11, v1
	v_lshrrev_b32_e32 v1, s6, v1
	v_mul_lo_u32 v3, v1, s4
	v_sub_u32_e32 v3, v11, v3
	v_mul_lo_u32 v10, v3, s3
	v_mul_lo_u32 v6, v3, s2
	s_cbranch_scc1 .LBB8_74
; %bb.73:
	s_load_dwordx4 s[4:7], s[0:1], 0x10
	s_load_dwordx2 s[2:3], s[0:1], 0xcc
	s_waitcnt lgkmcnt(0)
	v_mul_hi_u32 v3, s5, v1
	v_add_u32_e32 v3, v1, v3
	v_lshrrev_b32_e32 v3, s6, v3
	v_mul_lo_u32 v3, v3, s4
	v_sub_u32_e32 v1, v1, v3
	v_mad_u64_u32 v[6:7], s[4:5], v1, s2, v[6:7]
	v_mad_u64_u32 v[10:11], s[2:3], v1, s3, v[10:11]
.LBB8_74:
	s_load_dwordx4 s[4:7], s[0:1], 0x148
	s_mov_b32 s0, 0
	s_mov_b32 s1, 0x40140000
	s_waitcnt lgkmcnt(0)
	global_load_dwordx2 v[16:17], v8, s[6:7]
                                        ; implicit-def: $vgpr8_vgpr9
	s_waitcnt vmcnt(0)
	v_cmp_ge_f64_e32 vcc, s[0:1], v[16:17]
	s_and_saveexec_b64 s[0:1], vcc
	s_xor_b64 s[0:1], exec, s[0:1]
	s_cbranch_execz .LBB8_84
; %bb.75:
	v_mov_b32_e32 v8, 0
	v_cmp_neq_f64_e32 vcc, 0, v[16:17]
	v_mov_b32_e32 v9, 0xfff00000
	s_and_saveexec_b64 s[2:3], vcc
	s_cbranch_execz .LBB8_83
; %bb.76:
	v_mov_b32_e32 v8, 0
	v_cmp_ngt_f64_e32 vcc, 0, v[16:17]
	v_mov_b32_e32 v9, 0x7ff80000
	s_and_saveexec_b64 s[8:9], vcc
	s_cbranch_execz .LBB8_82
; %bb.77:
	s_mov_b32 s10, 0x88e368f1
	v_mul_f64 v[8:9], v[16:17], v[16:17]
	s_mov_b32 s11, 0x3ee4f8b5
	v_mul_f64 v[20:21], v[8:9], 0
	v_cmp_ngt_f64_e32 vcc, s[10:11], v[16:17]
                                        ; implicit-def: $vgpr18_vgpr19
	s_and_saveexec_b64 s[10:11], vcc
	s_xor_b64 s[10:11], exec, s[10:11]
	s_cbranch_execz .LBB8_79
; %bb.78:
	s_mov_b32 s12, 0xad1c8325
	s_mov_b32 s13, 0xc1f1dc53
	v_add_f64 v[18:19], v[20:21], s[12:13]
	v_mov_b32_e32 v22, 0xc772990d
	v_mov_b32_e32 v23, 0x427c7751
	s_mov_b32 s12, 0xa696b78c
	v_fmac_f64_e32 v[22:23], v[8:9], v[18:19]
	v_mov_b32_e32 v18, 0xe0d900f7
	v_mov_b32_e32 v19, 0xc2ec5614
	s_mov_b32 s13, 0x407f3902
	v_fmac_f64_e32 v[18:19], v[8:9], v[22:23]
	v_add_f64 v[22:23], v[20:21], s[12:13]
	v_mov_b32_e32 v24, 0x36a21a67
	v_mov_b32_e32 v25, 0x410536cb
	v_fmac_f64_e32 v[24:25], v[8:9], v[22:23]
	v_mov_b32_e32 v22, 0x2eac0634
	v_mov_b32_e32 v23, 0x41871934
	v_fmac_f64_e32 v[22:23], v[8:9], v[24:25]
	;; [unrolled: 3-line block ×6, first 2 shown]
	v_mov_b32_e32 v24, 0xc7b662cc
	v_mov_b32_e32 v25, 0x43b7be34
	s_mov_b32 s12, 0x80462bbb
	v_fmac_f64_e32 v[24:25], v[8:9], v[22:23]
	v_mov_b32_e32 v22, 0x69ff5fb4
	v_mov_b32_e32 v23, 0x43413ef8
	s_mov_b32 s13, 0xc01721fb
	v_fmac_f64_e32 v[22:23], v[8:9], v[18:19]
	v_add_f64 v[18:19], v[8:9], s[12:13]
	s_mov_b32 s12, 0xa621dd6f
	s_mov_b32 s13, 0xc03e78a4
	v_add_f64 v[26:27], v[8:9], s[12:13]
	v_mul_f64 v[18:19], v[18:19], v[26:27]
	v_mul_f64 v[18:19], v[18:19], v[22:23]
	v_div_scale_f64 v[22:23], s[12:13], v[24:25], v[24:25], v[18:19]
	v_rcp_f64_e32 v[26:27], v[22:23]
	s_nop 0
	v_fma_f64 v[28:29], -v[22:23], v[26:27], 1.0
	v_fmac_f64_e32 v[26:27], v[26:27], v[28:29]
	v_fma_f64 v[28:29], -v[22:23], v[26:27], 1.0
	v_fmac_f64_e32 v[26:27], v[26:27], v[28:29]
	v_div_scale_f64 v[28:29], vcc, v[18:19], v[24:25], v[18:19]
	v_mul_f64 v[30:31], v[28:29], v[26:27]
	v_fma_f64 v[22:23], -v[22:23], v[30:31], v[28:29]
	s_nop 1
	v_div_fmas_f64 v[22:23], v[22:23], v[26:27], v[30:31]
	v_div_fixup_f64 v[18:19], v[22:23], v[24:25], v[18:19]
.LBB8_79:
	s_andn2_saveexec_b64 s[10:11], s[10:11]
; %bb.80:
	s_mov_b32 s12, 0
	s_mov_b32 s13, 0xbfd00000
	v_fma_f64 v[18:19], v[8:9], s[12:13], 1.0
; %bb.81:
	s_or_b64 exec, exec, s[10:11]
	s_mov_b32 s10, 0xe896898f
	s_mov_b32 s11, 0x40ce7437
	v_add_f64 v[22:23], v[20:21], s[10:11]
	v_mov_b32_e32 v24, 0x32e48896
	v_mov_b32_e32 v25, 0xc16bf81f
	v_fmac_f64_e32 v[24:25], v[8:9], v[22:23]
	v_mov_b32_e32 v22, 0xf0284cdd
	v_mov_b32_e32 v23, 0x41f43f78
	v_fmac_f64_e32 v[22:23], v[8:9], v[24:25]
	;; [unrolled: 3-line block ×4, first 2 shown]
	v_mov_b32_e32 v24, 0xd1d8cc02
	v_mov_b32_e32 v25, 0xc328a121
	s_mov_b32 s10, 0x576dfcb6
	v_fmac_f64_e32 v[24:25], v[8:9], v[22:23]
	v_mov_b32_e32 v22, 0x660b4003
	v_mov_b32_e32 v23, 0x4363a94b
	s_mov_b32 s11, 0x40904522
	v_fmac_f64_e32 v[22:23], v[8:9], v[24:25]
	v_add_f64 v[20:21], v[20:21], s[10:11]
	v_mov_b32_e32 v24, 0xa907bc0c
	v_mov_b32_e32 v25, 0x41231b76
	v_fmac_f64_e32 v[24:25], v[8:9], v[20:21]
	v_mov_b32_e32 v20, 0x5164d101
	v_mov_b32_e32 v21, 0x41b00763
	v_fmac_f64_e32 v[20:21], v[8:9], v[24:25]
	;; [unrolled: 3-line block ×7, first 2 shown]
	v_div_scale_f64 v[8:9], s[10:11], v[20:21], v[20:21], v[24:25]
	v_rcp_f64_e32 v[22:23], v[8:9]
	s_mov_b32 s10, 0x55555555
	v_frexp_exp_i32_f64_e32 v1, v[16:17]
	v_frexp_mant_f64_e32 v[16:17], v[16:17]
	v_fma_f64 v[26:27], -v[8:9], v[22:23], 1.0
	v_fmac_f64_e32 v[22:23], v[22:23], v[26:27]
	v_fma_f64 v[26:27], -v[8:9], v[22:23], 1.0
	v_fmac_f64_e32 v[22:23], v[22:23], v[26:27]
	v_div_scale_f64 v[26:27], vcc, v[24:25], v[20:21], v[24:25]
	v_mul_f64 v[28:29], v[26:27], v[22:23]
	v_fma_f64 v[8:9], -v[8:9], v[28:29], v[26:27]
	s_mov_b32 s11, 0x3fe55555
	s_nop 0
	v_div_fmas_f64 v[8:9], v[8:9], v[22:23], v[28:29]
	v_mov_b32_e32 v3, 0x3ff00000
	v_cmp_gt_f64_e32 vcc, s[10:11], v[16:17]
	v_div_fixup_f64 v[8:9], v[8:9], v[20:21], v[24:25]
	v_mov_b32_e32 v20, 0
	v_cndmask_b32_e64 v21, v3, 2.0, vcc
	v_mul_f64 v[16:17], v[16:17], v[20:21]
	v_add_f64 v[20:21], v[16:17], 1.0
	v_rcp_f64_e32 v[22:23], v[20:21]
	v_add_f64 v[26:27], v[20:21], -1.0
	v_add_f64 v[24:25], v[16:17], -1.0
	v_add_f64 v[16:17], v[16:17], -v[26:27]
	v_fma_f64 v[26:27], -v[20:21], v[22:23], 1.0
	v_fmac_f64_e32 v[22:23], v[26:27], v[22:23]
	v_fma_f64 v[26:27], -v[20:21], v[22:23], 1.0
	v_fmac_f64_e32 v[22:23], v[26:27], v[22:23]
	v_mul_f64 v[26:27], v[24:25], v[22:23]
	v_mul_f64 v[28:29], v[20:21], v[26:27]
	v_fma_f64 v[20:21], v[26:27], v[20:21], -v[28:29]
	v_fmac_f64_e32 v[20:21], v[26:27], v[16:17]
	v_add_f64 v[16:17], v[28:29], v[20:21]
	v_add_f64 v[30:31], v[24:25], -v[16:17]
	v_add_f64 v[28:29], v[16:17], -v[28:29]
	;; [unrolled: 1-line block ×5, first 2 shown]
	v_add_f64 v[16:17], v[20:21], v[16:17]
	v_add_f64 v[16:17], v[30:31], v[16:17]
	v_mul_f64 v[16:17], v[22:23], v[16:17]
	v_add_f64 v[20:21], v[26:27], v[16:17]
	v_add_f64 v[22:23], v[20:21], -v[26:27]
	s_mov_b32 s10, 0xbf559e2b
	v_add_f64 v[16:17], v[16:17], -v[22:23]
	v_mul_f64 v[22:23], v[20:21], v[20:21]
	v_mov_b32_e32 v24, 0x6b47b09a
	v_mov_b32_e32 v25, 0x3fc38538
	s_mov_b32 s11, 0x3fc3ab76
	v_fmac_f64_e32 v[24:25], s[10:11], v[22:23]
	v_mov_b32_e32 v26, 0xd7f4df2e
	v_mov_b32_e32 v27, 0x3fc7474d
	v_fmac_f64_e32 v[26:27], v[22:23], v[24:25]
	v_mov_b32_e32 v24, 0x16291751
	v_mov_b32_e32 v25, 0x3fcc71c0
	;; [unrolled: 3-line block ×5, first 2 shown]
	v_fmac_f64_e32 v[26:27], v[22:23], v[24:25]
	v_ldexp_f64 v[24:25], v[20:21], 1
	v_mul_f64 v[20:21], v[20:21], v[22:23]
	v_mul_f64 v[20:21], v[20:21], v[26:27]
	v_add_f64 v[22:23], v[24:25], v[20:21]
	v_add_f64 v[24:25], v[22:23], -v[24:25]
	v_ldexp_f64 v[16:17], v[16:17], 1
	v_add_f64 v[20:21], v[20:21], -v[24:25]
	v_add_f64 v[16:17], v[16:17], v[20:21]
	v_add_f64 v[20:21], v[22:23], v[16:17]
	v_subbrev_co_u32_e32 v1, vcc, 0, v1, vcc
	v_add_f64 v[22:23], v[20:21], -v[22:23]
	s_mov_b32 s10, 0xfefa39ef
	v_add_f64 v[16:17], v[16:17], -v[22:23]
	v_cvt_f64_i32_e32 v[22:23], v1
	s_mov_b32 s11, 0x3fe62e42
	v_mul_f64 v[24:25], v[22:23], s[10:11]
	v_fma_f64 v[26:27], v[22:23], s[10:11], -v[24:25]
	s_mov_b32 s10, 0x3b39803f
	s_mov_b32 s11, 0x3c7abc9e
	v_fmac_f64_e32 v[26:27], s[10:11], v[22:23]
	v_add_f64 v[22:23], v[24:25], v[26:27]
	v_add_f64 v[24:25], v[22:23], -v[24:25]
	v_add_f64 v[24:25], v[26:27], -v[24:25]
	v_add_f64 v[26:27], v[22:23], v[20:21]
	v_add_f64 v[28:29], v[26:27], -v[22:23]
	v_add_f64 v[30:31], v[26:27], -v[28:29]
	;; [unrolled: 1-line block ×4, first 2 shown]
	v_add_f64 v[20:21], v[20:21], v[22:23]
	v_add_f64 v[22:23], v[24:25], v[16:17]
	v_add_f64 v[28:29], v[22:23], -v[24:25]
	v_add_f64 v[30:31], v[22:23], -v[28:29]
	v_add_f64 v[20:21], v[22:23], v[20:21]
	v_add_f64 v[24:25], v[24:25], -v[30:31]
	v_add_f64 v[16:17], v[16:17], -v[28:29]
	v_add_f64 v[22:23], v[26:27], v[20:21]
	v_add_f64 v[16:17], v[16:17], v[24:25]
	v_add_f64 v[24:25], v[22:23], -v[26:27]
	v_add_f64 v[20:21], v[20:21], -v[24:25]
	v_add_f64 v[16:17], v[16:17], v[20:21]
	s_mov_b32 s10, 0x6dc9c883
	v_add_f64 v[16:17], v[22:23], v[16:17]
	s_mov_b32 s11, 0x3fe45f30
	v_mul_f64 v[16:17], v[16:17], s[10:11]
	v_fmac_f64_e32 v[8:9], v[16:17], v[18:19]
.LBB8_82:
	s_or_b64 exec, exec, s[8:9]
.LBB8_83:
	s_or_b64 exec, exec, s[2:3]
                                        ; implicit-def: $vgpr16_vgpr17
.LBB8_84:
	s_andn2_saveexec_b64 s[2:3], s[0:1]
	s_cbranch_execz .LBB8_94
; %bb.85:
	s_mov_b32 s11, 0xbfe921fb
	s_mov_b32 s10, 0x54442d18
	;; [unrolled: 1-line block ×3, first 2 shown]
	v_add_f64 v[8:9], v[16:17], s[10:11]
	s_mov_b32 s1, 0x41d00000
	v_cmp_nlt_f64_e64 s[8:9], |v[8:9]|, s[0:1]
	v_trig_preop_f64 v[30:31], |v[8:9]|, 0
	v_trig_preop_f64 v[28:29], |v[8:9]|, 1
	;; [unrolled: 1-line block ×3, first 2 shown]
                                        ; implicit-def: $vgpr1
                                        ; implicit-def: $vgpr18_vgpr19
                                        ; implicit-def: $vgpr20_vgpr21
	s_and_saveexec_b64 s[0:1], s[8:9]
	s_xor_b64 s[12:13], exec, s[0:1]
	s_cbranch_execz .LBB8_87
; %bb.86:
	s_mov_b32 s0, 0
	s_mov_b32 s1, 0x7b000000
	s_movk_i32 s11, 0xff80
	v_and_b32_e32 v1, 0x7fffffff, v9
	v_ldexp_f64 v[18:19], |v[8:9]|, s11
	v_cmp_ge_f64_e64 vcc, |v[8:9]|, s[0:1]
	s_mov_b32 s0, 0
	s_mov_b32 s1, 0x7ff00000
	v_cndmask_b32_e32 v19, v1, v19, vcc
	v_cndmask_b32_e32 v18, v8, v18, vcc
	v_mul_f64 v[22:23], v[30:31], v[18:19]
	v_mul_f64 v[20:21], v[28:29], v[18:19]
	v_fma_f64 v[24:25], v[30:31], v[18:19], -v[22:23]
	v_add_f64 v[32:33], v[20:21], v[24:25]
	v_add_f64 v[34:35], v[22:23], v[32:33]
	v_ldexp_f64 v[36:37], v[34:35], -2
	v_fract_f64_e32 v[38:39], v[36:37]
	v_cmp_neq_f64_e64 vcc, |v[36:37]|, s[0:1]
	v_add_f64 v[22:23], v[34:35], -v[22:23]
	v_add_f64 v[22:23], v[32:33], -v[22:23]
	v_cndmask_b32_e32 v37, 0, v39, vcc
	v_cndmask_b32_e32 v36, 0, v38, vcc
	v_add_f64 v[38:39], v[32:33], -v[20:21]
	v_add_f64 v[24:25], v[24:25], -v[38:39]
	;; [unrolled: 1-line block ×4, first 2 shown]
	v_add_f64 v[24:25], v[24:25], v[38:39]
	v_fma_f64 v[20:21], v[28:29], v[18:19], -v[20:21]
	v_mul_f64 v[38:39], v[26:27], v[18:19]
	v_add_f64 v[42:43], v[38:39], v[20:21]
	v_add_f64 v[44:45], v[42:43], v[24:25]
	v_add_f64 v[34:35], v[44:45], -v[42:43]
	v_add_f64 v[24:25], v[24:25], -v[34:35]
	;; [unrolled: 1-line block ×4, first 2 shown]
	v_add_f64 v[24:25], v[24:25], v[34:35]
	v_add_f64 v[34:35], v[42:43], -v[38:39]
	v_add_f64 v[20:21], v[20:21], -v[34:35]
	;; [unrolled: 1-line block ×4, first 2 shown]
	v_add_f64 v[32:33], v[22:23], v[44:45]
	v_add_f64 v[20:21], v[20:21], v[34:35]
	v_add_f64 v[22:23], v[32:33], -v[22:23]
	v_add_f64 v[20:21], v[20:21], v[24:25]
	v_fma_f64 v[18:19], v[26:27], v[18:19], -v[38:39]
	v_add_f64 v[22:23], v[44:45], -v[22:23]
	v_add_f64 v[18:19], v[18:19], v[20:21]
	v_ldexp_f64 v[20:21], v[36:37], 2
	v_add_f64 v[18:19], v[22:23], v[18:19]
	v_add_f64 v[22:23], v[32:33], v[20:21]
	v_mov_b32_e32 v1, 0x40100000
	v_cmp_gt_f64_e32 vcc, 0, v[22:23]
	v_mov_b32_e32 v40, 0
	v_mov_b32_e32 v3, 0x3ff00000
	v_cndmask_b32_e32 v41, 0, v1, vcc
	v_add_f64 v[20:21], v[20:21], v[40:41]
	v_add_f64 v[22:23], v[32:33], v[20:21]
	v_cvt_i32_f64_e32 v1, v[22:23]
	v_cvt_f64_i32_e32 v[22:23], v1
	v_add_f64 v[20:21], v[20:21], -v[22:23]
	v_add_f64 v[22:23], v[32:33], v[20:21]
	v_add_f64 v[20:21], v[22:23], -v[20:21]
	v_cmp_le_f64_e32 vcc, 0.5, v[22:23]
	v_add_f64 v[20:21], v[32:33], -v[20:21]
	v_add_f64 v[18:19], v[18:19], v[20:21]
	v_cndmask_b32_e32 v41, 0, v3, vcc
	v_add_f64 v[20:21], v[22:23], -v[40:41]
	v_add_f64 v[22:23], v[20:21], v[18:19]
	v_addc_co_u32_e64 v1, s[0:1], 0, v1, vcc
	v_add_f64 v[20:21], v[22:23], -v[20:21]
	s_mov_b32 s11, 0x3ff921fb
	v_add_f64 v[18:19], v[18:19], -v[20:21]
	v_mul_f64 v[20:21], v[22:23], s[10:11]
	s_mov_b32 s0, 0x33145c07
	v_fma_f64 v[24:25], v[22:23], s[10:11], -v[20:21]
	s_mov_b32 s1, 0x3c91a626
	v_fmac_f64_e32 v[24:25], s[0:1], v[22:23]
	v_fmac_f64_e32 v[24:25], s[10:11], v[18:19]
	v_add_f64 v[18:19], v[20:21], v[24:25]
	v_add_f64 v[20:21], v[18:19], -v[20:21]
	v_add_f64 v[20:21], v[24:25], -v[20:21]
	s_andn2_saveexec_b64 s[0:1], s[12:13]
	s_cbranch_execz .LBB8_89
	s_branch .LBB8_88
.LBB8_87:
	s_andn2_saveexec_b64 s[0:1], s[12:13]
	s_cbranch_execz .LBB8_89
.LBB8_88:
	s_mov_b32 s10, 0x6dc9c883
	s_mov_b32 s11, 0x3fe45f30
	v_mul_f64 v[18:19], |v[8:9]|, s[10:11]
	s_mov_b32 s10, 0x54442d18
	v_rndne_f64_e32 v[22:23], v[18:19]
	s_mov_b32 s11, 0xbff921fb
	v_fma_f64 v[18:19], v[22:23], s[10:11], |v[8:9]|
	s_mov_b32 s11, 0xbc91a626
	s_mov_b32 s10, 0x33145c00
	v_mul_f64 v[24:25], v[22:23], s[10:11]
	v_add_f64 v[34:35], v[18:19], v[24:25]
	v_fma_f64 v[20:21], s[10:11], v[22:23], v[18:19]
	s_mov_b32 s11, 0x3c91a626
	v_add_f64 v[18:19], v[18:19], -v[34:35]
	v_fma_f64 v[32:33], s[10:11], v[22:23], v[24:25]
	v_add_f64 v[18:19], v[18:19], v[24:25]
	v_add_f64 v[24:25], v[34:35], -v[20:21]
	v_add_f64 v[18:19], v[24:25], v[18:19]
	s_mov_b32 s10, 0x252049c0
	v_add_f64 v[24:25], v[18:19], -v[32:33]
	s_mov_b32 s11, 0xb97b839a
	v_fmac_f64_e32 v[24:25], s[10:11], v[22:23]
	v_add_f64 v[18:19], v[20:21], v[24:25]
	v_add_f64 v[20:21], v[18:19], -v[20:21]
	v_add_f64 v[20:21], v[24:25], -v[20:21]
	v_cvt_i32_f64_e32 v1, v[22:23]
.LBB8_89:
	s_or_b64 exec, exec, s[0:1]
                                        ; implicit-def: $vgpr3
                                        ; implicit-def: $vgpr22_vgpr23
                                        ; implicit-def: $vgpr24_vgpr25
	s_and_saveexec_b64 s[0:1], s[8:9]
	s_xor_b64 s[8:9], exec, s[0:1]
	s_cbranch_execz .LBB8_91
; %bb.90:
	s_mov_b32 s0, 0
	s_mov_b32 s1, 0x7b000000
	s_movk_i32 s10, 0xff80
	v_and_b32_e32 v3, 0x7fffffff, v9
	v_ldexp_f64 v[22:23], |v[8:9]|, s10
	v_cmp_ge_f64_e64 vcc, |v[8:9]|, s[0:1]
	s_mov_b32 s0, 0
	s_mov_b32 s1, 0x7ff00000
	v_cndmask_b32_e32 v23, v3, v23, vcc
	v_cndmask_b32_e32 v22, v8, v22, vcc
	v_mul_f64 v[32:33], v[30:31], v[22:23]
	v_mul_f64 v[24:25], v[28:29], v[22:23]
	v_fma_f64 v[30:31], v[30:31], v[22:23], -v[32:33]
	v_add_f64 v[34:35], v[24:25], v[30:31]
	v_add_f64 v[36:37], v[32:33], v[34:35]
	v_ldexp_f64 v[38:39], v[36:37], -2
	v_fract_f64_e32 v[40:41], v[38:39]
	v_cmp_neq_f64_e64 vcc, |v[38:39]|, s[0:1]
	v_add_f64 v[32:33], v[36:37], -v[32:33]
	v_add_f64 v[32:33], v[34:35], -v[32:33]
	v_cndmask_b32_e32 v39, 0, v41, vcc
	v_cndmask_b32_e32 v38, 0, v40, vcc
	v_add_f64 v[40:41], v[34:35], -v[24:25]
	v_add_f64 v[30:31], v[30:31], -v[40:41]
	;; [unrolled: 1-line block ×4, first 2 shown]
	v_fma_f64 v[24:25], v[28:29], v[22:23], -v[24:25]
	v_mul_f64 v[28:29], v[26:27], v[22:23]
	v_add_f64 v[30:31], v[30:31], v[40:41]
	v_add_f64 v[40:41], v[28:29], v[24:25]
	;; [unrolled: 1-line block ×3, first 2 shown]
	v_add_f64 v[36:37], v[44:45], -v[40:41]
	v_add_f64 v[30:31], v[30:31], -v[36:37]
	;; [unrolled: 1-line block ×4, first 2 shown]
	v_add_f64 v[30:31], v[30:31], v[36:37]
	v_add_f64 v[36:37], v[40:41], -v[28:29]
	v_add_f64 v[24:25], v[24:25], -v[36:37]
	;; [unrolled: 1-line block ×4, first 2 shown]
	v_add_f64 v[24:25], v[24:25], v[36:37]
	v_add_f64 v[24:25], v[24:25], v[30:31]
	v_fma_f64 v[22:23], v[26:27], v[22:23], -v[28:29]
	v_add_f64 v[34:35], v[32:33], v[44:45]
	v_add_f64 v[22:23], v[22:23], v[24:25]
	v_ldexp_f64 v[24:25], v[38:39], 2
	v_add_f64 v[26:27], v[34:35], v[24:25]
	v_mov_b32_e32 v3, 0x40100000
	v_cmp_gt_f64_e32 vcc, 0, v[26:27]
	v_mov_b32_e32 v42, 0
	v_add_f64 v[32:33], v[34:35], -v[32:33]
	v_cndmask_b32_e32 v43, 0, v3, vcc
	v_add_f64 v[24:25], v[24:25], v[42:43]
	v_add_f64 v[26:27], v[34:35], v[24:25]
	v_cvt_i32_f64_e32 v3, v[26:27]
	v_cvt_f64_i32_e32 v[26:27], v3
	v_add_f64 v[24:25], v[24:25], -v[26:27]
	v_add_f64 v[26:27], v[34:35], v[24:25]
	v_add_f64 v[32:33], v[44:45], -v[32:33]
	v_add_f64 v[24:25], v[26:27], -v[24:25]
	v_cmp_le_f64_e32 vcc, 0.5, v[26:27]
	v_mov_b32_e32 v5, 0x3ff00000
	v_add_f64 v[22:23], v[32:33], v[22:23]
	v_add_f64 v[24:25], v[34:35], -v[24:25]
	v_cndmask_b32_e32 v43, 0, v5, vcc
	v_add_f64 v[22:23], v[22:23], v[24:25]
	v_addc_co_u32_e64 v3, s[0:1], 0, v3, vcc
	v_add_f64 v[24:25], v[26:27], -v[42:43]
	v_add_f64 v[26:27], v[24:25], v[22:23]
	s_mov_b32 s0, 0x54442d18
	v_add_f64 v[24:25], v[26:27], -v[24:25]
	s_mov_b32 s1, 0x3ff921fb
	v_add_f64 v[22:23], v[22:23], -v[24:25]
	v_mul_f64 v[24:25], v[26:27], s[0:1]
	s_mov_b32 s10, 0x33145c07
	v_fma_f64 v[28:29], v[26:27], s[0:1], -v[24:25]
	s_mov_b32 s11, 0x3c91a626
	v_fmac_f64_e32 v[28:29], s[10:11], v[26:27]
	v_fmac_f64_e32 v[28:29], s[0:1], v[22:23]
	v_add_f64 v[22:23], v[24:25], v[28:29]
	v_add_f64 v[24:25], v[22:23], -v[24:25]
	v_add_f64 v[24:25], v[28:29], -v[24:25]
	s_andn2_saveexec_b64 s[0:1], s[8:9]
	s_cbranch_execnz .LBB8_92
	s_branch .LBB8_93
.LBB8_91:
	s_andn2_saveexec_b64 s[0:1], s[8:9]
	s_cbranch_execz .LBB8_93
.LBB8_92:
	s_mov_b32 s8, 0x6dc9c883
	s_mov_b32 s9, 0x3fe45f30
	v_mul_f64 v[22:23], |v[8:9]|, s[8:9]
	s_mov_b32 s8, 0x54442d18
	v_rndne_f64_e32 v[26:27], v[22:23]
	s_mov_b32 s9, 0xbff921fb
	v_fma_f64 v[22:23], v[26:27], s[8:9], |v[8:9]|
	s_mov_b32 s9, 0xbc91a626
	s_mov_b32 s8, 0x33145c00
	v_mul_f64 v[28:29], v[26:27], s[8:9]
	v_add_f64 v[32:33], v[22:23], v[28:29]
	v_fma_f64 v[24:25], s[8:9], v[26:27], v[22:23]
	s_mov_b32 s9, 0x3c91a626
	v_add_f64 v[22:23], v[22:23], -v[32:33]
	v_fma_f64 v[30:31], s[8:9], v[26:27], v[28:29]
	v_add_f64 v[22:23], v[22:23], v[28:29]
	v_add_f64 v[28:29], v[32:33], -v[24:25]
	v_add_f64 v[22:23], v[28:29], v[22:23]
	s_mov_b32 s8, 0x252049c0
	v_add_f64 v[28:29], v[22:23], -v[30:31]
	s_mov_b32 s9, 0xb97b839a
	v_fmac_f64_e32 v[28:29], s[8:9], v[26:27]
	v_add_f64 v[22:23], v[24:25], v[28:29]
	v_add_f64 v[24:25], v[22:23], -v[24:25]
	v_add_f64 v[24:25], v[28:29], -v[24:25]
	v_cvt_i32_f64_e32 v3, v[26:27]
.LBB8_93:
	s_or_b64 exec, exec, s[0:1]
	s_mov_b32 s0, 0
	v_mul_f64 v[26:27], v[16:17], v[16:17]
	s_mov_b32 s1, 0x40390000
	v_div_scale_f64 v[28:29], s[8:9], v[26:27], v[26:27], s[0:1]
	v_rcp_f64_e32 v[30:31], v[28:29]
	v_mov_b32_e32 v36, 0x55b218cd
	v_mov_b32_e32 v37, 0xc049b48c
	s_mov_b32 s8, 0x46cc5e42
	v_fma_f64 v[32:33], -v[28:29], v[30:31], 1.0
	v_fmac_f64_e32 v[30:31], v[30:31], v[32:33]
	v_fma_f64 v[32:33], -v[28:29], v[30:31], 1.0
	v_fmac_f64_e32 v[30:31], v[30:31], v[32:33]
	v_div_scale_f64 v[32:33], vcc, s[0:1], v[26:27], s[0:1]
	v_mul_f64 v[34:35], v[32:33], v[30:31]
	v_fma_f64 v[28:29], -v[28:29], v[34:35], v[32:33]
	v_mov_b32_e32 v32, 0xab5454e3
	s_nop 0
	v_div_fmas_f64 v[28:29], v[28:29], v[30:31], v[34:35]
	v_div_fixup_f64 v[28:29], v[28:29], v[26:27], s[0:1]
	v_mov_b32_e32 v26, 0x983b6b27
	v_mov_b32_e32 v27, 0x3f4a1d30
	v_fmac_f64_e32 v[26:27], 0, v[28:29]
	v_mov_b32_e32 v30, 0xb35dd1cf
	v_mov_b32_e32 v31, 0x3fb534b0
	v_fmac_f64_e32 v[30:31], v[28:29], v[26:27]
	;; [unrolled: 3-line block ×7, first 2 shown]
	v_mov_b32_e32 v33, 0x3fb5ebc5
	v_fmac_f64_e32 v[32:33], v[28:29], v[26:27]
	v_mov_b32_e32 v26, 0xc9b3069f
	v_mov_b32_e32 v27, 0x3ff40e72
	v_fmac_f64_e32 v[26:27], v[28:29], v[32:33]
	v_mov_b32_e32 v32, 0xe68162bb
	;; [unrolled: 3-line block ×10, first 2 shown]
	v_mov_b32_e32 v35, 0xc062627a
	v_fmac_f64_e32 v[34:35], v[28:29], v[26:27]
	v_fmac_f64_e32 v[36:37], v[28:29], v[34:35]
	v_mov_b32_e32 v26, 0xd1b9a1dd
	v_mov_b32_e32 v27, 0xc0183358
	;; [unrolled: 1-line block ×4, first 2 shown]
	v_fmac_f64_e32 v[26:27], v[28:29], v[36:37]
	v_fmac_f64_e32 v[34:35], 0, v[28:29]
	v_mov_b32_e32 v36, 0xb1759c7f
	v_mov_b32_e32 v37, 0x408ac370
	v_fmac_f64_e32 v[36:37], v[28:29], v[34:35]
	v_mov_b32_e32 v34, 0xbd748cb5
	v_mov_b32_e32 v35, 0x40ae54cd
	;; [unrolled: 3-line block ×5, first 2 shown]
	v_fma_f64 v[32:33], v[28:29], v[32:33], 1.0
	v_fmac_f64_e32 v[36:37], v[28:29], v[34:35]
	v_fma_f64 v[34:35], v[28:29], v[30:31], 1.0
	v_div_scale_f64 v[38:39], s[0:1], v[32:33], v[32:33], v[34:35]
	v_rcp_f64_e32 v[40:41], v[38:39]
	v_mov_b32_e32 v30, 0x6280a54
	v_mov_b32_e32 v31, 0x406e402f
	v_fmac_f64_e32 v[30:31], v[28:29], v[36:37]
	v_fma_f64 v[28:29], -v[38:39], v[40:41], 1.0
	v_fmac_f64_e32 v[40:41], v[40:41], v[28:29]
	v_fma_f64 v[28:29], -v[38:39], v[40:41], 1.0
	v_fmac_f64_e32 v[40:41], v[40:41], v[28:29]
	v_div_scale_f64 v[28:29], vcc, v[34:35], v[32:33], v[34:35]
	v_mul_f64 v[36:37], v[28:29], v[40:41]
	v_fma_f64 v[28:29], -v[38:39], v[36:37], v[28:29]
	s_mov_b32 s0, 0x9037ab78
	s_nop 0
	v_div_fmas_f64 v[28:29], v[28:29], v[40:41], v[36:37]
	v_div_fixup_f64 v[28:29], v[28:29], v[32:33], v[34:35]
	v_mul_f64 v[34:35], v[18:19], v[18:19]
	v_mul_f64 v[32:33], v[34:35], 0.5
	v_add_f64 v[36:37], -v[32:33], 1.0
	v_add_f64 v[38:39], -v[36:37], 1.0
	s_mov_b32 s1, 0x3e21eeb6
	v_add_f64 v[38:39], v[38:39], -v[32:33]
	s_mov_b32 s9, 0xbda907db
	v_mov_b64_e32 v[32:33], s[0:1]
	s_mov_b32 s10, 0xa17f65f6
	v_fma_f64 v[42:43], s[8:9], v[34:35], v[32:33]
	s_mov_b32 s11, 0xbe927e4f
	s_mov_b32 s12, 0x19f4ec90
	v_fma_f64 v[42:43], v[34:35], v[42:43], s[10:11]
	s_mov_b32 s13, 0x3efa01a0
	;; [unrolled: 3-line block ×4, first 2 shown]
	v_mul_f64 v[40:41], v[34:35], v[34:35]
	v_fma_f64 v[42:43], v[34:35], v[42:43], s[16:17]
	v_fma_f64 v[38:39], v[18:19], -v[20:21], v[38:39]
	s_mov_b32 s0, 0xb42fdfa7
	v_fmac_f64_e32 v[38:39], v[40:41], v[42:43]
	s_mov_b32 s1, 0xbe5ae600
	s_mov_b32 s18, 0xf9a43bb8
	v_add_f64 v[36:37], v[36:37], v[38:39]
	s_mov_b32 s19, 0x3de5e0b2
	v_mov_b64_e32 v[38:39], s[0:1]
	s_mov_b32 s20, 0x796cde01
	v_fma_f64 v[40:41], s[18:19], v[34:35], v[38:39]
	s_mov_b32 s21, 0x3ec71de3
	s_mov_b32 s22, 0x19e83e5c
	v_fma_f64 v[40:41], v[34:35], v[40:41], s[20:21]
	s_mov_b32 s23, 0xbf2a01a0
	;; [unrolled: 3-line block ×3, first 2 shown]
	v_fma_f64 v[40:41], v[34:35], v[40:41], s[24:25]
	v_mul_f64 v[42:43], v[18:19], -v[34:35]
	v_mul_f64 v[44:45], v[20:21], 0.5
	v_fmac_f64_e32 v[44:45], v[42:43], v[40:41]
	v_fma_f64 v[20:21], v[34:35], v[44:45], -v[20:21]
	s_mov_b32 s27, 0xbfc55555
	s_mov_b32 s26, s16
	v_fmac_f64_e32 v[20:21], s[26:27], v[42:43]
	v_and_b32_e32 v5, 1, v1
	s_mov_b32 s28, 0
	v_add_f64 v[18:19], v[18:19], -v[20:21]
	v_cmp_eq_u32_e32 vcc, 0, v5
	s_mov_b32 s29, 0x40140000
	s_movk_i32 s30, 0x1f8
	v_cndmask_b32_e32 v5, v36, v18, vcc
	v_cndmask_b32_e32 v7, v37, v19, vcc
	v_div_scale_f64 v[18:19], s[0:1], v[16:17], v[16:17], s[28:29]
	v_rcp_f64_e32 v[20:21], v[18:19]
	v_cmp_class_f64_e64 s[0:1], v[8:9], s30
	v_lshlrev_b32_e32 v1, 30, v1
	v_xor_b32_e32 v1, v1, v9
	v_fma_f64 v[34:35], -v[18:19], v[20:21], 1.0
	v_fmac_f64_e32 v[20:21], v[20:21], v[34:35]
	v_fma_f64 v[34:35], -v[18:19], v[20:21], 1.0
	v_fmac_f64_e32 v[20:21], v[20:21], v[34:35]
	v_div_scale_f64 v[34:35], vcc, s[28:29], v[16:17], s[28:29]
	v_mul_f64 v[36:37], v[34:35], v[20:21]
	v_fma_f64 v[18:19], -v[18:19], v[36:37], v[34:35]
	v_div_scale_f64 v[34:35], s[30:31], v[30:31], v[30:31], v[26:27]
	v_rcp_f64_e32 v[40:41], v[34:35]
	v_div_fmas_f64 v[18:19], v[18:19], v[20:21], v[36:37]
	v_div_fixup_f64 v[18:19], v[18:19], v[16:17], s[28:29]
	v_and_b32_e32 v1, 0x80000000, v1
	v_fma_f64 v[20:21], -v[34:35], v[40:41], 1.0
	v_fmac_f64_e32 v[40:41], v[40:41], v[20:21]
	v_fma_f64 v[20:21], -v[34:35], v[40:41], 1.0
	v_fmac_f64_e32 v[40:41], v[40:41], v[20:21]
	v_div_scale_f64 v[20:21], vcc, v[26:27], v[30:31], v[26:27]
	v_mul_f64 v[36:37], v[20:21], v[40:41]
	v_fma_f64 v[20:21], -v[34:35], v[36:37], v[20:21]
	v_xor_b32_e32 v1, v7, v1
	s_nop 0
	v_div_fmas_f64 v[20:21], v[20:21], v[40:41], v[36:37]
	v_div_fixup_f64 v[20:21], v[20:21], v[30:31], v[26:27]
	v_mul_f64 v[18:19], v[18:19], v[20:21]
	v_mul_f64 v[20:21], v[22:23], v[22:23]
	v_mul_f64 v[26:27], v[20:21], 0.5
	v_fmac_f64_e32 v[32:33], s[8:9], v[20:21]
	v_add_f64 v[30:31], -v[26:27], 1.0
	v_fma_f64 v[32:33], v[20:21], v[32:33], s[10:11]
	v_add_f64 v[34:35], -v[30:31], 1.0
	v_fma_f64 v[32:33], v[20:21], v[32:33], s[12:13]
	v_add_f64 v[26:27], v[34:35], -v[26:27]
	v_fma_f64 v[32:33], v[20:21], v[32:33], s[14:15]
	v_mul_f64 v[34:35], v[20:21], v[20:21]
	v_fma_f64 v[32:33], v[20:21], v[32:33], s[16:17]
	v_fma_f64 v[26:27], v[22:23], -v[24:25], v[26:27]
	v_fmac_f64_e32 v[26:27], v[34:35], v[32:33]
	v_fmac_f64_e32 v[38:39], s[18:19], v[20:21]
	v_add_f64 v[26:27], v[30:31], v[26:27]
	v_fma_f64 v[30:31], v[20:21], v[38:39], s[20:21]
	v_fma_f64 v[30:31], v[20:21], v[30:31], s[22:23]
	v_fma_f64 v[30:31], v[20:21], v[30:31], s[24:25]
	v_mul_f64 v[32:33], v[22:23], -v[20:21]
	v_mul_f64 v[34:35], v[24:25], 0.5
	v_fmac_f64_e32 v[34:35], v[32:33], v[30:31]
	v_fma_f64 v[20:21], v[20:21], v[34:35], -v[24:25]
	v_fmac_f64_e32 v[20:21], s[26:27], v[32:33]
	v_cndmask_b32_e64 v8, 0, v5, s[0:1]
	v_mov_b32_e32 v5, 0x7ff80000
	v_add_f64 v[20:21], v[22:23], -v[20:21]
	v_and_b32_e32 v7, 1, v3
	v_cndmask_b32_e64 v9, v5, v1, s[0:1]
	v_xor_b32_e32 v1, 0x80000000, v21
	v_cmp_eq_u32_e32 vcc, 0, v7
	v_lshlrev_b32_e32 v3, 30, v3
	v_and_b32_e32 v3, 0x80000000, v3
	v_cndmask_b32_e32 v1, v1, v27, vcc
	v_cndmask_b32_e32 v7, v20, v26, vcc
	v_xor_b32_e32 v1, v1, v3
	v_cndmask_b32_e64 v20, 0, v7, s[0:1]
	v_cndmask_b32_e64 v21, v5, v1, s[0:1]
	s_mov_b32 s0, 0
	s_brev_b32 s1, 8
	v_cmp_gt_f64_e32 vcc, s[0:1], v[16:17]
	v_mul_f64 v[18:19], v[18:19], v[20:21]
	v_fmac_f64_e32 v[18:19], v[28:29], v[8:9]
	v_cndmask_b32_e64 v1, 0, 1, vcc
	v_lshlrev_b32_e32 v1, 8, v1
	v_ldexp_f64 v[8:9], v[16:17], v1
	v_rsq_f64_e32 v[16:17], v[8:9]
	v_mov_b32_e32 v1, 0xffffff80
	v_cndmask_b32_e32 v1, 0, v1, vcc
	s_mov_b32 s0, 0x33d43651
	v_mul_f64 v[20:21], v[8:9], v[16:17]
	v_mul_f64 v[16:17], v[16:17], 0.5
	v_fma_f64 v[22:23], -v[16:17], v[20:21], 0.5
	v_fmac_f64_e32 v[20:21], v[20:21], v[22:23]
	v_fma_f64 v[24:25], -v[20:21], v[20:21], v[8:9]
	v_fmac_f64_e32 v[16:17], v[16:17], v[22:23]
	v_fmac_f64_e32 v[20:21], v[24:25], v[16:17]
	v_fma_f64 v[22:23], -v[20:21], v[20:21], v[8:9]
	v_fmac_f64_e32 v[20:21], v[22:23], v[16:17]
	v_ldexp_f64 v[16:17], v[20:21], v1
	v_mov_b32_e32 v1, 0x260
	s_mov_b32 s1, 0x3fe98845
	v_cmp_class_f64_e32 vcc, v[8:9], v1
	v_mul_f64 v[18:19], v[18:19], s[0:1]
	s_nop 0
	v_cndmask_b32_e32 v9, v17, v9, vcc
	v_cndmask_b32_e32 v8, v16, v8, vcc
	v_div_scale_f64 v[16:17], s[0:1], v[8:9], v[8:9], v[18:19]
	v_rcp_f64_e32 v[20:21], v[16:17]
	s_nop 0
	v_fma_f64 v[22:23], -v[16:17], v[20:21], 1.0
	v_fmac_f64_e32 v[20:21], v[20:21], v[22:23]
	v_fma_f64 v[22:23], -v[16:17], v[20:21], 1.0
	v_fmac_f64_e32 v[20:21], v[20:21], v[22:23]
	v_div_scale_f64 v[22:23], vcc, v[18:19], v[8:9], v[18:19]
	v_mul_f64 v[24:25], v[22:23], v[20:21]
	v_fma_f64 v[16:17], -v[16:17], v[24:25], v[22:23]
	s_nop 1
	v_div_fmas_f64 v[16:17], v[16:17], v[20:21], v[24:25]
	v_div_fixup_f64 v[8:9], v[16:17], v[8:9], v[18:19]
.LBB8_94:
	s_or_b64 exec, exec, s[2:3]
	global_load_dwordx2 v[16:17], v14, s[6:7]
	s_mov_b32 s0, 0
	s_mov_b32 s1, 0x40140000
                                        ; implicit-def: $vgpr14_vgpr15
	s_waitcnt vmcnt(0)
	v_cmp_ge_f64_e32 vcc, s[0:1], v[16:17]
	s_and_saveexec_b64 s[0:1], vcc
	s_xor_b64 s[0:1], exec, s[0:1]
	s_cbranch_execz .LBB8_104
; %bb.95:
	v_mov_b32_e32 v14, 0
	v_cmp_neq_f64_e32 vcc, 0, v[16:17]
	v_mov_b32_e32 v15, 0xfff00000
	s_and_saveexec_b64 s[2:3], vcc
	s_cbranch_execz .LBB8_103
; %bb.96:
	v_mov_b32_e32 v14, 0
	v_cmp_ngt_f64_e32 vcc, 0, v[16:17]
	v_mov_b32_e32 v15, 0x7ff80000
	s_and_saveexec_b64 s[8:9], vcc
	s_cbranch_execz .LBB8_102
; %bb.97:
	s_mov_b32 s10, 0x88e368f1
	v_mul_f64 v[14:15], v[16:17], v[16:17]
	s_mov_b32 s11, 0x3ee4f8b5
	v_mul_f64 v[20:21], v[14:15], 0
	v_cmp_ngt_f64_e32 vcc, s[10:11], v[16:17]
                                        ; implicit-def: $vgpr18_vgpr19
	s_and_saveexec_b64 s[10:11], vcc
	s_xor_b64 s[10:11], exec, s[10:11]
	s_cbranch_execz .LBB8_99
; %bb.98:
	s_mov_b32 s12, 0xad1c8325
	s_mov_b32 s13, 0xc1f1dc53
	v_add_f64 v[18:19], v[20:21], s[12:13]
	v_mov_b32_e32 v22, 0xc772990d
	v_mov_b32_e32 v23, 0x427c7751
	s_mov_b32 s12, 0xa696b78c
	v_fmac_f64_e32 v[22:23], v[14:15], v[18:19]
	v_mov_b32_e32 v18, 0xe0d900f7
	v_mov_b32_e32 v19, 0xc2ec5614
	s_mov_b32 s13, 0x407f3902
	v_fmac_f64_e32 v[18:19], v[14:15], v[22:23]
	v_add_f64 v[22:23], v[20:21], s[12:13]
	v_mov_b32_e32 v24, 0x36a21a67
	v_mov_b32_e32 v25, 0x410536cb
	v_fmac_f64_e32 v[24:25], v[14:15], v[22:23]
	v_mov_b32_e32 v22, 0x2eac0634
	v_mov_b32_e32 v23, 0x41871934
	v_fmac_f64_e32 v[22:23], v[14:15], v[24:25]
	v_mov_b32_e32 v24, 0x9444914
	v_mov_b32_e32 v25, 0x4204d5b0
	v_fmac_f64_e32 v[24:25], v[14:15], v[22:23]
	v_mov_b32_e32 v22, 0x72182e46
	v_mov_b32_e32 v23, 0x427ebeb3
	v_fmac_f64_e32 v[22:23], v[14:15], v[24:25]
	v_mov_b32_e32 v24, 0x8c9748e9
	v_mov_b32_e32 v25, 0x42f1a6a2
	v_fmac_f64_e32 v[24:25], v[14:15], v[22:23]
	v_mov_b32_e32 v22, 0x7e7b2e9c
	v_mov_b32_e32 v23, 0x435c4141
	v_fmac_f64_e32 v[22:23], v[14:15], v[24:25]
	v_mov_b32_e32 v24, 0xc7b662cc
	v_mov_b32_e32 v25, 0x43b7be34
	s_mov_b32 s12, 0x80462bbb
	v_fmac_f64_e32 v[24:25], v[14:15], v[22:23]
	v_mov_b32_e32 v22, 0x69ff5fb4
	v_mov_b32_e32 v23, 0x43413ef8
	s_mov_b32 s13, 0xc01721fb
	v_fmac_f64_e32 v[22:23], v[14:15], v[18:19]
	v_add_f64 v[18:19], v[14:15], s[12:13]
	s_mov_b32 s12, 0xa621dd6f
	s_mov_b32 s13, 0xc03e78a4
	v_add_f64 v[26:27], v[14:15], s[12:13]
	v_mul_f64 v[18:19], v[18:19], v[26:27]
	v_mul_f64 v[18:19], v[18:19], v[22:23]
	v_div_scale_f64 v[22:23], s[12:13], v[24:25], v[24:25], v[18:19]
	v_rcp_f64_e32 v[26:27], v[22:23]
	s_nop 0
	v_fma_f64 v[28:29], -v[22:23], v[26:27], 1.0
	v_fmac_f64_e32 v[26:27], v[26:27], v[28:29]
	v_fma_f64 v[28:29], -v[22:23], v[26:27], 1.0
	v_fmac_f64_e32 v[26:27], v[26:27], v[28:29]
	v_div_scale_f64 v[28:29], vcc, v[18:19], v[24:25], v[18:19]
	v_mul_f64 v[30:31], v[28:29], v[26:27]
	v_fma_f64 v[22:23], -v[22:23], v[30:31], v[28:29]
	s_nop 1
	v_div_fmas_f64 v[22:23], v[22:23], v[26:27], v[30:31]
	v_div_fixup_f64 v[18:19], v[22:23], v[24:25], v[18:19]
.LBB8_99:
	s_andn2_saveexec_b64 s[10:11], s[10:11]
; %bb.100:
	s_mov_b32 s12, 0
	s_mov_b32 s13, 0xbfd00000
	v_fma_f64 v[18:19], v[14:15], s[12:13], 1.0
; %bb.101:
	s_or_b64 exec, exec, s[10:11]
	s_mov_b32 s10, 0xe896898f
	s_mov_b32 s11, 0x40ce7437
	v_add_f64 v[22:23], v[20:21], s[10:11]
	v_mov_b32_e32 v24, 0x32e48896
	v_mov_b32_e32 v25, 0xc16bf81f
	v_fmac_f64_e32 v[24:25], v[14:15], v[22:23]
	v_mov_b32_e32 v22, 0xf0284cdd
	v_mov_b32_e32 v23, 0x41f43f78
	v_fmac_f64_e32 v[22:23], v[14:15], v[24:25]
	;; [unrolled: 3-line block ×4, first 2 shown]
	v_mov_b32_e32 v24, 0xd1d8cc02
	v_mov_b32_e32 v25, 0xc328a121
	s_mov_b32 s10, 0x576dfcb6
	v_fmac_f64_e32 v[24:25], v[14:15], v[22:23]
	v_mov_b32_e32 v22, 0x660b4003
	v_mov_b32_e32 v23, 0x4363a94b
	s_mov_b32 s11, 0x40904522
	v_fmac_f64_e32 v[22:23], v[14:15], v[24:25]
	v_add_f64 v[20:21], v[20:21], s[10:11]
	v_mov_b32_e32 v24, 0xa907bc0c
	v_mov_b32_e32 v25, 0x41231b76
	v_fmac_f64_e32 v[24:25], v[14:15], v[20:21]
	v_mov_b32_e32 v20, 0x5164d101
	v_mov_b32_e32 v21, 0x41b00763
	v_fmac_f64_e32 v[20:21], v[14:15], v[24:25]
	;; [unrolled: 3-line block ×7, first 2 shown]
	v_div_scale_f64 v[14:15], s[10:11], v[20:21], v[20:21], v[24:25]
	v_rcp_f64_e32 v[22:23], v[14:15]
	s_mov_b32 s10, 0x55555555
	v_frexp_exp_i32_f64_e32 v1, v[16:17]
	v_frexp_mant_f64_e32 v[16:17], v[16:17]
	v_fma_f64 v[26:27], -v[14:15], v[22:23], 1.0
	v_fmac_f64_e32 v[22:23], v[22:23], v[26:27]
	v_fma_f64 v[26:27], -v[14:15], v[22:23], 1.0
	v_fmac_f64_e32 v[22:23], v[22:23], v[26:27]
	v_div_scale_f64 v[26:27], vcc, v[24:25], v[20:21], v[24:25]
	v_mul_f64 v[28:29], v[26:27], v[22:23]
	v_fma_f64 v[14:15], -v[14:15], v[28:29], v[26:27]
	s_mov_b32 s11, 0x3fe55555
	s_nop 0
	v_div_fmas_f64 v[14:15], v[14:15], v[22:23], v[28:29]
	v_mov_b32_e32 v3, 0x3ff00000
	v_cmp_gt_f64_e32 vcc, s[10:11], v[16:17]
	v_div_fixup_f64 v[14:15], v[14:15], v[20:21], v[24:25]
	v_mov_b32_e32 v20, 0
	v_cndmask_b32_e64 v21, v3, 2.0, vcc
	v_mul_f64 v[16:17], v[16:17], v[20:21]
	v_add_f64 v[20:21], v[16:17], 1.0
	v_rcp_f64_e32 v[22:23], v[20:21]
	v_add_f64 v[26:27], v[20:21], -1.0
	v_add_f64 v[24:25], v[16:17], -1.0
	v_add_f64 v[16:17], v[16:17], -v[26:27]
	v_fma_f64 v[26:27], -v[20:21], v[22:23], 1.0
	v_fmac_f64_e32 v[22:23], v[26:27], v[22:23]
	v_fma_f64 v[26:27], -v[20:21], v[22:23], 1.0
	v_fmac_f64_e32 v[22:23], v[26:27], v[22:23]
	v_mul_f64 v[26:27], v[24:25], v[22:23]
	v_mul_f64 v[28:29], v[20:21], v[26:27]
	v_fma_f64 v[20:21], v[26:27], v[20:21], -v[28:29]
	v_fmac_f64_e32 v[20:21], v[26:27], v[16:17]
	v_add_f64 v[16:17], v[28:29], v[20:21]
	v_add_f64 v[30:31], v[24:25], -v[16:17]
	v_add_f64 v[28:29], v[16:17], -v[28:29]
	;; [unrolled: 1-line block ×5, first 2 shown]
	v_add_f64 v[16:17], v[20:21], v[16:17]
	v_add_f64 v[16:17], v[30:31], v[16:17]
	v_mul_f64 v[16:17], v[22:23], v[16:17]
	v_add_f64 v[20:21], v[26:27], v[16:17]
	v_add_f64 v[22:23], v[20:21], -v[26:27]
	s_mov_b32 s10, 0xbf559e2b
	v_add_f64 v[16:17], v[16:17], -v[22:23]
	v_mul_f64 v[22:23], v[20:21], v[20:21]
	v_mov_b32_e32 v24, 0x6b47b09a
	v_mov_b32_e32 v25, 0x3fc38538
	s_mov_b32 s11, 0x3fc3ab76
	v_fmac_f64_e32 v[24:25], s[10:11], v[22:23]
	v_mov_b32_e32 v26, 0xd7f4df2e
	v_mov_b32_e32 v27, 0x3fc7474d
	v_fmac_f64_e32 v[26:27], v[22:23], v[24:25]
	v_mov_b32_e32 v24, 0x16291751
	v_mov_b32_e32 v25, 0x3fcc71c0
	;; [unrolled: 3-line block ×5, first 2 shown]
	v_fmac_f64_e32 v[26:27], v[22:23], v[24:25]
	v_ldexp_f64 v[24:25], v[20:21], 1
	v_mul_f64 v[20:21], v[20:21], v[22:23]
	v_mul_f64 v[20:21], v[20:21], v[26:27]
	v_add_f64 v[22:23], v[24:25], v[20:21]
	v_add_f64 v[24:25], v[22:23], -v[24:25]
	v_ldexp_f64 v[16:17], v[16:17], 1
	v_add_f64 v[20:21], v[20:21], -v[24:25]
	v_add_f64 v[16:17], v[16:17], v[20:21]
	v_add_f64 v[20:21], v[22:23], v[16:17]
	v_subbrev_co_u32_e32 v1, vcc, 0, v1, vcc
	v_add_f64 v[22:23], v[20:21], -v[22:23]
	s_mov_b32 s10, 0xfefa39ef
	v_add_f64 v[16:17], v[16:17], -v[22:23]
	v_cvt_f64_i32_e32 v[22:23], v1
	s_mov_b32 s11, 0x3fe62e42
	v_mul_f64 v[24:25], v[22:23], s[10:11]
	v_fma_f64 v[26:27], v[22:23], s[10:11], -v[24:25]
	s_mov_b32 s10, 0x3b39803f
	s_mov_b32 s11, 0x3c7abc9e
	v_fmac_f64_e32 v[26:27], s[10:11], v[22:23]
	v_add_f64 v[22:23], v[24:25], v[26:27]
	v_add_f64 v[24:25], v[22:23], -v[24:25]
	v_add_f64 v[24:25], v[26:27], -v[24:25]
	v_add_f64 v[26:27], v[22:23], v[20:21]
	v_add_f64 v[28:29], v[26:27], -v[22:23]
	v_add_f64 v[30:31], v[26:27], -v[28:29]
	;; [unrolled: 1-line block ×4, first 2 shown]
	v_add_f64 v[20:21], v[20:21], v[22:23]
	v_add_f64 v[22:23], v[24:25], v[16:17]
	v_add_f64 v[28:29], v[22:23], -v[24:25]
	v_add_f64 v[30:31], v[22:23], -v[28:29]
	v_add_f64 v[20:21], v[22:23], v[20:21]
	v_add_f64 v[24:25], v[24:25], -v[30:31]
	v_add_f64 v[16:17], v[16:17], -v[28:29]
	v_add_f64 v[22:23], v[26:27], v[20:21]
	v_add_f64 v[16:17], v[16:17], v[24:25]
	v_add_f64 v[24:25], v[22:23], -v[26:27]
	v_add_f64 v[20:21], v[20:21], -v[24:25]
	v_add_f64 v[16:17], v[16:17], v[20:21]
	s_mov_b32 s10, 0x6dc9c883
	v_add_f64 v[16:17], v[22:23], v[16:17]
	s_mov_b32 s11, 0x3fe45f30
	v_mul_f64 v[16:17], v[16:17], s[10:11]
	v_fmac_f64_e32 v[14:15], v[16:17], v[18:19]
.LBB8_102:
	s_or_b64 exec, exec, s[8:9]
.LBB8_103:
	s_or_b64 exec, exec, s[2:3]
                                        ; implicit-def: $vgpr16_vgpr17
.LBB8_104:
	s_andn2_saveexec_b64 s[2:3], s[0:1]
	s_cbranch_execz .LBB8_114
; %bb.105:
	s_mov_b32 s11, 0xbfe921fb
	s_mov_b32 s10, 0x54442d18
	;; [unrolled: 1-line block ×3, first 2 shown]
	v_add_f64 v[14:15], v[16:17], s[10:11]
	s_mov_b32 s1, 0x41d00000
	v_cmp_nlt_f64_e64 s[8:9], |v[14:15]|, s[0:1]
	v_trig_preop_f64 v[30:31], |v[14:15]|, 0
	v_trig_preop_f64 v[28:29], |v[14:15]|, 1
	;; [unrolled: 1-line block ×3, first 2 shown]
                                        ; implicit-def: $vgpr1
                                        ; implicit-def: $vgpr18_vgpr19
                                        ; implicit-def: $vgpr20_vgpr21
	s_and_saveexec_b64 s[0:1], s[8:9]
	s_xor_b64 s[12:13], exec, s[0:1]
	s_cbranch_execz .LBB8_107
; %bb.106:
	s_mov_b32 s0, 0
	s_mov_b32 s1, 0x7b000000
	s_movk_i32 s11, 0xff80
	v_and_b32_e32 v1, 0x7fffffff, v15
	v_ldexp_f64 v[18:19], |v[14:15]|, s11
	v_cmp_ge_f64_e64 vcc, |v[14:15]|, s[0:1]
	s_mov_b32 s0, 0
	s_mov_b32 s1, 0x7ff00000
	v_cndmask_b32_e32 v19, v1, v19, vcc
	v_cndmask_b32_e32 v18, v14, v18, vcc
	v_mul_f64 v[22:23], v[30:31], v[18:19]
	v_mul_f64 v[20:21], v[28:29], v[18:19]
	v_fma_f64 v[24:25], v[30:31], v[18:19], -v[22:23]
	v_add_f64 v[32:33], v[20:21], v[24:25]
	v_add_f64 v[34:35], v[22:23], v[32:33]
	v_ldexp_f64 v[36:37], v[34:35], -2
	v_fract_f64_e32 v[38:39], v[36:37]
	v_cmp_neq_f64_e64 vcc, |v[36:37]|, s[0:1]
	v_add_f64 v[22:23], v[34:35], -v[22:23]
	v_add_f64 v[22:23], v[32:33], -v[22:23]
	v_cndmask_b32_e32 v37, 0, v39, vcc
	v_cndmask_b32_e32 v36, 0, v38, vcc
	v_add_f64 v[38:39], v[32:33], -v[20:21]
	v_add_f64 v[24:25], v[24:25], -v[38:39]
	;; [unrolled: 1-line block ×4, first 2 shown]
	v_add_f64 v[24:25], v[24:25], v[38:39]
	v_fma_f64 v[20:21], v[28:29], v[18:19], -v[20:21]
	v_mul_f64 v[38:39], v[26:27], v[18:19]
	v_add_f64 v[42:43], v[38:39], v[20:21]
	v_add_f64 v[44:45], v[42:43], v[24:25]
	v_add_f64 v[34:35], v[44:45], -v[42:43]
	v_add_f64 v[24:25], v[24:25], -v[34:35]
	v_add_f64 v[34:35], v[44:45], -v[34:35]
	v_add_f64 v[34:35], v[42:43], -v[34:35]
	v_add_f64 v[24:25], v[24:25], v[34:35]
	v_add_f64 v[34:35], v[42:43], -v[38:39]
	v_add_f64 v[20:21], v[20:21], -v[34:35]
	v_add_f64 v[34:35], v[42:43], -v[34:35]
	v_add_f64 v[34:35], v[38:39], -v[34:35]
	v_add_f64 v[32:33], v[22:23], v[44:45]
	v_add_f64 v[20:21], v[20:21], v[34:35]
	v_add_f64 v[22:23], v[32:33], -v[22:23]
	v_add_f64 v[20:21], v[20:21], v[24:25]
	v_fma_f64 v[18:19], v[26:27], v[18:19], -v[38:39]
	v_add_f64 v[22:23], v[44:45], -v[22:23]
	v_add_f64 v[18:19], v[18:19], v[20:21]
	v_ldexp_f64 v[20:21], v[36:37], 2
	v_add_f64 v[18:19], v[22:23], v[18:19]
	v_add_f64 v[22:23], v[32:33], v[20:21]
	v_mov_b32_e32 v1, 0x40100000
	v_cmp_gt_f64_e32 vcc, 0, v[22:23]
	v_mov_b32_e32 v40, 0
	v_mov_b32_e32 v3, 0x3ff00000
	v_cndmask_b32_e32 v41, 0, v1, vcc
	v_add_f64 v[20:21], v[20:21], v[40:41]
	v_add_f64 v[22:23], v[32:33], v[20:21]
	v_cvt_i32_f64_e32 v1, v[22:23]
	v_cvt_f64_i32_e32 v[22:23], v1
	v_add_f64 v[20:21], v[20:21], -v[22:23]
	v_add_f64 v[22:23], v[32:33], v[20:21]
	v_add_f64 v[20:21], v[22:23], -v[20:21]
	v_cmp_le_f64_e32 vcc, 0.5, v[22:23]
	v_add_f64 v[20:21], v[32:33], -v[20:21]
	v_add_f64 v[18:19], v[18:19], v[20:21]
	v_cndmask_b32_e32 v41, 0, v3, vcc
	v_add_f64 v[20:21], v[22:23], -v[40:41]
	v_add_f64 v[22:23], v[20:21], v[18:19]
	v_addc_co_u32_e64 v1, s[0:1], 0, v1, vcc
	v_add_f64 v[20:21], v[22:23], -v[20:21]
	s_mov_b32 s11, 0x3ff921fb
	v_add_f64 v[18:19], v[18:19], -v[20:21]
	v_mul_f64 v[20:21], v[22:23], s[10:11]
	s_mov_b32 s0, 0x33145c07
	v_fma_f64 v[24:25], v[22:23], s[10:11], -v[20:21]
	s_mov_b32 s1, 0x3c91a626
	v_fmac_f64_e32 v[24:25], s[0:1], v[22:23]
	v_fmac_f64_e32 v[24:25], s[10:11], v[18:19]
	v_add_f64 v[18:19], v[20:21], v[24:25]
	v_add_f64 v[20:21], v[18:19], -v[20:21]
	v_add_f64 v[20:21], v[24:25], -v[20:21]
	s_andn2_saveexec_b64 s[0:1], s[12:13]
	s_cbranch_execz .LBB8_109
	s_branch .LBB8_108
.LBB8_107:
	s_andn2_saveexec_b64 s[0:1], s[12:13]
	s_cbranch_execz .LBB8_109
.LBB8_108:
	s_mov_b32 s10, 0x6dc9c883
	s_mov_b32 s11, 0x3fe45f30
	v_mul_f64 v[18:19], |v[14:15]|, s[10:11]
	s_mov_b32 s10, 0x54442d18
	v_rndne_f64_e32 v[22:23], v[18:19]
	s_mov_b32 s11, 0xbff921fb
	v_fma_f64 v[18:19], v[22:23], s[10:11], |v[14:15]|
	s_mov_b32 s11, 0xbc91a626
	s_mov_b32 s10, 0x33145c00
	v_mul_f64 v[24:25], v[22:23], s[10:11]
	v_add_f64 v[34:35], v[18:19], v[24:25]
	v_fma_f64 v[20:21], s[10:11], v[22:23], v[18:19]
	s_mov_b32 s11, 0x3c91a626
	v_add_f64 v[18:19], v[18:19], -v[34:35]
	v_fma_f64 v[32:33], s[10:11], v[22:23], v[24:25]
	v_add_f64 v[18:19], v[18:19], v[24:25]
	v_add_f64 v[24:25], v[34:35], -v[20:21]
	v_add_f64 v[18:19], v[24:25], v[18:19]
	s_mov_b32 s10, 0x252049c0
	v_add_f64 v[24:25], v[18:19], -v[32:33]
	s_mov_b32 s11, 0xb97b839a
	v_fmac_f64_e32 v[24:25], s[10:11], v[22:23]
	v_add_f64 v[18:19], v[20:21], v[24:25]
	v_add_f64 v[20:21], v[18:19], -v[20:21]
	v_add_f64 v[20:21], v[24:25], -v[20:21]
	v_cvt_i32_f64_e32 v1, v[22:23]
.LBB8_109:
	s_or_b64 exec, exec, s[0:1]
                                        ; implicit-def: $vgpr3
                                        ; implicit-def: $vgpr22_vgpr23
                                        ; implicit-def: $vgpr24_vgpr25
	s_and_saveexec_b64 s[0:1], s[8:9]
	s_xor_b64 s[8:9], exec, s[0:1]
	s_cbranch_execz .LBB8_111
; %bb.110:
	s_mov_b32 s0, 0
	s_mov_b32 s1, 0x7b000000
	s_movk_i32 s10, 0xff80
	v_and_b32_e32 v3, 0x7fffffff, v15
	v_ldexp_f64 v[22:23], |v[14:15]|, s10
	v_cmp_ge_f64_e64 vcc, |v[14:15]|, s[0:1]
	s_mov_b32 s0, 0
	s_mov_b32 s1, 0x7ff00000
	v_cndmask_b32_e32 v23, v3, v23, vcc
	v_cndmask_b32_e32 v22, v14, v22, vcc
	v_mul_f64 v[32:33], v[30:31], v[22:23]
	v_mul_f64 v[24:25], v[28:29], v[22:23]
	v_fma_f64 v[30:31], v[30:31], v[22:23], -v[32:33]
	v_add_f64 v[34:35], v[24:25], v[30:31]
	v_add_f64 v[36:37], v[32:33], v[34:35]
	v_ldexp_f64 v[38:39], v[36:37], -2
	v_fract_f64_e32 v[40:41], v[38:39]
	v_cmp_neq_f64_e64 vcc, |v[38:39]|, s[0:1]
	v_add_f64 v[32:33], v[36:37], -v[32:33]
	v_add_f64 v[32:33], v[34:35], -v[32:33]
	v_cndmask_b32_e32 v39, 0, v41, vcc
	v_cndmask_b32_e32 v38, 0, v40, vcc
	v_add_f64 v[40:41], v[34:35], -v[24:25]
	v_add_f64 v[30:31], v[30:31], -v[40:41]
	;; [unrolled: 1-line block ×4, first 2 shown]
	v_fma_f64 v[24:25], v[28:29], v[22:23], -v[24:25]
	v_mul_f64 v[28:29], v[26:27], v[22:23]
	v_add_f64 v[30:31], v[30:31], v[40:41]
	v_add_f64 v[40:41], v[28:29], v[24:25]
	;; [unrolled: 1-line block ×3, first 2 shown]
	v_add_f64 v[36:37], v[44:45], -v[40:41]
	v_add_f64 v[30:31], v[30:31], -v[36:37]
	;; [unrolled: 1-line block ×4, first 2 shown]
	v_add_f64 v[30:31], v[30:31], v[36:37]
	v_add_f64 v[36:37], v[40:41], -v[28:29]
	v_add_f64 v[24:25], v[24:25], -v[36:37]
	;; [unrolled: 1-line block ×4, first 2 shown]
	v_add_f64 v[24:25], v[24:25], v[36:37]
	v_add_f64 v[24:25], v[24:25], v[30:31]
	v_fma_f64 v[22:23], v[26:27], v[22:23], -v[28:29]
	v_add_f64 v[34:35], v[32:33], v[44:45]
	v_add_f64 v[22:23], v[22:23], v[24:25]
	v_ldexp_f64 v[24:25], v[38:39], 2
	v_add_f64 v[26:27], v[34:35], v[24:25]
	v_mov_b32_e32 v3, 0x40100000
	v_cmp_gt_f64_e32 vcc, 0, v[26:27]
	v_mov_b32_e32 v42, 0
	v_add_f64 v[32:33], v[34:35], -v[32:33]
	v_cndmask_b32_e32 v43, 0, v3, vcc
	v_add_f64 v[24:25], v[24:25], v[42:43]
	v_add_f64 v[26:27], v[34:35], v[24:25]
	v_cvt_i32_f64_e32 v3, v[26:27]
	v_cvt_f64_i32_e32 v[26:27], v3
	v_add_f64 v[24:25], v[24:25], -v[26:27]
	v_add_f64 v[26:27], v[34:35], v[24:25]
	v_add_f64 v[32:33], v[44:45], -v[32:33]
	v_add_f64 v[24:25], v[26:27], -v[24:25]
	v_cmp_le_f64_e32 vcc, 0.5, v[26:27]
	v_mov_b32_e32 v5, 0x3ff00000
	v_add_f64 v[22:23], v[32:33], v[22:23]
	v_add_f64 v[24:25], v[34:35], -v[24:25]
	v_cndmask_b32_e32 v43, 0, v5, vcc
	v_add_f64 v[22:23], v[22:23], v[24:25]
	v_addc_co_u32_e64 v3, s[0:1], 0, v3, vcc
	v_add_f64 v[24:25], v[26:27], -v[42:43]
	v_add_f64 v[26:27], v[24:25], v[22:23]
	s_mov_b32 s0, 0x54442d18
	v_add_f64 v[24:25], v[26:27], -v[24:25]
	s_mov_b32 s1, 0x3ff921fb
	v_add_f64 v[22:23], v[22:23], -v[24:25]
	v_mul_f64 v[24:25], v[26:27], s[0:1]
	s_mov_b32 s10, 0x33145c07
	v_fma_f64 v[28:29], v[26:27], s[0:1], -v[24:25]
	s_mov_b32 s11, 0x3c91a626
	v_fmac_f64_e32 v[28:29], s[10:11], v[26:27]
	v_fmac_f64_e32 v[28:29], s[0:1], v[22:23]
	v_add_f64 v[22:23], v[24:25], v[28:29]
	v_add_f64 v[24:25], v[22:23], -v[24:25]
	v_add_f64 v[24:25], v[28:29], -v[24:25]
	s_andn2_saveexec_b64 s[0:1], s[8:9]
	s_cbranch_execnz .LBB8_112
	s_branch .LBB8_113
.LBB8_111:
	s_andn2_saveexec_b64 s[0:1], s[8:9]
	s_cbranch_execz .LBB8_113
.LBB8_112:
	s_mov_b32 s8, 0x6dc9c883
	s_mov_b32 s9, 0x3fe45f30
	v_mul_f64 v[22:23], |v[14:15]|, s[8:9]
	s_mov_b32 s8, 0x54442d18
	v_rndne_f64_e32 v[26:27], v[22:23]
	s_mov_b32 s9, 0xbff921fb
	v_fma_f64 v[22:23], v[26:27], s[8:9], |v[14:15]|
	s_mov_b32 s9, 0xbc91a626
	s_mov_b32 s8, 0x33145c00
	v_mul_f64 v[28:29], v[26:27], s[8:9]
	v_add_f64 v[32:33], v[22:23], v[28:29]
	v_fma_f64 v[24:25], s[8:9], v[26:27], v[22:23]
	s_mov_b32 s9, 0x3c91a626
	v_add_f64 v[22:23], v[22:23], -v[32:33]
	v_fma_f64 v[30:31], s[8:9], v[26:27], v[28:29]
	v_add_f64 v[22:23], v[22:23], v[28:29]
	v_add_f64 v[28:29], v[32:33], -v[24:25]
	v_add_f64 v[22:23], v[28:29], v[22:23]
	s_mov_b32 s8, 0x252049c0
	v_add_f64 v[28:29], v[22:23], -v[30:31]
	s_mov_b32 s9, 0xb97b839a
	v_fmac_f64_e32 v[28:29], s[8:9], v[26:27]
	v_add_f64 v[22:23], v[24:25], v[28:29]
	v_add_f64 v[24:25], v[22:23], -v[24:25]
	v_add_f64 v[24:25], v[28:29], -v[24:25]
	v_cvt_i32_f64_e32 v3, v[26:27]
.LBB8_113:
	s_or_b64 exec, exec, s[0:1]
	s_mov_b32 s0, 0
	v_mul_f64 v[26:27], v[16:17], v[16:17]
	s_mov_b32 s1, 0x40390000
	v_div_scale_f64 v[28:29], s[8:9], v[26:27], v[26:27], s[0:1]
	v_rcp_f64_e32 v[30:31], v[28:29]
	v_mov_b32_e32 v36, 0x55b218cd
	v_mov_b32_e32 v37, 0xc049b48c
	s_mov_b32 s8, 0x46cc5e42
	v_fma_f64 v[32:33], -v[28:29], v[30:31], 1.0
	v_fmac_f64_e32 v[30:31], v[30:31], v[32:33]
	v_fma_f64 v[32:33], -v[28:29], v[30:31], 1.0
	v_fmac_f64_e32 v[30:31], v[30:31], v[32:33]
	v_div_scale_f64 v[32:33], vcc, s[0:1], v[26:27], s[0:1]
	v_mul_f64 v[34:35], v[32:33], v[30:31]
	v_fma_f64 v[28:29], -v[28:29], v[34:35], v[32:33]
	v_mov_b32_e32 v32, 0xab5454e3
	s_nop 0
	v_div_fmas_f64 v[28:29], v[28:29], v[30:31], v[34:35]
	v_div_fixup_f64 v[28:29], v[28:29], v[26:27], s[0:1]
	v_mov_b32_e32 v26, 0x983b6b27
	v_mov_b32_e32 v27, 0x3f4a1d30
	v_fmac_f64_e32 v[26:27], 0, v[28:29]
	v_mov_b32_e32 v30, 0xb35dd1cf
	v_mov_b32_e32 v31, 0x3fb534b0
	v_fmac_f64_e32 v[30:31], v[28:29], v[26:27]
	;; [unrolled: 3-line block ×7, first 2 shown]
	v_mov_b32_e32 v33, 0x3fb5ebc5
	v_fmac_f64_e32 v[32:33], v[28:29], v[26:27]
	v_mov_b32_e32 v26, 0xc9b3069f
	v_mov_b32_e32 v27, 0x3ff40e72
	v_fmac_f64_e32 v[26:27], v[28:29], v[32:33]
	v_mov_b32_e32 v32, 0xe68162bb
	;; [unrolled: 3-line block ×10, first 2 shown]
	v_mov_b32_e32 v35, 0xc062627a
	v_fmac_f64_e32 v[34:35], v[28:29], v[26:27]
	v_fmac_f64_e32 v[36:37], v[28:29], v[34:35]
	v_mov_b32_e32 v26, 0xd1b9a1dd
	v_mov_b32_e32 v27, 0xc0183358
	;; [unrolled: 1-line block ×4, first 2 shown]
	v_fmac_f64_e32 v[26:27], v[28:29], v[36:37]
	v_fmac_f64_e32 v[34:35], 0, v[28:29]
	v_mov_b32_e32 v36, 0xb1759c7f
	v_mov_b32_e32 v37, 0x408ac370
	v_fmac_f64_e32 v[36:37], v[28:29], v[34:35]
	v_mov_b32_e32 v34, 0xbd748cb5
	v_mov_b32_e32 v35, 0x40ae54cd
	;; [unrolled: 3-line block ×5, first 2 shown]
	v_fma_f64 v[32:33], v[28:29], v[32:33], 1.0
	v_fmac_f64_e32 v[36:37], v[28:29], v[34:35]
	v_fma_f64 v[34:35], v[28:29], v[30:31], 1.0
	v_div_scale_f64 v[38:39], s[0:1], v[32:33], v[32:33], v[34:35]
	v_rcp_f64_e32 v[40:41], v[38:39]
	v_mov_b32_e32 v30, 0x6280a54
	v_mov_b32_e32 v31, 0x406e402f
	v_fmac_f64_e32 v[30:31], v[28:29], v[36:37]
	v_fma_f64 v[28:29], -v[38:39], v[40:41], 1.0
	v_fmac_f64_e32 v[40:41], v[40:41], v[28:29]
	v_fma_f64 v[28:29], -v[38:39], v[40:41], 1.0
	v_fmac_f64_e32 v[40:41], v[40:41], v[28:29]
	v_div_scale_f64 v[28:29], vcc, v[34:35], v[32:33], v[34:35]
	v_mul_f64 v[36:37], v[28:29], v[40:41]
	v_fma_f64 v[28:29], -v[38:39], v[36:37], v[28:29]
	s_mov_b32 s0, 0x9037ab78
	s_nop 0
	v_div_fmas_f64 v[28:29], v[28:29], v[40:41], v[36:37]
	v_div_fixup_f64 v[28:29], v[28:29], v[32:33], v[34:35]
	v_mul_f64 v[34:35], v[18:19], v[18:19]
	v_mul_f64 v[32:33], v[34:35], 0.5
	v_add_f64 v[36:37], -v[32:33], 1.0
	v_add_f64 v[38:39], -v[36:37], 1.0
	s_mov_b32 s1, 0x3e21eeb6
	v_add_f64 v[38:39], v[38:39], -v[32:33]
	s_mov_b32 s9, 0xbda907db
	v_mov_b64_e32 v[32:33], s[0:1]
	s_mov_b32 s10, 0xa17f65f6
	v_fma_f64 v[42:43], s[8:9], v[34:35], v[32:33]
	s_mov_b32 s11, 0xbe927e4f
	s_mov_b32 s12, 0x19f4ec90
	v_fma_f64 v[42:43], v[34:35], v[42:43], s[10:11]
	s_mov_b32 s13, 0x3efa01a0
	;; [unrolled: 3-line block ×4, first 2 shown]
	v_mul_f64 v[40:41], v[34:35], v[34:35]
	v_fma_f64 v[42:43], v[34:35], v[42:43], s[16:17]
	v_fma_f64 v[38:39], v[18:19], -v[20:21], v[38:39]
	s_mov_b32 s0, 0xb42fdfa7
	v_fmac_f64_e32 v[38:39], v[40:41], v[42:43]
	s_mov_b32 s1, 0xbe5ae600
	s_mov_b32 s18, 0xf9a43bb8
	v_add_f64 v[36:37], v[36:37], v[38:39]
	s_mov_b32 s19, 0x3de5e0b2
	v_mov_b64_e32 v[38:39], s[0:1]
	s_mov_b32 s20, 0x796cde01
	v_fma_f64 v[40:41], s[18:19], v[34:35], v[38:39]
	s_mov_b32 s21, 0x3ec71de3
	s_mov_b32 s22, 0x19e83e5c
	v_fma_f64 v[40:41], v[34:35], v[40:41], s[20:21]
	s_mov_b32 s23, 0xbf2a01a0
	;; [unrolled: 3-line block ×3, first 2 shown]
	v_fma_f64 v[40:41], v[34:35], v[40:41], s[24:25]
	v_mul_f64 v[42:43], v[18:19], -v[34:35]
	v_mul_f64 v[44:45], v[20:21], 0.5
	v_fmac_f64_e32 v[44:45], v[42:43], v[40:41]
	v_fma_f64 v[20:21], v[34:35], v[44:45], -v[20:21]
	s_mov_b32 s27, 0xbfc55555
	s_mov_b32 s26, s16
	v_fmac_f64_e32 v[20:21], s[26:27], v[42:43]
	v_and_b32_e32 v5, 1, v1
	s_mov_b32 s28, 0
	v_add_f64 v[18:19], v[18:19], -v[20:21]
	v_cmp_eq_u32_e32 vcc, 0, v5
	s_mov_b32 s29, 0x40140000
	s_movk_i32 s30, 0x1f8
	v_cndmask_b32_e32 v5, v36, v18, vcc
	v_cndmask_b32_e32 v7, v37, v19, vcc
	v_div_scale_f64 v[18:19], s[0:1], v[16:17], v[16:17], s[28:29]
	v_rcp_f64_e32 v[20:21], v[18:19]
	v_cmp_class_f64_e64 s[0:1], v[14:15], s30
	v_lshlrev_b32_e32 v1, 30, v1
	v_xor_b32_e32 v1, v1, v15
	v_fma_f64 v[34:35], -v[18:19], v[20:21], 1.0
	v_fmac_f64_e32 v[20:21], v[20:21], v[34:35]
	v_fma_f64 v[34:35], -v[18:19], v[20:21], 1.0
	v_fmac_f64_e32 v[20:21], v[20:21], v[34:35]
	v_div_scale_f64 v[34:35], vcc, s[28:29], v[16:17], s[28:29]
	v_mul_f64 v[36:37], v[34:35], v[20:21]
	v_fma_f64 v[18:19], -v[18:19], v[36:37], v[34:35]
	v_div_scale_f64 v[34:35], s[30:31], v[30:31], v[30:31], v[26:27]
	v_rcp_f64_e32 v[40:41], v[34:35]
	v_div_fmas_f64 v[18:19], v[18:19], v[20:21], v[36:37]
	v_div_fixup_f64 v[18:19], v[18:19], v[16:17], s[28:29]
	v_and_b32_e32 v1, 0x80000000, v1
	v_fma_f64 v[20:21], -v[34:35], v[40:41], 1.0
	v_fmac_f64_e32 v[40:41], v[40:41], v[20:21]
	v_fma_f64 v[20:21], -v[34:35], v[40:41], 1.0
	v_fmac_f64_e32 v[40:41], v[40:41], v[20:21]
	v_div_scale_f64 v[20:21], vcc, v[26:27], v[30:31], v[26:27]
	v_mul_f64 v[36:37], v[20:21], v[40:41]
	v_fma_f64 v[20:21], -v[34:35], v[36:37], v[20:21]
	v_xor_b32_e32 v1, v7, v1
	s_nop 0
	v_div_fmas_f64 v[20:21], v[20:21], v[40:41], v[36:37]
	v_div_fixup_f64 v[20:21], v[20:21], v[30:31], v[26:27]
	v_mul_f64 v[18:19], v[18:19], v[20:21]
	v_mul_f64 v[20:21], v[22:23], v[22:23]
	v_mul_f64 v[26:27], v[20:21], 0.5
	v_fmac_f64_e32 v[32:33], s[8:9], v[20:21]
	v_add_f64 v[30:31], -v[26:27], 1.0
	v_fma_f64 v[32:33], v[20:21], v[32:33], s[10:11]
	v_add_f64 v[34:35], -v[30:31], 1.0
	v_fma_f64 v[32:33], v[20:21], v[32:33], s[12:13]
	v_add_f64 v[26:27], v[34:35], -v[26:27]
	v_fma_f64 v[32:33], v[20:21], v[32:33], s[14:15]
	v_mul_f64 v[34:35], v[20:21], v[20:21]
	v_fma_f64 v[32:33], v[20:21], v[32:33], s[16:17]
	v_fma_f64 v[26:27], v[22:23], -v[24:25], v[26:27]
	v_fmac_f64_e32 v[26:27], v[34:35], v[32:33]
	v_fmac_f64_e32 v[38:39], s[18:19], v[20:21]
	v_add_f64 v[26:27], v[30:31], v[26:27]
	v_fma_f64 v[30:31], v[20:21], v[38:39], s[20:21]
	v_fma_f64 v[30:31], v[20:21], v[30:31], s[22:23]
	;; [unrolled: 1-line block ×3, first 2 shown]
	v_mul_f64 v[32:33], v[22:23], -v[20:21]
	v_mul_f64 v[34:35], v[24:25], 0.5
	v_fmac_f64_e32 v[34:35], v[32:33], v[30:31]
	v_fma_f64 v[20:21], v[20:21], v[34:35], -v[24:25]
	v_fmac_f64_e32 v[20:21], s[26:27], v[32:33]
	v_cndmask_b32_e64 v14, 0, v5, s[0:1]
	v_mov_b32_e32 v5, 0x7ff80000
	v_add_f64 v[20:21], v[22:23], -v[20:21]
	v_and_b32_e32 v7, 1, v3
	v_cndmask_b32_e64 v15, v5, v1, s[0:1]
	v_xor_b32_e32 v1, 0x80000000, v21
	v_cmp_eq_u32_e32 vcc, 0, v7
	v_lshlrev_b32_e32 v3, 30, v3
	v_and_b32_e32 v3, 0x80000000, v3
	v_cndmask_b32_e32 v1, v1, v27, vcc
	v_cndmask_b32_e32 v7, v20, v26, vcc
	v_xor_b32_e32 v1, v1, v3
	v_cndmask_b32_e64 v20, 0, v7, s[0:1]
	v_cndmask_b32_e64 v21, v5, v1, s[0:1]
	s_mov_b32 s0, 0
	s_brev_b32 s1, 8
	v_cmp_gt_f64_e32 vcc, s[0:1], v[16:17]
	v_mul_f64 v[18:19], v[18:19], v[20:21]
	v_fmac_f64_e32 v[18:19], v[28:29], v[14:15]
	v_cndmask_b32_e64 v1, 0, 1, vcc
	v_lshlrev_b32_e32 v1, 8, v1
	v_ldexp_f64 v[14:15], v[16:17], v1
	v_rsq_f64_e32 v[16:17], v[14:15]
	v_mov_b32_e32 v1, 0xffffff80
	v_cndmask_b32_e32 v1, 0, v1, vcc
	s_mov_b32 s0, 0x33d43651
	v_mul_f64 v[20:21], v[14:15], v[16:17]
	v_mul_f64 v[16:17], v[16:17], 0.5
	v_fma_f64 v[22:23], -v[16:17], v[20:21], 0.5
	v_fmac_f64_e32 v[20:21], v[20:21], v[22:23]
	v_fma_f64 v[24:25], -v[20:21], v[20:21], v[14:15]
	v_fmac_f64_e32 v[16:17], v[16:17], v[22:23]
	v_fmac_f64_e32 v[20:21], v[24:25], v[16:17]
	v_fma_f64 v[22:23], -v[20:21], v[20:21], v[14:15]
	v_fmac_f64_e32 v[20:21], v[22:23], v[16:17]
	v_ldexp_f64 v[16:17], v[20:21], v1
	v_mov_b32_e32 v1, 0x260
	s_mov_b32 s1, 0x3fe98845
	v_cmp_class_f64_e32 vcc, v[14:15], v1
	v_mul_f64 v[18:19], v[18:19], s[0:1]
	s_nop 0
	v_cndmask_b32_e32 v15, v17, v15, vcc
	v_cndmask_b32_e32 v14, v16, v14, vcc
	v_div_scale_f64 v[16:17], s[0:1], v[14:15], v[14:15], v[18:19]
	v_rcp_f64_e32 v[20:21], v[16:17]
	s_nop 0
	v_fma_f64 v[22:23], -v[16:17], v[20:21], 1.0
	v_fmac_f64_e32 v[20:21], v[20:21], v[22:23]
	v_fma_f64 v[22:23], -v[16:17], v[20:21], 1.0
	v_fmac_f64_e32 v[20:21], v[20:21], v[22:23]
	v_div_scale_f64 v[22:23], vcc, v[18:19], v[14:15], v[18:19]
	v_mul_f64 v[24:25], v[22:23], v[20:21]
	v_fma_f64 v[16:17], -v[16:17], v[24:25], v[22:23]
	s_nop 1
	v_div_fmas_f64 v[16:17], v[16:17], v[20:21], v[24:25]
	v_div_fixup_f64 v[14:15], v[16:17], v[14:15], v[18:19]
.LBB8_114:
	s_or_b64 exec, exec, s[2:3]
	global_load_dwordx2 v[16:17], v12, s[6:7]
	s_mov_b32 s0, 0
	s_mov_b32 s1, 0x40140000
                                        ; implicit-def: $vgpr12_vgpr13
	s_waitcnt vmcnt(0)
	v_cmp_ge_f64_e32 vcc, s[0:1], v[16:17]
	s_and_saveexec_b64 s[0:1], vcc
	s_xor_b64 s[0:1], exec, s[0:1]
	s_cbranch_execz .LBB8_124
; %bb.115:
	v_mov_b32_e32 v12, 0
	v_cmp_neq_f64_e32 vcc, 0, v[16:17]
	v_mov_b32_e32 v13, 0xfff00000
	s_and_saveexec_b64 s[2:3], vcc
	s_cbranch_execz .LBB8_123
; %bb.116:
	v_mov_b32_e32 v12, 0
	v_cmp_ngt_f64_e32 vcc, 0, v[16:17]
	v_mov_b32_e32 v13, 0x7ff80000
	s_and_saveexec_b64 s[8:9], vcc
	s_cbranch_execz .LBB8_122
; %bb.117:
	s_mov_b32 s10, 0x88e368f1
	v_mul_f64 v[12:13], v[16:17], v[16:17]
	s_mov_b32 s11, 0x3ee4f8b5
	v_mul_f64 v[20:21], v[12:13], 0
	v_cmp_ngt_f64_e32 vcc, s[10:11], v[16:17]
                                        ; implicit-def: $vgpr18_vgpr19
	s_and_saveexec_b64 s[10:11], vcc
	s_xor_b64 s[10:11], exec, s[10:11]
	s_cbranch_execz .LBB8_119
; %bb.118:
	s_mov_b32 s12, 0xad1c8325
	s_mov_b32 s13, 0xc1f1dc53
	v_add_f64 v[18:19], v[20:21], s[12:13]
	v_mov_b32_e32 v22, 0xc772990d
	v_mov_b32_e32 v23, 0x427c7751
	s_mov_b32 s12, 0xa696b78c
	v_fmac_f64_e32 v[22:23], v[12:13], v[18:19]
	v_mov_b32_e32 v18, 0xe0d900f7
	v_mov_b32_e32 v19, 0xc2ec5614
	s_mov_b32 s13, 0x407f3902
	v_fmac_f64_e32 v[18:19], v[12:13], v[22:23]
	v_add_f64 v[22:23], v[20:21], s[12:13]
	v_mov_b32_e32 v24, 0x36a21a67
	v_mov_b32_e32 v25, 0x410536cb
	v_fmac_f64_e32 v[24:25], v[12:13], v[22:23]
	v_mov_b32_e32 v22, 0x2eac0634
	v_mov_b32_e32 v23, 0x41871934
	v_fmac_f64_e32 v[22:23], v[12:13], v[24:25]
	;; [unrolled: 3-line block ×6, first 2 shown]
	v_mov_b32_e32 v24, 0xc7b662cc
	v_mov_b32_e32 v25, 0x43b7be34
	s_mov_b32 s12, 0x80462bbb
	v_fmac_f64_e32 v[24:25], v[12:13], v[22:23]
	v_mov_b32_e32 v22, 0x69ff5fb4
	v_mov_b32_e32 v23, 0x43413ef8
	s_mov_b32 s13, 0xc01721fb
	v_fmac_f64_e32 v[22:23], v[12:13], v[18:19]
	v_add_f64 v[18:19], v[12:13], s[12:13]
	s_mov_b32 s12, 0xa621dd6f
	s_mov_b32 s13, 0xc03e78a4
	v_add_f64 v[26:27], v[12:13], s[12:13]
	v_mul_f64 v[18:19], v[18:19], v[26:27]
	v_mul_f64 v[18:19], v[18:19], v[22:23]
	v_div_scale_f64 v[22:23], s[12:13], v[24:25], v[24:25], v[18:19]
	v_rcp_f64_e32 v[26:27], v[22:23]
	s_nop 0
	v_fma_f64 v[28:29], -v[22:23], v[26:27], 1.0
	v_fmac_f64_e32 v[26:27], v[26:27], v[28:29]
	v_fma_f64 v[28:29], -v[22:23], v[26:27], 1.0
	v_fmac_f64_e32 v[26:27], v[26:27], v[28:29]
	v_div_scale_f64 v[28:29], vcc, v[18:19], v[24:25], v[18:19]
	v_mul_f64 v[30:31], v[28:29], v[26:27]
	v_fma_f64 v[22:23], -v[22:23], v[30:31], v[28:29]
	s_nop 1
	v_div_fmas_f64 v[22:23], v[22:23], v[26:27], v[30:31]
	v_div_fixup_f64 v[18:19], v[22:23], v[24:25], v[18:19]
.LBB8_119:
	s_andn2_saveexec_b64 s[10:11], s[10:11]
; %bb.120:
	s_mov_b32 s12, 0
	s_mov_b32 s13, 0xbfd00000
	v_fma_f64 v[18:19], v[12:13], s[12:13], 1.0
; %bb.121:
	s_or_b64 exec, exec, s[10:11]
	s_mov_b32 s10, 0xe896898f
	s_mov_b32 s11, 0x40ce7437
	v_add_f64 v[22:23], v[20:21], s[10:11]
	v_mov_b32_e32 v24, 0x32e48896
	v_mov_b32_e32 v25, 0xc16bf81f
	v_fmac_f64_e32 v[24:25], v[12:13], v[22:23]
	v_mov_b32_e32 v22, 0xf0284cdd
	v_mov_b32_e32 v23, 0x41f43f78
	v_fmac_f64_e32 v[22:23], v[12:13], v[24:25]
	;; [unrolled: 3-line block ×4, first 2 shown]
	v_mov_b32_e32 v24, 0xd1d8cc02
	v_mov_b32_e32 v25, 0xc328a121
	s_mov_b32 s10, 0x576dfcb6
	v_fmac_f64_e32 v[24:25], v[12:13], v[22:23]
	v_mov_b32_e32 v22, 0x660b4003
	v_mov_b32_e32 v23, 0x4363a94b
	s_mov_b32 s11, 0x40904522
	v_fmac_f64_e32 v[22:23], v[12:13], v[24:25]
	v_add_f64 v[20:21], v[20:21], s[10:11]
	v_mov_b32_e32 v24, 0xa907bc0c
	v_mov_b32_e32 v25, 0x41231b76
	v_fmac_f64_e32 v[24:25], v[12:13], v[20:21]
	v_mov_b32_e32 v20, 0x5164d101
	v_mov_b32_e32 v21, 0x41b00763
	v_fmac_f64_e32 v[20:21], v[12:13], v[24:25]
	;; [unrolled: 3-line block ×7, first 2 shown]
	v_div_scale_f64 v[12:13], s[10:11], v[20:21], v[20:21], v[24:25]
	v_rcp_f64_e32 v[22:23], v[12:13]
	s_mov_b32 s10, 0x55555555
	v_frexp_exp_i32_f64_e32 v1, v[16:17]
	v_frexp_mant_f64_e32 v[16:17], v[16:17]
	v_fma_f64 v[26:27], -v[12:13], v[22:23], 1.0
	v_fmac_f64_e32 v[22:23], v[22:23], v[26:27]
	v_fma_f64 v[26:27], -v[12:13], v[22:23], 1.0
	v_fmac_f64_e32 v[22:23], v[22:23], v[26:27]
	v_div_scale_f64 v[26:27], vcc, v[24:25], v[20:21], v[24:25]
	v_mul_f64 v[28:29], v[26:27], v[22:23]
	v_fma_f64 v[12:13], -v[12:13], v[28:29], v[26:27]
	s_mov_b32 s11, 0x3fe55555
	s_nop 0
	v_div_fmas_f64 v[12:13], v[12:13], v[22:23], v[28:29]
	v_mov_b32_e32 v3, 0x3ff00000
	v_cmp_gt_f64_e32 vcc, s[10:11], v[16:17]
	v_div_fixup_f64 v[12:13], v[12:13], v[20:21], v[24:25]
	v_mov_b32_e32 v20, 0
	v_cndmask_b32_e64 v21, v3, 2.0, vcc
	v_mul_f64 v[16:17], v[16:17], v[20:21]
	v_add_f64 v[20:21], v[16:17], 1.0
	v_rcp_f64_e32 v[22:23], v[20:21]
	v_add_f64 v[26:27], v[20:21], -1.0
	v_add_f64 v[24:25], v[16:17], -1.0
	v_add_f64 v[16:17], v[16:17], -v[26:27]
	v_fma_f64 v[26:27], -v[20:21], v[22:23], 1.0
	v_fmac_f64_e32 v[22:23], v[26:27], v[22:23]
	v_fma_f64 v[26:27], -v[20:21], v[22:23], 1.0
	v_fmac_f64_e32 v[22:23], v[26:27], v[22:23]
	v_mul_f64 v[26:27], v[24:25], v[22:23]
	v_mul_f64 v[28:29], v[20:21], v[26:27]
	v_fma_f64 v[20:21], v[26:27], v[20:21], -v[28:29]
	v_fmac_f64_e32 v[20:21], v[26:27], v[16:17]
	v_add_f64 v[16:17], v[28:29], v[20:21]
	v_add_f64 v[30:31], v[24:25], -v[16:17]
	v_add_f64 v[28:29], v[16:17], -v[28:29]
	;; [unrolled: 1-line block ×5, first 2 shown]
	v_add_f64 v[16:17], v[20:21], v[16:17]
	v_add_f64 v[16:17], v[30:31], v[16:17]
	v_mul_f64 v[16:17], v[22:23], v[16:17]
	v_add_f64 v[20:21], v[26:27], v[16:17]
	v_add_f64 v[22:23], v[20:21], -v[26:27]
	s_mov_b32 s10, 0xbf559e2b
	v_add_f64 v[16:17], v[16:17], -v[22:23]
	v_mul_f64 v[22:23], v[20:21], v[20:21]
	v_mov_b32_e32 v24, 0x6b47b09a
	v_mov_b32_e32 v25, 0x3fc38538
	s_mov_b32 s11, 0x3fc3ab76
	v_fmac_f64_e32 v[24:25], s[10:11], v[22:23]
	v_mov_b32_e32 v26, 0xd7f4df2e
	v_mov_b32_e32 v27, 0x3fc7474d
	v_fmac_f64_e32 v[26:27], v[22:23], v[24:25]
	v_mov_b32_e32 v24, 0x16291751
	v_mov_b32_e32 v25, 0x3fcc71c0
	;; [unrolled: 3-line block ×5, first 2 shown]
	v_fmac_f64_e32 v[26:27], v[22:23], v[24:25]
	v_ldexp_f64 v[24:25], v[20:21], 1
	v_mul_f64 v[20:21], v[20:21], v[22:23]
	v_mul_f64 v[20:21], v[20:21], v[26:27]
	v_add_f64 v[22:23], v[24:25], v[20:21]
	v_add_f64 v[24:25], v[22:23], -v[24:25]
	v_ldexp_f64 v[16:17], v[16:17], 1
	v_add_f64 v[20:21], v[20:21], -v[24:25]
	v_add_f64 v[16:17], v[16:17], v[20:21]
	v_add_f64 v[20:21], v[22:23], v[16:17]
	v_subbrev_co_u32_e32 v1, vcc, 0, v1, vcc
	v_add_f64 v[22:23], v[20:21], -v[22:23]
	s_mov_b32 s10, 0xfefa39ef
	v_add_f64 v[16:17], v[16:17], -v[22:23]
	v_cvt_f64_i32_e32 v[22:23], v1
	s_mov_b32 s11, 0x3fe62e42
	v_mul_f64 v[24:25], v[22:23], s[10:11]
	v_fma_f64 v[26:27], v[22:23], s[10:11], -v[24:25]
	s_mov_b32 s10, 0x3b39803f
	s_mov_b32 s11, 0x3c7abc9e
	v_fmac_f64_e32 v[26:27], s[10:11], v[22:23]
	v_add_f64 v[22:23], v[24:25], v[26:27]
	v_add_f64 v[24:25], v[22:23], -v[24:25]
	v_add_f64 v[24:25], v[26:27], -v[24:25]
	v_add_f64 v[26:27], v[22:23], v[20:21]
	v_add_f64 v[28:29], v[26:27], -v[22:23]
	v_add_f64 v[30:31], v[26:27], -v[28:29]
	;; [unrolled: 1-line block ×4, first 2 shown]
	v_add_f64 v[20:21], v[20:21], v[22:23]
	v_add_f64 v[22:23], v[24:25], v[16:17]
	v_add_f64 v[28:29], v[22:23], -v[24:25]
	v_add_f64 v[30:31], v[22:23], -v[28:29]
	v_add_f64 v[20:21], v[22:23], v[20:21]
	v_add_f64 v[24:25], v[24:25], -v[30:31]
	v_add_f64 v[16:17], v[16:17], -v[28:29]
	v_add_f64 v[22:23], v[26:27], v[20:21]
	v_add_f64 v[16:17], v[16:17], v[24:25]
	v_add_f64 v[24:25], v[22:23], -v[26:27]
	v_add_f64 v[20:21], v[20:21], -v[24:25]
	v_add_f64 v[16:17], v[16:17], v[20:21]
	s_mov_b32 s10, 0x6dc9c883
	v_add_f64 v[16:17], v[22:23], v[16:17]
	s_mov_b32 s11, 0x3fe45f30
	v_mul_f64 v[16:17], v[16:17], s[10:11]
	v_fmac_f64_e32 v[12:13], v[16:17], v[18:19]
.LBB8_122:
	s_or_b64 exec, exec, s[8:9]
.LBB8_123:
	s_or_b64 exec, exec, s[2:3]
                                        ; implicit-def: $vgpr16_vgpr17
.LBB8_124:
	s_andn2_saveexec_b64 s[2:3], s[0:1]
	s_cbranch_execz .LBB8_134
; %bb.125:
	s_mov_b32 s11, 0xbfe921fb
	s_mov_b32 s10, 0x54442d18
	;; [unrolled: 1-line block ×3, first 2 shown]
	v_add_f64 v[12:13], v[16:17], s[10:11]
	s_mov_b32 s1, 0x41d00000
	v_cmp_nlt_f64_e64 s[8:9], |v[12:13]|, s[0:1]
	v_trig_preop_f64 v[30:31], |v[12:13]|, 0
	v_trig_preop_f64 v[28:29], |v[12:13]|, 1
	;; [unrolled: 1-line block ×3, first 2 shown]
                                        ; implicit-def: $vgpr1
                                        ; implicit-def: $vgpr18_vgpr19
                                        ; implicit-def: $vgpr20_vgpr21
	s_and_saveexec_b64 s[0:1], s[8:9]
	s_xor_b64 s[12:13], exec, s[0:1]
	s_cbranch_execz .LBB8_127
; %bb.126:
	s_mov_b32 s0, 0
	s_mov_b32 s1, 0x7b000000
	s_movk_i32 s11, 0xff80
	v_and_b32_e32 v1, 0x7fffffff, v13
	v_ldexp_f64 v[18:19], |v[12:13]|, s11
	v_cmp_ge_f64_e64 vcc, |v[12:13]|, s[0:1]
	s_mov_b32 s0, 0
	s_mov_b32 s1, 0x7ff00000
	v_cndmask_b32_e32 v19, v1, v19, vcc
	v_cndmask_b32_e32 v18, v12, v18, vcc
	v_mul_f64 v[22:23], v[30:31], v[18:19]
	v_mul_f64 v[20:21], v[28:29], v[18:19]
	v_fma_f64 v[24:25], v[30:31], v[18:19], -v[22:23]
	v_add_f64 v[32:33], v[20:21], v[24:25]
	v_add_f64 v[34:35], v[22:23], v[32:33]
	v_ldexp_f64 v[36:37], v[34:35], -2
	v_fract_f64_e32 v[38:39], v[36:37]
	v_cmp_neq_f64_e64 vcc, |v[36:37]|, s[0:1]
	v_add_f64 v[22:23], v[34:35], -v[22:23]
	v_add_f64 v[22:23], v[32:33], -v[22:23]
	v_cndmask_b32_e32 v37, 0, v39, vcc
	v_cndmask_b32_e32 v36, 0, v38, vcc
	v_add_f64 v[38:39], v[32:33], -v[20:21]
	v_add_f64 v[24:25], v[24:25], -v[38:39]
	;; [unrolled: 1-line block ×4, first 2 shown]
	v_add_f64 v[24:25], v[24:25], v[38:39]
	v_fma_f64 v[20:21], v[28:29], v[18:19], -v[20:21]
	v_mul_f64 v[38:39], v[26:27], v[18:19]
	v_add_f64 v[42:43], v[38:39], v[20:21]
	v_add_f64 v[44:45], v[42:43], v[24:25]
	v_add_f64 v[34:35], v[44:45], -v[42:43]
	v_add_f64 v[24:25], v[24:25], -v[34:35]
	;; [unrolled: 1-line block ×4, first 2 shown]
	v_add_f64 v[24:25], v[24:25], v[34:35]
	v_add_f64 v[34:35], v[42:43], -v[38:39]
	v_add_f64 v[20:21], v[20:21], -v[34:35]
	;; [unrolled: 1-line block ×4, first 2 shown]
	v_add_f64 v[32:33], v[22:23], v[44:45]
	v_add_f64 v[20:21], v[20:21], v[34:35]
	v_add_f64 v[22:23], v[32:33], -v[22:23]
	v_add_f64 v[20:21], v[20:21], v[24:25]
	v_fma_f64 v[18:19], v[26:27], v[18:19], -v[38:39]
	v_add_f64 v[22:23], v[44:45], -v[22:23]
	v_add_f64 v[18:19], v[18:19], v[20:21]
	v_ldexp_f64 v[20:21], v[36:37], 2
	v_add_f64 v[18:19], v[22:23], v[18:19]
	v_add_f64 v[22:23], v[32:33], v[20:21]
	v_mov_b32_e32 v1, 0x40100000
	v_cmp_gt_f64_e32 vcc, 0, v[22:23]
	v_mov_b32_e32 v40, 0
	v_mov_b32_e32 v3, 0x3ff00000
	v_cndmask_b32_e32 v41, 0, v1, vcc
	v_add_f64 v[20:21], v[20:21], v[40:41]
	v_add_f64 v[22:23], v[32:33], v[20:21]
	v_cvt_i32_f64_e32 v1, v[22:23]
	v_cvt_f64_i32_e32 v[22:23], v1
	v_add_f64 v[20:21], v[20:21], -v[22:23]
	v_add_f64 v[22:23], v[32:33], v[20:21]
	v_add_f64 v[20:21], v[22:23], -v[20:21]
	v_cmp_le_f64_e32 vcc, 0.5, v[22:23]
	v_add_f64 v[20:21], v[32:33], -v[20:21]
	v_add_f64 v[18:19], v[18:19], v[20:21]
	v_cndmask_b32_e32 v41, 0, v3, vcc
	v_add_f64 v[20:21], v[22:23], -v[40:41]
	v_add_f64 v[22:23], v[20:21], v[18:19]
	v_addc_co_u32_e64 v1, s[0:1], 0, v1, vcc
	v_add_f64 v[20:21], v[22:23], -v[20:21]
	s_mov_b32 s11, 0x3ff921fb
	v_add_f64 v[18:19], v[18:19], -v[20:21]
	v_mul_f64 v[20:21], v[22:23], s[10:11]
	s_mov_b32 s0, 0x33145c07
	v_fma_f64 v[24:25], v[22:23], s[10:11], -v[20:21]
	s_mov_b32 s1, 0x3c91a626
	v_fmac_f64_e32 v[24:25], s[0:1], v[22:23]
	v_fmac_f64_e32 v[24:25], s[10:11], v[18:19]
	v_add_f64 v[18:19], v[20:21], v[24:25]
	v_add_f64 v[20:21], v[18:19], -v[20:21]
	v_add_f64 v[20:21], v[24:25], -v[20:21]
	s_andn2_saveexec_b64 s[0:1], s[12:13]
	s_cbranch_execz .LBB8_129
	s_branch .LBB8_128
.LBB8_127:
	s_andn2_saveexec_b64 s[0:1], s[12:13]
	s_cbranch_execz .LBB8_129
.LBB8_128:
	s_mov_b32 s10, 0x6dc9c883
	s_mov_b32 s11, 0x3fe45f30
	v_mul_f64 v[18:19], |v[12:13]|, s[10:11]
	s_mov_b32 s10, 0x54442d18
	v_rndne_f64_e32 v[22:23], v[18:19]
	s_mov_b32 s11, 0xbff921fb
	v_fma_f64 v[18:19], v[22:23], s[10:11], |v[12:13]|
	s_mov_b32 s11, 0xbc91a626
	s_mov_b32 s10, 0x33145c00
	v_mul_f64 v[24:25], v[22:23], s[10:11]
	v_add_f64 v[34:35], v[18:19], v[24:25]
	v_fma_f64 v[20:21], s[10:11], v[22:23], v[18:19]
	s_mov_b32 s11, 0x3c91a626
	v_add_f64 v[18:19], v[18:19], -v[34:35]
	v_fma_f64 v[32:33], s[10:11], v[22:23], v[24:25]
	v_add_f64 v[18:19], v[18:19], v[24:25]
	v_add_f64 v[24:25], v[34:35], -v[20:21]
	v_add_f64 v[18:19], v[24:25], v[18:19]
	s_mov_b32 s10, 0x252049c0
	v_add_f64 v[24:25], v[18:19], -v[32:33]
	s_mov_b32 s11, 0xb97b839a
	v_fmac_f64_e32 v[24:25], s[10:11], v[22:23]
	v_add_f64 v[18:19], v[20:21], v[24:25]
	v_add_f64 v[20:21], v[18:19], -v[20:21]
	v_add_f64 v[20:21], v[24:25], -v[20:21]
	v_cvt_i32_f64_e32 v1, v[22:23]
.LBB8_129:
	s_or_b64 exec, exec, s[0:1]
                                        ; implicit-def: $vgpr3
                                        ; implicit-def: $vgpr22_vgpr23
                                        ; implicit-def: $vgpr24_vgpr25
	s_and_saveexec_b64 s[0:1], s[8:9]
	s_xor_b64 s[8:9], exec, s[0:1]
	s_cbranch_execz .LBB8_131
; %bb.130:
	s_mov_b32 s0, 0
	s_mov_b32 s1, 0x7b000000
	s_movk_i32 s10, 0xff80
	v_and_b32_e32 v3, 0x7fffffff, v13
	v_ldexp_f64 v[22:23], |v[12:13]|, s10
	v_cmp_ge_f64_e64 vcc, |v[12:13]|, s[0:1]
	s_mov_b32 s0, 0
	s_mov_b32 s1, 0x7ff00000
	v_cndmask_b32_e32 v23, v3, v23, vcc
	v_cndmask_b32_e32 v22, v12, v22, vcc
	v_mul_f64 v[32:33], v[30:31], v[22:23]
	v_mul_f64 v[24:25], v[28:29], v[22:23]
	v_fma_f64 v[30:31], v[30:31], v[22:23], -v[32:33]
	v_add_f64 v[34:35], v[24:25], v[30:31]
	v_add_f64 v[36:37], v[32:33], v[34:35]
	v_ldexp_f64 v[38:39], v[36:37], -2
	v_fract_f64_e32 v[40:41], v[38:39]
	v_cmp_neq_f64_e64 vcc, |v[38:39]|, s[0:1]
	v_add_f64 v[32:33], v[36:37], -v[32:33]
	v_add_f64 v[32:33], v[34:35], -v[32:33]
	v_cndmask_b32_e32 v39, 0, v41, vcc
	v_cndmask_b32_e32 v38, 0, v40, vcc
	v_add_f64 v[40:41], v[34:35], -v[24:25]
	v_add_f64 v[30:31], v[30:31], -v[40:41]
	;; [unrolled: 1-line block ×4, first 2 shown]
	v_fma_f64 v[24:25], v[28:29], v[22:23], -v[24:25]
	v_mul_f64 v[28:29], v[26:27], v[22:23]
	v_add_f64 v[30:31], v[30:31], v[40:41]
	v_add_f64 v[40:41], v[28:29], v[24:25]
	;; [unrolled: 1-line block ×3, first 2 shown]
	v_add_f64 v[36:37], v[44:45], -v[40:41]
	v_add_f64 v[30:31], v[30:31], -v[36:37]
	;; [unrolled: 1-line block ×4, first 2 shown]
	v_add_f64 v[30:31], v[30:31], v[36:37]
	v_add_f64 v[36:37], v[40:41], -v[28:29]
	v_add_f64 v[24:25], v[24:25], -v[36:37]
	;; [unrolled: 1-line block ×4, first 2 shown]
	v_add_f64 v[24:25], v[24:25], v[36:37]
	v_add_f64 v[24:25], v[24:25], v[30:31]
	v_fma_f64 v[22:23], v[26:27], v[22:23], -v[28:29]
	v_add_f64 v[34:35], v[32:33], v[44:45]
	v_add_f64 v[22:23], v[22:23], v[24:25]
	v_ldexp_f64 v[24:25], v[38:39], 2
	v_add_f64 v[26:27], v[34:35], v[24:25]
	v_mov_b32_e32 v3, 0x40100000
	v_cmp_gt_f64_e32 vcc, 0, v[26:27]
	v_mov_b32_e32 v42, 0
	v_add_f64 v[32:33], v[34:35], -v[32:33]
	v_cndmask_b32_e32 v43, 0, v3, vcc
	v_add_f64 v[24:25], v[24:25], v[42:43]
	v_add_f64 v[26:27], v[34:35], v[24:25]
	v_cvt_i32_f64_e32 v3, v[26:27]
	v_cvt_f64_i32_e32 v[26:27], v3
	v_add_f64 v[24:25], v[24:25], -v[26:27]
	v_add_f64 v[26:27], v[34:35], v[24:25]
	v_add_f64 v[32:33], v[44:45], -v[32:33]
	v_add_f64 v[24:25], v[26:27], -v[24:25]
	v_cmp_le_f64_e32 vcc, 0.5, v[26:27]
	v_mov_b32_e32 v5, 0x3ff00000
	v_add_f64 v[22:23], v[32:33], v[22:23]
	v_add_f64 v[24:25], v[34:35], -v[24:25]
	v_cndmask_b32_e32 v43, 0, v5, vcc
	v_add_f64 v[22:23], v[22:23], v[24:25]
	v_addc_co_u32_e64 v3, s[0:1], 0, v3, vcc
	v_add_f64 v[24:25], v[26:27], -v[42:43]
	v_add_f64 v[26:27], v[24:25], v[22:23]
	s_mov_b32 s0, 0x54442d18
	v_add_f64 v[24:25], v[26:27], -v[24:25]
	s_mov_b32 s1, 0x3ff921fb
	v_add_f64 v[22:23], v[22:23], -v[24:25]
	v_mul_f64 v[24:25], v[26:27], s[0:1]
	s_mov_b32 s10, 0x33145c07
	v_fma_f64 v[28:29], v[26:27], s[0:1], -v[24:25]
	s_mov_b32 s11, 0x3c91a626
	v_fmac_f64_e32 v[28:29], s[10:11], v[26:27]
	v_fmac_f64_e32 v[28:29], s[0:1], v[22:23]
	v_add_f64 v[22:23], v[24:25], v[28:29]
	v_add_f64 v[24:25], v[22:23], -v[24:25]
	v_add_f64 v[24:25], v[28:29], -v[24:25]
	s_andn2_saveexec_b64 s[0:1], s[8:9]
	s_cbranch_execnz .LBB8_132
	s_branch .LBB8_133
.LBB8_131:
	s_andn2_saveexec_b64 s[0:1], s[8:9]
	s_cbranch_execz .LBB8_133
.LBB8_132:
	s_mov_b32 s8, 0x6dc9c883
	s_mov_b32 s9, 0x3fe45f30
	v_mul_f64 v[22:23], |v[12:13]|, s[8:9]
	s_mov_b32 s8, 0x54442d18
	v_rndne_f64_e32 v[26:27], v[22:23]
	s_mov_b32 s9, 0xbff921fb
	v_fma_f64 v[22:23], v[26:27], s[8:9], |v[12:13]|
	s_mov_b32 s9, 0xbc91a626
	s_mov_b32 s8, 0x33145c00
	v_mul_f64 v[28:29], v[26:27], s[8:9]
	v_add_f64 v[32:33], v[22:23], v[28:29]
	v_fma_f64 v[24:25], s[8:9], v[26:27], v[22:23]
	s_mov_b32 s9, 0x3c91a626
	v_add_f64 v[22:23], v[22:23], -v[32:33]
	v_fma_f64 v[30:31], s[8:9], v[26:27], v[28:29]
	v_add_f64 v[22:23], v[22:23], v[28:29]
	v_add_f64 v[28:29], v[32:33], -v[24:25]
	v_add_f64 v[22:23], v[28:29], v[22:23]
	s_mov_b32 s8, 0x252049c0
	v_add_f64 v[28:29], v[22:23], -v[30:31]
	s_mov_b32 s9, 0xb97b839a
	v_fmac_f64_e32 v[28:29], s[8:9], v[26:27]
	v_add_f64 v[22:23], v[24:25], v[28:29]
	v_add_f64 v[24:25], v[22:23], -v[24:25]
	v_add_f64 v[24:25], v[28:29], -v[24:25]
	v_cvt_i32_f64_e32 v3, v[26:27]
.LBB8_133:
	s_or_b64 exec, exec, s[0:1]
	s_mov_b32 s0, 0
	v_mul_f64 v[26:27], v[16:17], v[16:17]
	s_mov_b32 s1, 0x40390000
	v_div_scale_f64 v[28:29], s[8:9], v[26:27], v[26:27], s[0:1]
	v_rcp_f64_e32 v[30:31], v[28:29]
	v_mov_b32_e32 v36, 0x55b218cd
	v_mov_b32_e32 v37, 0xc049b48c
	s_mov_b32 s8, 0x46cc5e42
	v_fma_f64 v[32:33], -v[28:29], v[30:31], 1.0
	v_fmac_f64_e32 v[30:31], v[30:31], v[32:33]
	v_fma_f64 v[32:33], -v[28:29], v[30:31], 1.0
	v_fmac_f64_e32 v[30:31], v[30:31], v[32:33]
	v_div_scale_f64 v[32:33], vcc, s[0:1], v[26:27], s[0:1]
	v_mul_f64 v[34:35], v[32:33], v[30:31]
	v_fma_f64 v[28:29], -v[28:29], v[34:35], v[32:33]
	v_mov_b32_e32 v32, 0xab5454e3
	s_nop 0
	v_div_fmas_f64 v[28:29], v[28:29], v[30:31], v[34:35]
	v_div_fixup_f64 v[28:29], v[28:29], v[26:27], s[0:1]
	v_mov_b32_e32 v26, 0x983b6b27
	v_mov_b32_e32 v27, 0x3f4a1d30
	v_fmac_f64_e32 v[26:27], 0, v[28:29]
	v_mov_b32_e32 v30, 0xb35dd1cf
	v_mov_b32_e32 v31, 0x3fb534b0
	v_fmac_f64_e32 v[30:31], v[28:29], v[26:27]
	;; [unrolled: 3-line block ×7, first 2 shown]
	v_mov_b32_e32 v33, 0x3fb5ebc5
	v_fmac_f64_e32 v[32:33], v[28:29], v[26:27]
	v_mov_b32_e32 v26, 0xc9b3069f
	v_mov_b32_e32 v27, 0x3ff40e72
	v_fmac_f64_e32 v[26:27], v[28:29], v[32:33]
	v_mov_b32_e32 v32, 0xe68162bb
	;; [unrolled: 3-line block ×10, first 2 shown]
	v_mov_b32_e32 v35, 0xc062627a
	v_fmac_f64_e32 v[34:35], v[28:29], v[26:27]
	v_fmac_f64_e32 v[36:37], v[28:29], v[34:35]
	v_mov_b32_e32 v26, 0xd1b9a1dd
	v_mov_b32_e32 v27, 0xc0183358
	v_mov_b32_e32 v34, 0x413c25ac
	v_mov_b32_e32 v35, 0x40501457
	v_fmac_f64_e32 v[26:27], v[28:29], v[36:37]
	v_fmac_f64_e32 v[34:35], 0, v[28:29]
	v_mov_b32_e32 v36, 0xb1759c7f
	v_mov_b32_e32 v37, 0x408ac370
	v_fmac_f64_e32 v[36:37], v[28:29], v[34:35]
	v_mov_b32_e32 v34, 0xbd748cb5
	v_mov_b32_e32 v35, 0x40ae54cd
	;; [unrolled: 3-line block ×5, first 2 shown]
	v_fma_f64 v[32:33], v[28:29], v[32:33], 1.0
	v_fmac_f64_e32 v[36:37], v[28:29], v[34:35]
	v_fma_f64 v[34:35], v[28:29], v[30:31], 1.0
	v_div_scale_f64 v[38:39], s[0:1], v[32:33], v[32:33], v[34:35]
	v_rcp_f64_e32 v[40:41], v[38:39]
	v_mov_b32_e32 v30, 0x6280a54
	v_mov_b32_e32 v31, 0x406e402f
	v_fmac_f64_e32 v[30:31], v[28:29], v[36:37]
	v_fma_f64 v[28:29], -v[38:39], v[40:41], 1.0
	v_fmac_f64_e32 v[40:41], v[40:41], v[28:29]
	v_fma_f64 v[28:29], -v[38:39], v[40:41], 1.0
	v_fmac_f64_e32 v[40:41], v[40:41], v[28:29]
	v_div_scale_f64 v[28:29], vcc, v[34:35], v[32:33], v[34:35]
	v_mul_f64 v[36:37], v[28:29], v[40:41]
	v_fma_f64 v[28:29], -v[38:39], v[36:37], v[28:29]
	s_mov_b32 s0, 0x9037ab78
	s_nop 0
	v_div_fmas_f64 v[28:29], v[28:29], v[40:41], v[36:37]
	v_div_fixup_f64 v[28:29], v[28:29], v[32:33], v[34:35]
	v_mul_f64 v[34:35], v[18:19], v[18:19]
	v_mul_f64 v[32:33], v[34:35], 0.5
	v_add_f64 v[36:37], -v[32:33], 1.0
	v_add_f64 v[38:39], -v[36:37], 1.0
	s_mov_b32 s1, 0x3e21eeb6
	v_add_f64 v[38:39], v[38:39], -v[32:33]
	s_mov_b32 s9, 0xbda907db
	v_mov_b64_e32 v[32:33], s[0:1]
	s_mov_b32 s10, 0xa17f65f6
	v_fma_f64 v[42:43], s[8:9], v[34:35], v[32:33]
	s_mov_b32 s11, 0xbe927e4f
	s_mov_b32 s12, 0x19f4ec90
	v_fma_f64 v[42:43], v[34:35], v[42:43], s[10:11]
	s_mov_b32 s13, 0x3efa01a0
	;; [unrolled: 3-line block ×4, first 2 shown]
	v_mul_f64 v[40:41], v[34:35], v[34:35]
	v_fma_f64 v[42:43], v[34:35], v[42:43], s[16:17]
	v_fma_f64 v[38:39], v[18:19], -v[20:21], v[38:39]
	s_mov_b32 s0, 0xb42fdfa7
	v_fmac_f64_e32 v[38:39], v[40:41], v[42:43]
	s_mov_b32 s1, 0xbe5ae600
	s_mov_b32 s18, 0xf9a43bb8
	v_add_f64 v[36:37], v[36:37], v[38:39]
	s_mov_b32 s19, 0x3de5e0b2
	v_mov_b64_e32 v[38:39], s[0:1]
	s_mov_b32 s20, 0x796cde01
	v_fma_f64 v[40:41], s[18:19], v[34:35], v[38:39]
	s_mov_b32 s21, 0x3ec71de3
	s_mov_b32 s22, 0x19e83e5c
	v_fma_f64 v[40:41], v[34:35], v[40:41], s[20:21]
	s_mov_b32 s23, 0xbf2a01a0
	;; [unrolled: 3-line block ×3, first 2 shown]
	v_fma_f64 v[40:41], v[34:35], v[40:41], s[24:25]
	v_mul_f64 v[42:43], v[18:19], -v[34:35]
	v_mul_f64 v[44:45], v[20:21], 0.5
	v_fmac_f64_e32 v[44:45], v[42:43], v[40:41]
	v_fma_f64 v[20:21], v[34:35], v[44:45], -v[20:21]
	s_mov_b32 s27, 0xbfc55555
	s_mov_b32 s26, s16
	v_fmac_f64_e32 v[20:21], s[26:27], v[42:43]
	v_and_b32_e32 v5, 1, v1
	s_mov_b32 s28, 0
	v_add_f64 v[18:19], v[18:19], -v[20:21]
	v_cmp_eq_u32_e32 vcc, 0, v5
	s_mov_b32 s29, 0x40140000
	s_movk_i32 s30, 0x1f8
	v_cndmask_b32_e32 v5, v36, v18, vcc
	v_cndmask_b32_e32 v7, v37, v19, vcc
	v_div_scale_f64 v[18:19], s[0:1], v[16:17], v[16:17], s[28:29]
	v_rcp_f64_e32 v[20:21], v[18:19]
	v_cmp_class_f64_e64 s[0:1], v[12:13], s30
	v_lshlrev_b32_e32 v1, 30, v1
	v_xor_b32_e32 v1, v1, v13
	v_fma_f64 v[34:35], -v[18:19], v[20:21], 1.0
	v_fmac_f64_e32 v[20:21], v[20:21], v[34:35]
	v_fma_f64 v[34:35], -v[18:19], v[20:21], 1.0
	v_fmac_f64_e32 v[20:21], v[20:21], v[34:35]
	v_div_scale_f64 v[34:35], vcc, s[28:29], v[16:17], s[28:29]
	v_mul_f64 v[36:37], v[34:35], v[20:21]
	v_fma_f64 v[18:19], -v[18:19], v[36:37], v[34:35]
	v_div_scale_f64 v[34:35], s[30:31], v[30:31], v[30:31], v[26:27]
	v_rcp_f64_e32 v[40:41], v[34:35]
	v_div_fmas_f64 v[18:19], v[18:19], v[20:21], v[36:37]
	v_div_fixup_f64 v[18:19], v[18:19], v[16:17], s[28:29]
	v_and_b32_e32 v1, 0x80000000, v1
	v_fma_f64 v[20:21], -v[34:35], v[40:41], 1.0
	v_fmac_f64_e32 v[40:41], v[40:41], v[20:21]
	v_fma_f64 v[20:21], -v[34:35], v[40:41], 1.0
	v_fmac_f64_e32 v[40:41], v[40:41], v[20:21]
	v_div_scale_f64 v[20:21], vcc, v[26:27], v[30:31], v[26:27]
	v_mul_f64 v[36:37], v[20:21], v[40:41]
	v_fma_f64 v[20:21], -v[34:35], v[36:37], v[20:21]
	v_xor_b32_e32 v1, v7, v1
	s_nop 0
	v_div_fmas_f64 v[20:21], v[20:21], v[40:41], v[36:37]
	v_div_fixup_f64 v[20:21], v[20:21], v[30:31], v[26:27]
	v_mul_f64 v[18:19], v[18:19], v[20:21]
	v_mul_f64 v[20:21], v[22:23], v[22:23]
	v_mul_f64 v[26:27], v[20:21], 0.5
	v_fmac_f64_e32 v[32:33], s[8:9], v[20:21]
	v_add_f64 v[30:31], -v[26:27], 1.0
	v_fma_f64 v[32:33], v[20:21], v[32:33], s[10:11]
	v_add_f64 v[34:35], -v[30:31], 1.0
	v_fma_f64 v[32:33], v[20:21], v[32:33], s[12:13]
	v_add_f64 v[26:27], v[34:35], -v[26:27]
	v_fma_f64 v[32:33], v[20:21], v[32:33], s[14:15]
	v_mul_f64 v[34:35], v[20:21], v[20:21]
	v_fma_f64 v[32:33], v[20:21], v[32:33], s[16:17]
	v_fma_f64 v[26:27], v[22:23], -v[24:25], v[26:27]
	v_fmac_f64_e32 v[26:27], v[34:35], v[32:33]
	v_fmac_f64_e32 v[38:39], s[18:19], v[20:21]
	v_add_f64 v[26:27], v[30:31], v[26:27]
	v_fma_f64 v[30:31], v[20:21], v[38:39], s[20:21]
	v_fma_f64 v[30:31], v[20:21], v[30:31], s[22:23]
	;; [unrolled: 1-line block ×3, first 2 shown]
	v_mul_f64 v[32:33], v[22:23], -v[20:21]
	v_mul_f64 v[34:35], v[24:25], 0.5
	v_fmac_f64_e32 v[34:35], v[32:33], v[30:31]
	v_fma_f64 v[20:21], v[20:21], v[34:35], -v[24:25]
	v_fmac_f64_e32 v[20:21], s[26:27], v[32:33]
	v_cndmask_b32_e64 v12, 0, v5, s[0:1]
	v_mov_b32_e32 v5, 0x7ff80000
	v_add_f64 v[20:21], v[22:23], -v[20:21]
	v_and_b32_e32 v7, 1, v3
	v_cndmask_b32_e64 v13, v5, v1, s[0:1]
	v_xor_b32_e32 v1, 0x80000000, v21
	v_cmp_eq_u32_e32 vcc, 0, v7
	v_lshlrev_b32_e32 v3, 30, v3
	v_and_b32_e32 v3, 0x80000000, v3
	v_cndmask_b32_e32 v1, v1, v27, vcc
	v_cndmask_b32_e32 v7, v20, v26, vcc
	v_xor_b32_e32 v1, v1, v3
	v_cndmask_b32_e64 v20, 0, v7, s[0:1]
	v_cndmask_b32_e64 v21, v5, v1, s[0:1]
	s_mov_b32 s0, 0
	s_brev_b32 s1, 8
	v_cmp_gt_f64_e32 vcc, s[0:1], v[16:17]
	v_mul_f64 v[18:19], v[18:19], v[20:21]
	v_fmac_f64_e32 v[18:19], v[28:29], v[12:13]
	v_cndmask_b32_e64 v1, 0, 1, vcc
	v_lshlrev_b32_e32 v1, 8, v1
	v_ldexp_f64 v[12:13], v[16:17], v1
	v_rsq_f64_e32 v[16:17], v[12:13]
	v_mov_b32_e32 v1, 0xffffff80
	v_cndmask_b32_e32 v1, 0, v1, vcc
	s_mov_b32 s0, 0x33d43651
	v_mul_f64 v[20:21], v[12:13], v[16:17]
	v_mul_f64 v[16:17], v[16:17], 0.5
	v_fma_f64 v[22:23], -v[16:17], v[20:21], 0.5
	v_fmac_f64_e32 v[20:21], v[20:21], v[22:23]
	v_fma_f64 v[24:25], -v[20:21], v[20:21], v[12:13]
	v_fmac_f64_e32 v[16:17], v[16:17], v[22:23]
	v_fmac_f64_e32 v[20:21], v[24:25], v[16:17]
	v_fma_f64 v[22:23], -v[20:21], v[20:21], v[12:13]
	v_fmac_f64_e32 v[20:21], v[22:23], v[16:17]
	v_ldexp_f64 v[16:17], v[20:21], v1
	v_mov_b32_e32 v1, 0x260
	s_mov_b32 s1, 0x3fe98845
	v_cmp_class_f64_e32 vcc, v[12:13], v1
	v_mul_f64 v[18:19], v[18:19], s[0:1]
	s_nop 0
	v_cndmask_b32_e32 v13, v17, v13, vcc
	v_cndmask_b32_e32 v12, v16, v12, vcc
	v_div_scale_f64 v[16:17], s[0:1], v[12:13], v[12:13], v[18:19]
	v_rcp_f64_e32 v[20:21], v[16:17]
	s_nop 0
	v_fma_f64 v[22:23], -v[16:17], v[20:21], 1.0
	v_fmac_f64_e32 v[20:21], v[20:21], v[22:23]
	v_fma_f64 v[22:23], -v[16:17], v[20:21], 1.0
	v_fmac_f64_e32 v[20:21], v[20:21], v[22:23]
	v_div_scale_f64 v[22:23], vcc, v[18:19], v[12:13], v[18:19]
	v_mul_f64 v[24:25], v[22:23], v[20:21]
	v_fma_f64 v[16:17], -v[16:17], v[24:25], v[22:23]
	s_nop 1
	v_div_fmas_f64 v[16:17], v[16:17], v[20:21], v[24:25]
	v_div_fixup_f64 v[12:13], v[16:17], v[12:13], v[18:19]
.LBB8_134:
	s_or_b64 exec, exec, s[2:3]
	global_load_dwordx2 v[10:11], v10, s[6:7]
	s_mov_b32 s0, 0
	s_mov_b32 s1, 0x40140000
                                        ; implicit-def: $vgpr18_vgpr19
	s_waitcnt vmcnt(0)
	v_cmp_ge_f64_e32 vcc, s[0:1], v[10:11]
	s_and_saveexec_b64 s[0:1], vcc
	s_xor_b64 s[0:1], exec, s[0:1]
	s_cbranch_execz .LBB8_144
; %bb.135:
	v_mov_b32_e32 v18, 0
	v_cmp_neq_f64_e32 vcc, 0, v[10:11]
	v_mov_b32_e32 v19, 0xfff00000
	s_and_saveexec_b64 s[2:3], vcc
	s_cbranch_execz .LBB8_143
; %bb.136:
	v_mov_b32_e32 v18, 0
	v_cmp_ngt_f64_e32 vcc, 0, v[10:11]
	v_mov_b32_e32 v19, 0x7ff80000
	s_and_saveexec_b64 s[6:7], vcc
	s_cbranch_execz .LBB8_142
; %bb.137:
	s_mov_b32 s8, 0x88e368f1
	v_mul_f64 v[18:19], v[10:11], v[10:11]
	s_mov_b32 s9, 0x3ee4f8b5
	v_mul_f64 v[20:21], v[18:19], 0
	v_cmp_ngt_f64_e32 vcc, s[8:9], v[10:11]
                                        ; implicit-def: $vgpr16_vgpr17
	s_and_saveexec_b64 s[8:9], vcc
	s_xor_b64 s[8:9], exec, s[8:9]
	s_cbranch_execz .LBB8_139
; %bb.138:
	s_mov_b32 s10, 0xad1c8325
	s_mov_b32 s11, 0xc1f1dc53
	v_add_f64 v[16:17], v[20:21], s[10:11]
	v_mov_b32_e32 v22, 0xc772990d
	v_mov_b32_e32 v23, 0x427c7751
	s_mov_b32 s10, 0xa696b78c
	v_fmac_f64_e32 v[22:23], v[18:19], v[16:17]
	v_mov_b32_e32 v16, 0xe0d900f7
	v_mov_b32_e32 v17, 0xc2ec5614
	s_mov_b32 s11, 0x407f3902
	v_fmac_f64_e32 v[16:17], v[18:19], v[22:23]
	v_add_f64 v[22:23], v[20:21], s[10:11]
	v_mov_b32_e32 v24, 0x36a21a67
	v_mov_b32_e32 v25, 0x410536cb
	v_fmac_f64_e32 v[24:25], v[18:19], v[22:23]
	v_mov_b32_e32 v22, 0x2eac0634
	v_mov_b32_e32 v23, 0x41871934
	v_fmac_f64_e32 v[22:23], v[18:19], v[24:25]
	;; [unrolled: 3-line block ×6, first 2 shown]
	v_mov_b32_e32 v24, 0xc7b662cc
	v_mov_b32_e32 v25, 0x43b7be34
	s_mov_b32 s10, 0x80462bbb
	v_fmac_f64_e32 v[24:25], v[18:19], v[22:23]
	v_mov_b32_e32 v22, 0x69ff5fb4
	v_mov_b32_e32 v23, 0x43413ef8
	s_mov_b32 s11, 0xc01721fb
	v_fmac_f64_e32 v[22:23], v[18:19], v[16:17]
	v_add_f64 v[16:17], v[18:19], s[10:11]
	s_mov_b32 s10, 0xa621dd6f
	s_mov_b32 s11, 0xc03e78a4
	v_add_f64 v[26:27], v[18:19], s[10:11]
	v_mul_f64 v[16:17], v[16:17], v[26:27]
	v_mul_f64 v[16:17], v[16:17], v[22:23]
	v_div_scale_f64 v[22:23], s[10:11], v[24:25], v[24:25], v[16:17]
	v_rcp_f64_e32 v[26:27], v[22:23]
	s_nop 0
	v_fma_f64 v[28:29], -v[22:23], v[26:27], 1.0
	v_fmac_f64_e32 v[26:27], v[26:27], v[28:29]
	v_fma_f64 v[28:29], -v[22:23], v[26:27], 1.0
	v_fmac_f64_e32 v[26:27], v[26:27], v[28:29]
	v_div_scale_f64 v[28:29], vcc, v[16:17], v[24:25], v[16:17]
	v_mul_f64 v[30:31], v[28:29], v[26:27]
	v_fma_f64 v[22:23], -v[22:23], v[30:31], v[28:29]
	s_nop 1
	v_div_fmas_f64 v[22:23], v[22:23], v[26:27], v[30:31]
	v_div_fixup_f64 v[16:17], v[22:23], v[24:25], v[16:17]
.LBB8_139:
	s_andn2_saveexec_b64 s[8:9], s[8:9]
; %bb.140:
	s_mov_b32 s10, 0
	s_mov_b32 s11, 0xbfd00000
	v_fma_f64 v[16:17], v[18:19], s[10:11], 1.0
; %bb.141:
	s_or_b64 exec, exec, s[8:9]
	s_mov_b32 s8, 0xe896898f
	s_mov_b32 s9, 0x40ce7437
	v_add_f64 v[22:23], v[20:21], s[8:9]
	v_mov_b32_e32 v24, 0x32e48896
	v_mov_b32_e32 v25, 0xc16bf81f
	v_fmac_f64_e32 v[24:25], v[18:19], v[22:23]
	v_mov_b32_e32 v22, 0xf0284cdd
	v_mov_b32_e32 v23, 0x41f43f78
	v_fmac_f64_e32 v[22:23], v[18:19], v[24:25]
	;; [unrolled: 3-line block ×4, first 2 shown]
	v_mov_b32_e32 v24, 0xd1d8cc02
	v_mov_b32_e32 v25, 0xc328a121
	s_mov_b32 s8, 0x576dfcb6
	v_fmac_f64_e32 v[24:25], v[18:19], v[22:23]
	v_mov_b32_e32 v22, 0x660b4003
	v_mov_b32_e32 v23, 0x4363a94b
	s_mov_b32 s9, 0x40904522
	v_fmac_f64_e32 v[22:23], v[18:19], v[24:25]
	v_add_f64 v[20:21], v[20:21], s[8:9]
	v_mov_b32_e32 v24, 0xa907bc0c
	v_mov_b32_e32 v25, 0x41231b76
	v_fmac_f64_e32 v[24:25], v[18:19], v[20:21]
	v_mov_b32_e32 v20, 0x5164d101
	v_mov_b32_e32 v21, 0x41b00763
	v_fmac_f64_e32 v[20:21], v[18:19], v[24:25]
	;; [unrolled: 3-line block ×7, first 2 shown]
	v_div_scale_f64 v[18:19], s[8:9], v[20:21], v[20:21], v[24:25]
	v_rcp_f64_e32 v[22:23], v[18:19]
	s_mov_b32 s8, 0x55555555
	v_frexp_exp_i32_f64_e32 v1, v[10:11]
	v_frexp_mant_f64_e32 v[10:11], v[10:11]
	v_fma_f64 v[26:27], -v[18:19], v[22:23], 1.0
	v_fmac_f64_e32 v[22:23], v[22:23], v[26:27]
	v_fma_f64 v[26:27], -v[18:19], v[22:23], 1.0
	v_fmac_f64_e32 v[22:23], v[22:23], v[26:27]
	v_div_scale_f64 v[26:27], vcc, v[24:25], v[20:21], v[24:25]
	v_mul_f64 v[28:29], v[26:27], v[22:23]
	v_fma_f64 v[18:19], -v[18:19], v[28:29], v[26:27]
	s_mov_b32 s9, 0x3fe55555
	s_nop 0
	v_div_fmas_f64 v[18:19], v[18:19], v[22:23], v[28:29]
	v_mov_b32_e32 v3, 0x3ff00000
	v_cmp_gt_f64_e32 vcc, s[8:9], v[10:11]
	v_div_fixup_f64 v[18:19], v[18:19], v[20:21], v[24:25]
	v_mov_b32_e32 v20, 0
	v_cndmask_b32_e64 v21, v3, 2.0, vcc
	v_mul_f64 v[10:11], v[10:11], v[20:21]
	v_add_f64 v[20:21], v[10:11], 1.0
	v_rcp_f64_e32 v[22:23], v[20:21]
	v_add_f64 v[26:27], v[20:21], -1.0
	v_add_f64 v[24:25], v[10:11], -1.0
	v_add_f64 v[10:11], v[10:11], -v[26:27]
	v_fma_f64 v[26:27], -v[20:21], v[22:23], 1.0
	v_fmac_f64_e32 v[22:23], v[26:27], v[22:23]
	v_fma_f64 v[26:27], -v[20:21], v[22:23], 1.0
	v_fmac_f64_e32 v[22:23], v[26:27], v[22:23]
	v_mul_f64 v[26:27], v[24:25], v[22:23]
	v_mul_f64 v[28:29], v[20:21], v[26:27]
	v_fma_f64 v[20:21], v[26:27], v[20:21], -v[28:29]
	v_fmac_f64_e32 v[20:21], v[26:27], v[10:11]
	v_add_f64 v[10:11], v[28:29], v[20:21]
	v_add_f64 v[30:31], v[24:25], -v[10:11]
	v_add_f64 v[28:29], v[10:11], -v[28:29]
	;; [unrolled: 1-line block ×5, first 2 shown]
	v_add_f64 v[10:11], v[20:21], v[10:11]
	v_add_f64 v[10:11], v[30:31], v[10:11]
	v_mul_f64 v[10:11], v[22:23], v[10:11]
	v_add_f64 v[20:21], v[26:27], v[10:11]
	v_add_f64 v[22:23], v[20:21], -v[26:27]
	s_mov_b32 s8, 0xbf559e2b
	v_add_f64 v[10:11], v[10:11], -v[22:23]
	v_mul_f64 v[22:23], v[20:21], v[20:21]
	v_mov_b32_e32 v24, 0x6b47b09a
	v_mov_b32_e32 v25, 0x3fc38538
	s_mov_b32 s9, 0x3fc3ab76
	v_fmac_f64_e32 v[24:25], s[8:9], v[22:23]
	v_mov_b32_e32 v26, 0xd7f4df2e
	v_mov_b32_e32 v27, 0x3fc7474d
	v_fmac_f64_e32 v[26:27], v[22:23], v[24:25]
	v_mov_b32_e32 v24, 0x16291751
	v_mov_b32_e32 v25, 0x3fcc71c0
	;; [unrolled: 3-line block ×5, first 2 shown]
	v_fmac_f64_e32 v[26:27], v[22:23], v[24:25]
	v_ldexp_f64 v[24:25], v[20:21], 1
	v_mul_f64 v[20:21], v[20:21], v[22:23]
	v_mul_f64 v[20:21], v[20:21], v[26:27]
	v_add_f64 v[22:23], v[24:25], v[20:21]
	v_add_f64 v[24:25], v[22:23], -v[24:25]
	v_ldexp_f64 v[10:11], v[10:11], 1
	v_add_f64 v[20:21], v[20:21], -v[24:25]
	v_add_f64 v[10:11], v[10:11], v[20:21]
	v_add_f64 v[20:21], v[22:23], v[10:11]
	v_subbrev_co_u32_e32 v1, vcc, 0, v1, vcc
	v_add_f64 v[22:23], v[20:21], -v[22:23]
	s_mov_b32 s8, 0xfefa39ef
	v_add_f64 v[10:11], v[10:11], -v[22:23]
	v_cvt_f64_i32_e32 v[22:23], v1
	s_mov_b32 s9, 0x3fe62e42
	v_mul_f64 v[24:25], v[22:23], s[8:9]
	v_fma_f64 v[26:27], v[22:23], s[8:9], -v[24:25]
	s_mov_b32 s8, 0x3b39803f
	s_mov_b32 s9, 0x3c7abc9e
	v_fmac_f64_e32 v[26:27], s[8:9], v[22:23]
	v_add_f64 v[22:23], v[24:25], v[26:27]
	v_add_f64 v[24:25], v[22:23], -v[24:25]
	v_add_f64 v[24:25], v[26:27], -v[24:25]
	v_add_f64 v[26:27], v[22:23], v[20:21]
	v_add_f64 v[28:29], v[26:27], -v[22:23]
	v_add_f64 v[30:31], v[26:27], -v[28:29]
	v_add_f64 v[22:23], v[22:23], -v[30:31]
	v_add_f64 v[20:21], v[20:21], -v[28:29]
	v_add_f64 v[20:21], v[20:21], v[22:23]
	v_add_f64 v[22:23], v[24:25], v[10:11]
	v_add_f64 v[28:29], v[22:23], -v[24:25]
	v_add_f64 v[30:31], v[22:23], -v[28:29]
	v_add_f64 v[20:21], v[22:23], v[20:21]
	v_add_f64 v[24:25], v[24:25], -v[30:31]
	v_add_f64 v[10:11], v[10:11], -v[28:29]
	v_add_f64 v[22:23], v[26:27], v[20:21]
	v_add_f64 v[10:11], v[10:11], v[24:25]
	v_add_f64 v[24:25], v[22:23], -v[26:27]
	v_add_f64 v[20:21], v[20:21], -v[24:25]
	v_add_f64 v[10:11], v[10:11], v[20:21]
	s_mov_b32 s8, 0x6dc9c883
	v_add_f64 v[10:11], v[22:23], v[10:11]
	s_mov_b32 s9, 0x3fe45f30
	v_mul_f64 v[10:11], v[10:11], s[8:9]
	v_fmac_f64_e32 v[18:19], v[10:11], v[16:17]
.LBB8_142:
	s_or_b64 exec, exec, s[6:7]
.LBB8_143:
	s_or_b64 exec, exec, s[2:3]
                                        ; implicit-def: $vgpr10_vgpr11
.LBB8_144:
	s_andn2_saveexec_b64 s[2:3], s[0:1]
	s_cbranch_execz .LBB8_154
; %bb.145:
	s_mov_b32 s9, 0xbfe921fb
	s_mov_b32 s8, 0x54442d18
	s_mov_b32 s0, 0
	v_add_f64 v[16:17], v[10:11], s[8:9]
	s_mov_b32 s1, 0x41d00000
	v_cmp_nlt_f64_e64 s[6:7], |v[16:17]|, s[0:1]
	v_trig_preop_f64 v[30:31], |v[16:17]|, 0
	v_trig_preop_f64 v[28:29], |v[16:17]|, 1
	;; [unrolled: 1-line block ×3, first 2 shown]
                                        ; implicit-def: $vgpr1
                                        ; implicit-def: $vgpr18_vgpr19
                                        ; implicit-def: $vgpr20_vgpr21
	s_and_saveexec_b64 s[0:1], s[6:7]
	s_xor_b64 s[10:11], exec, s[0:1]
	s_cbranch_execz .LBB8_147
; %bb.146:
	s_mov_b32 s0, 0
	s_mov_b32 s1, 0x7b000000
	s_movk_i32 s9, 0xff80
	v_and_b32_e32 v1, 0x7fffffff, v17
	v_ldexp_f64 v[18:19], |v[16:17]|, s9
	v_cmp_ge_f64_e64 vcc, |v[16:17]|, s[0:1]
	s_mov_b32 s0, 0
	s_mov_b32 s1, 0x7ff00000
	v_cndmask_b32_e32 v19, v1, v19, vcc
	v_cndmask_b32_e32 v18, v16, v18, vcc
	v_mul_f64 v[22:23], v[30:31], v[18:19]
	v_mul_f64 v[20:21], v[28:29], v[18:19]
	v_fma_f64 v[24:25], v[30:31], v[18:19], -v[22:23]
	v_add_f64 v[32:33], v[20:21], v[24:25]
	v_add_f64 v[34:35], v[22:23], v[32:33]
	v_ldexp_f64 v[36:37], v[34:35], -2
	v_fract_f64_e32 v[38:39], v[36:37]
	v_cmp_neq_f64_e64 vcc, |v[36:37]|, s[0:1]
	v_add_f64 v[22:23], v[34:35], -v[22:23]
	v_add_f64 v[22:23], v[32:33], -v[22:23]
	v_cndmask_b32_e32 v37, 0, v39, vcc
	v_cndmask_b32_e32 v36, 0, v38, vcc
	v_add_f64 v[38:39], v[32:33], -v[20:21]
	v_add_f64 v[24:25], v[24:25], -v[38:39]
	v_add_f64 v[38:39], v[32:33], -v[38:39]
	v_add_f64 v[38:39], v[20:21], -v[38:39]
	v_add_f64 v[24:25], v[24:25], v[38:39]
	v_fma_f64 v[20:21], v[28:29], v[18:19], -v[20:21]
	v_mul_f64 v[38:39], v[26:27], v[18:19]
	v_add_f64 v[42:43], v[38:39], v[20:21]
	v_add_f64 v[44:45], v[42:43], v[24:25]
	v_add_f64 v[34:35], v[44:45], -v[42:43]
	v_add_f64 v[24:25], v[24:25], -v[34:35]
	;; [unrolled: 1-line block ×4, first 2 shown]
	v_add_f64 v[24:25], v[24:25], v[34:35]
	v_add_f64 v[34:35], v[42:43], -v[38:39]
	v_add_f64 v[20:21], v[20:21], -v[34:35]
	;; [unrolled: 1-line block ×4, first 2 shown]
	v_add_f64 v[32:33], v[22:23], v[44:45]
	v_add_f64 v[20:21], v[20:21], v[34:35]
	v_add_f64 v[22:23], v[32:33], -v[22:23]
	v_add_f64 v[20:21], v[20:21], v[24:25]
	v_fma_f64 v[18:19], v[26:27], v[18:19], -v[38:39]
	v_add_f64 v[22:23], v[44:45], -v[22:23]
	v_add_f64 v[18:19], v[18:19], v[20:21]
	v_ldexp_f64 v[20:21], v[36:37], 2
	v_add_f64 v[18:19], v[22:23], v[18:19]
	v_add_f64 v[22:23], v[32:33], v[20:21]
	v_mov_b32_e32 v1, 0x40100000
	v_cmp_gt_f64_e32 vcc, 0, v[22:23]
	v_mov_b32_e32 v40, 0
	v_mov_b32_e32 v3, 0x3ff00000
	v_cndmask_b32_e32 v41, 0, v1, vcc
	v_add_f64 v[20:21], v[20:21], v[40:41]
	v_add_f64 v[22:23], v[32:33], v[20:21]
	v_cvt_i32_f64_e32 v1, v[22:23]
	v_cvt_f64_i32_e32 v[22:23], v1
	v_add_f64 v[20:21], v[20:21], -v[22:23]
	v_add_f64 v[22:23], v[32:33], v[20:21]
	v_add_f64 v[20:21], v[22:23], -v[20:21]
	v_cmp_le_f64_e32 vcc, 0.5, v[22:23]
	v_add_f64 v[20:21], v[32:33], -v[20:21]
	v_add_f64 v[18:19], v[18:19], v[20:21]
	v_cndmask_b32_e32 v41, 0, v3, vcc
	v_add_f64 v[20:21], v[22:23], -v[40:41]
	v_add_f64 v[22:23], v[20:21], v[18:19]
	v_addc_co_u32_e64 v1, s[0:1], 0, v1, vcc
	v_add_f64 v[20:21], v[22:23], -v[20:21]
	s_mov_b32 s9, 0x3ff921fb
	v_add_f64 v[18:19], v[18:19], -v[20:21]
	v_mul_f64 v[20:21], v[22:23], s[8:9]
	s_mov_b32 s0, 0x33145c07
	v_fma_f64 v[24:25], v[22:23], s[8:9], -v[20:21]
	s_mov_b32 s1, 0x3c91a626
	v_fmac_f64_e32 v[24:25], s[0:1], v[22:23]
	v_fmac_f64_e32 v[24:25], s[8:9], v[18:19]
	v_add_f64 v[18:19], v[20:21], v[24:25]
	v_add_f64 v[20:21], v[18:19], -v[20:21]
	v_add_f64 v[20:21], v[24:25], -v[20:21]
	s_andn2_saveexec_b64 s[0:1], s[10:11]
	s_cbranch_execz .LBB8_149
	s_branch .LBB8_148
.LBB8_147:
	s_andn2_saveexec_b64 s[0:1], s[10:11]
	s_cbranch_execz .LBB8_149
.LBB8_148:
	s_mov_b32 s8, 0x6dc9c883
	s_mov_b32 s9, 0x3fe45f30
	v_mul_f64 v[18:19], |v[16:17]|, s[8:9]
	s_mov_b32 s8, 0x54442d18
	v_rndne_f64_e32 v[22:23], v[18:19]
	s_mov_b32 s9, 0xbff921fb
	v_fma_f64 v[18:19], v[22:23], s[8:9], |v[16:17]|
	s_mov_b32 s9, 0xbc91a626
	s_mov_b32 s8, 0x33145c00
	v_mul_f64 v[24:25], v[22:23], s[8:9]
	v_add_f64 v[34:35], v[18:19], v[24:25]
	v_fma_f64 v[20:21], s[8:9], v[22:23], v[18:19]
	s_mov_b32 s9, 0x3c91a626
	v_add_f64 v[18:19], v[18:19], -v[34:35]
	v_fma_f64 v[32:33], s[8:9], v[22:23], v[24:25]
	v_add_f64 v[18:19], v[18:19], v[24:25]
	v_add_f64 v[24:25], v[34:35], -v[20:21]
	v_add_f64 v[18:19], v[24:25], v[18:19]
	s_mov_b32 s8, 0x252049c0
	v_add_f64 v[24:25], v[18:19], -v[32:33]
	s_mov_b32 s9, 0xb97b839a
	v_fmac_f64_e32 v[24:25], s[8:9], v[22:23]
	v_add_f64 v[18:19], v[20:21], v[24:25]
	v_add_f64 v[20:21], v[18:19], -v[20:21]
	v_add_f64 v[20:21], v[24:25], -v[20:21]
	v_cvt_i32_f64_e32 v1, v[22:23]
.LBB8_149:
	s_or_b64 exec, exec, s[0:1]
                                        ; implicit-def: $vgpr3
                                        ; implicit-def: $vgpr22_vgpr23
                                        ; implicit-def: $vgpr24_vgpr25
	s_and_saveexec_b64 s[0:1], s[6:7]
	s_xor_b64 s[6:7], exec, s[0:1]
	s_cbranch_execz .LBB8_151
; %bb.150:
	s_mov_b32 s0, 0
	s_mov_b32 s1, 0x7b000000
	s_movk_i32 s8, 0xff80
	v_and_b32_e32 v3, 0x7fffffff, v17
	v_ldexp_f64 v[22:23], |v[16:17]|, s8
	v_cmp_ge_f64_e64 vcc, |v[16:17]|, s[0:1]
	s_mov_b32 s0, 0
	s_mov_b32 s1, 0x7ff00000
	v_cndmask_b32_e32 v23, v3, v23, vcc
	v_cndmask_b32_e32 v22, v16, v22, vcc
	v_mul_f64 v[32:33], v[30:31], v[22:23]
	v_mul_f64 v[24:25], v[28:29], v[22:23]
	v_fma_f64 v[30:31], v[30:31], v[22:23], -v[32:33]
	v_add_f64 v[34:35], v[24:25], v[30:31]
	v_add_f64 v[36:37], v[32:33], v[34:35]
	v_ldexp_f64 v[38:39], v[36:37], -2
	v_fract_f64_e32 v[40:41], v[38:39]
	v_cmp_neq_f64_e64 vcc, |v[38:39]|, s[0:1]
	v_add_f64 v[32:33], v[36:37], -v[32:33]
	v_add_f64 v[32:33], v[34:35], -v[32:33]
	v_cndmask_b32_e32 v39, 0, v41, vcc
	v_cndmask_b32_e32 v38, 0, v40, vcc
	v_add_f64 v[40:41], v[34:35], -v[24:25]
	v_add_f64 v[30:31], v[30:31], -v[40:41]
	;; [unrolled: 1-line block ×4, first 2 shown]
	v_fma_f64 v[24:25], v[28:29], v[22:23], -v[24:25]
	v_mul_f64 v[28:29], v[26:27], v[22:23]
	v_add_f64 v[30:31], v[30:31], v[40:41]
	v_add_f64 v[40:41], v[28:29], v[24:25]
	;; [unrolled: 1-line block ×3, first 2 shown]
	v_add_f64 v[36:37], v[44:45], -v[40:41]
	v_add_f64 v[30:31], v[30:31], -v[36:37]
	;; [unrolled: 1-line block ×4, first 2 shown]
	v_add_f64 v[30:31], v[30:31], v[36:37]
	v_add_f64 v[36:37], v[40:41], -v[28:29]
	v_add_f64 v[24:25], v[24:25], -v[36:37]
	;; [unrolled: 1-line block ×4, first 2 shown]
	v_add_f64 v[24:25], v[24:25], v[36:37]
	v_add_f64 v[24:25], v[24:25], v[30:31]
	v_fma_f64 v[22:23], v[26:27], v[22:23], -v[28:29]
	v_add_f64 v[34:35], v[32:33], v[44:45]
	v_add_f64 v[22:23], v[22:23], v[24:25]
	v_ldexp_f64 v[24:25], v[38:39], 2
	v_add_f64 v[26:27], v[34:35], v[24:25]
	v_mov_b32_e32 v3, 0x40100000
	v_cmp_gt_f64_e32 vcc, 0, v[26:27]
	v_mov_b32_e32 v42, 0
	v_add_f64 v[32:33], v[34:35], -v[32:33]
	v_cndmask_b32_e32 v43, 0, v3, vcc
	v_add_f64 v[24:25], v[24:25], v[42:43]
	v_add_f64 v[26:27], v[34:35], v[24:25]
	v_cvt_i32_f64_e32 v3, v[26:27]
	v_cvt_f64_i32_e32 v[26:27], v3
	v_add_f64 v[24:25], v[24:25], -v[26:27]
	v_add_f64 v[26:27], v[34:35], v[24:25]
	v_add_f64 v[32:33], v[44:45], -v[32:33]
	v_add_f64 v[24:25], v[26:27], -v[24:25]
	v_cmp_le_f64_e32 vcc, 0.5, v[26:27]
	v_mov_b32_e32 v5, 0x3ff00000
	v_add_f64 v[22:23], v[32:33], v[22:23]
	v_add_f64 v[24:25], v[34:35], -v[24:25]
	v_cndmask_b32_e32 v43, 0, v5, vcc
	v_add_f64 v[22:23], v[22:23], v[24:25]
	v_addc_co_u32_e64 v3, s[0:1], 0, v3, vcc
	v_add_f64 v[24:25], v[26:27], -v[42:43]
	v_add_f64 v[26:27], v[24:25], v[22:23]
	s_mov_b32 s0, 0x54442d18
	v_add_f64 v[24:25], v[26:27], -v[24:25]
	s_mov_b32 s1, 0x3ff921fb
	v_add_f64 v[22:23], v[22:23], -v[24:25]
	v_mul_f64 v[24:25], v[26:27], s[0:1]
	s_mov_b32 s8, 0x33145c07
	v_fma_f64 v[28:29], v[26:27], s[0:1], -v[24:25]
	s_mov_b32 s9, 0x3c91a626
	v_fmac_f64_e32 v[28:29], s[8:9], v[26:27]
	v_fmac_f64_e32 v[28:29], s[0:1], v[22:23]
	v_add_f64 v[22:23], v[24:25], v[28:29]
	v_add_f64 v[24:25], v[22:23], -v[24:25]
	v_add_f64 v[24:25], v[28:29], -v[24:25]
	s_andn2_saveexec_b64 s[0:1], s[6:7]
	s_cbranch_execnz .LBB8_152
	s_branch .LBB8_153
.LBB8_151:
	s_andn2_saveexec_b64 s[0:1], s[6:7]
	s_cbranch_execz .LBB8_153
.LBB8_152:
	s_mov_b32 s6, 0x6dc9c883
	s_mov_b32 s7, 0x3fe45f30
	v_mul_f64 v[22:23], |v[16:17]|, s[6:7]
	s_mov_b32 s6, 0x54442d18
	v_rndne_f64_e32 v[26:27], v[22:23]
	s_mov_b32 s7, 0xbff921fb
	v_fma_f64 v[22:23], v[26:27], s[6:7], |v[16:17]|
	s_mov_b32 s7, 0xbc91a626
	s_mov_b32 s6, 0x33145c00
	v_mul_f64 v[28:29], v[26:27], s[6:7]
	v_add_f64 v[32:33], v[22:23], v[28:29]
	v_fma_f64 v[24:25], s[6:7], v[26:27], v[22:23]
	s_mov_b32 s7, 0x3c91a626
	v_add_f64 v[22:23], v[22:23], -v[32:33]
	v_fma_f64 v[30:31], s[6:7], v[26:27], v[28:29]
	v_add_f64 v[22:23], v[22:23], v[28:29]
	v_add_f64 v[28:29], v[32:33], -v[24:25]
	v_add_f64 v[22:23], v[28:29], v[22:23]
	s_mov_b32 s6, 0x252049c0
	v_add_f64 v[28:29], v[22:23], -v[30:31]
	s_mov_b32 s7, 0xb97b839a
	v_fmac_f64_e32 v[28:29], s[6:7], v[26:27]
	v_add_f64 v[22:23], v[24:25], v[28:29]
	v_add_f64 v[24:25], v[22:23], -v[24:25]
	v_add_f64 v[24:25], v[28:29], -v[24:25]
	v_cvt_i32_f64_e32 v3, v[26:27]
.LBB8_153:
	s_or_b64 exec, exec, s[0:1]
	s_mov_b32 s0, 0
	v_mul_f64 v[26:27], v[10:11], v[10:11]
	s_mov_b32 s1, 0x40390000
	v_div_scale_f64 v[28:29], s[6:7], v[26:27], v[26:27], s[0:1]
	v_rcp_f64_e32 v[30:31], v[28:29]
	v_mov_b32_e32 v36, 0x55b218cd
	v_mov_b32_e32 v37, 0xc049b48c
	s_mov_b32 s6, 0x46cc5e42
	v_fma_f64 v[32:33], -v[28:29], v[30:31], 1.0
	v_fmac_f64_e32 v[30:31], v[30:31], v[32:33]
	v_fma_f64 v[32:33], -v[28:29], v[30:31], 1.0
	v_fmac_f64_e32 v[30:31], v[30:31], v[32:33]
	v_div_scale_f64 v[32:33], vcc, s[0:1], v[26:27], s[0:1]
	v_mul_f64 v[34:35], v[32:33], v[30:31]
	v_fma_f64 v[28:29], -v[28:29], v[34:35], v[32:33]
	v_mov_b32_e32 v32, 0xab5454e3
	s_nop 0
	v_div_fmas_f64 v[28:29], v[28:29], v[30:31], v[34:35]
	v_div_fixup_f64 v[28:29], v[28:29], v[26:27], s[0:1]
	v_mov_b32_e32 v26, 0x983b6b27
	v_mov_b32_e32 v27, 0x3f4a1d30
	v_fmac_f64_e32 v[26:27], 0, v[28:29]
	v_mov_b32_e32 v30, 0xb35dd1cf
	v_mov_b32_e32 v31, 0x3fb534b0
	v_fmac_f64_e32 v[30:31], v[28:29], v[26:27]
	;; [unrolled: 3-line block ×7, first 2 shown]
	v_mov_b32_e32 v33, 0x3fb5ebc5
	v_fmac_f64_e32 v[32:33], v[28:29], v[26:27]
	v_mov_b32_e32 v26, 0xc9b3069f
	v_mov_b32_e32 v27, 0x3ff40e72
	v_fmac_f64_e32 v[26:27], v[28:29], v[32:33]
	v_mov_b32_e32 v32, 0xe68162bb
	;; [unrolled: 3-line block ×10, first 2 shown]
	v_mov_b32_e32 v35, 0xc062627a
	v_fmac_f64_e32 v[34:35], v[28:29], v[26:27]
	v_fmac_f64_e32 v[36:37], v[28:29], v[34:35]
	v_mov_b32_e32 v26, 0xd1b9a1dd
	v_mov_b32_e32 v27, 0xc0183358
	;; [unrolled: 1-line block ×4, first 2 shown]
	v_fmac_f64_e32 v[26:27], v[28:29], v[36:37]
	v_fmac_f64_e32 v[34:35], 0, v[28:29]
	v_mov_b32_e32 v36, 0xb1759c7f
	v_mov_b32_e32 v37, 0x408ac370
	v_fmac_f64_e32 v[36:37], v[28:29], v[34:35]
	v_mov_b32_e32 v34, 0xbd748cb5
	v_mov_b32_e32 v35, 0x40ae54cd
	;; [unrolled: 3-line block ×5, first 2 shown]
	v_fma_f64 v[32:33], v[28:29], v[32:33], 1.0
	v_fmac_f64_e32 v[36:37], v[28:29], v[34:35]
	v_fma_f64 v[34:35], v[28:29], v[30:31], 1.0
	v_div_scale_f64 v[38:39], s[0:1], v[32:33], v[32:33], v[34:35]
	v_rcp_f64_e32 v[40:41], v[38:39]
	v_mov_b32_e32 v30, 0x6280a54
	v_mov_b32_e32 v31, 0x406e402f
	v_fmac_f64_e32 v[30:31], v[28:29], v[36:37]
	v_fma_f64 v[28:29], -v[38:39], v[40:41], 1.0
	v_fmac_f64_e32 v[40:41], v[40:41], v[28:29]
	v_fma_f64 v[28:29], -v[38:39], v[40:41], 1.0
	v_fmac_f64_e32 v[40:41], v[40:41], v[28:29]
	v_div_scale_f64 v[28:29], vcc, v[34:35], v[32:33], v[34:35]
	v_mul_f64 v[36:37], v[28:29], v[40:41]
	v_fma_f64 v[28:29], -v[38:39], v[36:37], v[28:29]
	s_mov_b32 s0, 0x9037ab78
	s_nop 0
	v_div_fmas_f64 v[28:29], v[28:29], v[40:41], v[36:37]
	v_div_fixup_f64 v[28:29], v[28:29], v[32:33], v[34:35]
	v_mul_f64 v[34:35], v[18:19], v[18:19]
	v_mul_f64 v[32:33], v[34:35], 0.5
	v_add_f64 v[36:37], -v[32:33], 1.0
	v_add_f64 v[38:39], -v[36:37], 1.0
	s_mov_b32 s1, 0x3e21eeb6
	v_add_f64 v[38:39], v[38:39], -v[32:33]
	s_mov_b32 s7, 0xbda907db
	v_mov_b64_e32 v[32:33], s[0:1]
	s_mov_b32 s8, 0xa17f65f6
	v_fma_f64 v[42:43], s[6:7], v[34:35], v[32:33]
	s_mov_b32 s9, 0xbe927e4f
	s_mov_b32 s10, 0x19f4ec90
	v_fma_f64 v[42:43], v[34:35], v[42:43], s[8:9]
	s_mov_b32 s11, 0x3efa01a0
	;; [unrolled: 3-line block ×4, first 2 shown]
	v_mul_f64 v[40:41], v[34:35], v[34:35]
	v_fma_f64 v[42:43], v[34:35], v[42:43], s[14:15]
	v_fma_f64 v[38:39], v[18:19], -v[20:21], v[38:39]
	s_mov_b32 s0, 0xb42fdfa7
	v_fmac_f64_e32 v[38:39], v[40:41], v[42:43]
	s_mov_b32 s1, 0xbe5ae600
	s_mov_b32 s16, 0xf9a43bb8
	v_add_f64 v[36:37], v[36:37], v[38:39]
	s_mov_b32 s17, 0x3de5e0b2
	v_mov_b64_e32 v[38:39], s[0:1]
	s_mov_b32 s18, 0x796cde01
	v_fma_f64 v[40:41], s[16:17], v[34:35], v[38:39]
	s_mov_b32 s19, 0x3ec71de3
	s_mov_b32 s20, 0x19e83e5c
	v_fma_f64 v[40:41], v[34:35], v[40:41], s[18:19]
	s_mov_b32 s21, 0xbf2a01a0
	;; [unrolled: 3-line block ×3, first 2 shown]
	v_fma_f64 v[40:41], v[34:35], v[40:41], s[22:23]
	v_mul_f64 v[42:43], v[18:19], -v[34:35]
	v_mul_f64 v[44:45], v[20:21], 0.5
	v_fmac_f64_e32 v[44:45], v[42:43], v[40:41]
	v_fma_f64 v[20:21], v[34:35], v[44:45], -v[20:21]
	s_mov_b32 s25, 0xbfc55555
	s_mov_b32 s24, s14
	v_fmac_f64_e32 v[20:21], s[24:25], v[42:43]
	v_and_b32_e32 v5, 1, v1
	s_mov_b32 s26, 0
	v_add_f64 v[18:19], v[18:19], -v[20:21]
	v_cmp_eq_u32_e32 vcc, 0, v5
	s_mov_b32 s27, 0x40140000
	s_movk_i32 s28, 0x1f8
	v_cndmask_b32_e32 v5, v36, v18, vcc
	v_cndmask_b32_e32 v7, v37, v19, vcc
	v_div_scale_f64 v[18:19], s[0:1], v[10:11], v[10:11], s[26:27]
	v_rcp_f64_e32 v[20:21], v[18:19]
	v_cmp_class_f64_e64 s[0:1], v[16:17], s28
	v_lshlrev_b32_e32 v1, 30, v1
	v_xor_b32_e32 v1, v1, v17
	v_fma_f64 v[34:35], -v[18:19], v[20:21], 1.0
	v_fmac_f64_e32 v[20:21], v[20:21], v[34:35]
	v_fma_f64 v[34:35], -v[18:19], v[20:21], 1.0
	v_fmac_f64_e32 v[20:21], v[20:21], v[34:35]
	v_div_scale_f64 v[34:35], vcc, s[26:27], v[10:11], s[26:27]
	v_mul_f64 v[36:37], v[34:35], v[20:21]
	v_fma_f64 v[18:19], -v[18:19], v[36:37], v[34:35]
	v_div_scale_f64 v[34:35], s[28:29], v[30:31], v[30:31], v[26:27]
	v_rcp_f64_e32 v[40:41], v[34:35]
	v_div_fmas_f64 v[18:19], v[18:19], v[20:21], v[36:37]
	v_div_fixup_f64 v[18:19], v[18:19], v[10:11], s[26:27]
	v_and_b32_e32 v1, 0x80000000, v1
	v_fma_f64 v[20:21], -v[34:35], v[40:41], 1.0
	v_fmac_f64_e32 v[40:41], v[40:41], v[20:21]
	v_fma_f64 v[20:21], -v[34:35], v[40:41], 1.0
	v_fmac_f64_e32 v[40:41], v[40:41], v[20:21]
	v_div_scale_f64 v[20:21], vcc, v[26:27], v[30:31], v[26:27]
	v_mul_f64 v[36:37], v[20:21], v[40:41]
	v_fma_f64 v[20:21], -v[34:35], v[36:37], v[20:21]
	v_xor_b32_e32 v1, v7, v1
	s_nop 0
	v_div_fmas_f64 v[20:21], v[20:21], v[40:41], v[36:37]
	v_div_fixup_f64 v[20:21], v[20:21], v[30:31], v[26:27]
	v_mul_f64 v[18:19], v[18:19], v[20:21]
	v_mul_f64 v[20:21], v[22:23], v[22:23]
	v_mul_f64 v[26:27], v[20:21], 0.5
	v_fmac_f64_e32 v[32:33], s[6:7], v[20:21]
	v_add_f64 v[30:31], -v[26:27], 1.0
	v_fma_f64 v[32:33], v[20:21], v[32:33], s[8:9]
	v_add_f64 v[34:35], -v[30:31], 1.0
	v_fma_f64 v[32:33], v[20:21], v[32:33], s[10:11]
	v_add_f64 v[26:27], v[34:35], -v[26:27]
	v_fma_f64 v[32:33], v[20:21], v[32:33], s[12:13]
	v_mul_f64 v[34:35], v[20:21], v[20:21]
	v_fma_f64 v[32:33], v[20:21], v[32:33], s[14:15]
	v_fma_f64 v[26:27], v[22:23], -v[24:25], v[26:27]
	v_fmac_f64_e32 v[26:27], v[34:35], v[32:33]
	v_fmac_f64_e32 v[38:39], s[16:17], v[20:21]
	v_add_f64 v[26:27], v[30:31], v[26:27]
	v_fma_f64 v[30:31], v[20:21], v[38:39], s[18:19]
	v_fma_f64 v[30:31], v[20:21], v[30:31], s[20:21]
	;; [unrolled: 1-line block ×3, first 2 shown]
	v_mul_f64 v[32:33], v[22:23], -v[20:21]
	v_mul_f64 v[34:35], v[24:25], 0.5
	v_fmac_f64_e32 v[34:35], v[32:33], v[30:31]
	v_fma_f64 v[20:21], v[20:21], v[34:35], -v[24:25]
	v_fmac_f64_e32 v[20:21], s[24:25], v[32:33]
	v_cndmask_b32_e64 v16, 0, v5, s[0:1]
	v_mov_b32_e32 v5, 0x7ff80000
	v_add_f64 v[20:21], v[22:23], -v[20:21]
	v_and_b32_e32 v7, 1, v3
	v_cndmask_b32_e64 v17, v5, v1, s[0:1]
	v_xor_b32_e32 v1, 0x80000000, v21
	v_cmp_eq_u32_e32 vcc, 0, v7
	v_lshlrev_b32_e32 v3, 30, v3
	v_and_b32_e32 v3, 0x80000000, v3
	v_cndmask_b32_e32 v1, v1, v27, vcc
	v_cndmask_b32_e32 v7, v20, v26, vcc
	v_xor_b32_e32 v1, v1, v3
	v_cndmask_b32_e64 v20, 0, v7, s[0:1]
	v_cndmask_b32_e64 v21, v5, v1, s[0:1]
	s_mov_b32 s0, 0
	s_brev_b32 s1, 8
	v_cmp_gt_f64_e32 vcc, s[0:1], v[10:11]
	v_mul_f64 v[18:19], v[18:19], v[20:21]
	v_fmac_f64_e32 v[18:19], v[28:29], v[16:17]
	v_cndmask_b32_e64 v1, 0, 1, vcc
	v_lshlrev_b32_e32 v1, 8, v1
	v_ldexp_f64 v[10:11], v[10:11], v1
	v_rsq_f64_e32 v[16:17], v[10:11]
	v_mov_b32_e32 v1, 0xffffff80
	v_cndmask_b32_e32 v1, 0, v1, vcc
	s_mov_b32 s0, 0x33d43651
	v_mul_f64 v[20:21], v[10:11], v[16:17]
	v_mul_f64 v[16:17], v[16:17], 0.5
	v_fma_f64 v[22:23], -v[16:17], v[20:21], 0.5
	v_fmac_f64_e32 v[20:21], v[20:21], v[22:23]
	v_fma_f64 v[24:25], -v[20:21], v[20:21], v[10:11]
	v_fmac_f64_e32 v[16:17], v[16:17], v[22:23]
	v_fmac_f64_e32 v[20:21], v[24:25], v[16:17]
	v_fma_f64 v[22:23], -v[20:21], v[20:21], v[10:11]
	v_fmac_f64_e32 v[20:21], v[22:23], v[16:17]
	v_ldexp_f64 v[16:17], v[20:21], v1
	v_mov_b32_e32 v1, 0x260
	s_mov_b32 s1, 0x3fe98845
	v_cmp_class_f64_e32 vcc, v[10:11], v1
	v_mul_f64 v[18:19], v[18:19], s[0:1]
	s_nop 0
	v_cndmask_b32_e32 v11, v17, v11, vcc
	v_cndmask_b32_e32 v10, v16, v10, vcc
	v_div_scale_f64 v[16:17], s[0:1], v[10:11], v[10:11], v[18:19]
	v_rcp_f64_e32 v[20:21], v[16:17]
	s_nop 0
	v_fma_f64 v[22:23], -v[16:17], v[20:21], 1.0
	v_fmac_f64_e32 v[20:21], v[20:21], v[22:23]
	v_fma_f64 v[22:23], -v[16:17], v[20:21], 1.0
	v_fmac_f64_e32 v[20:21], v[20:21], v[22:23]
	v_div_scale_f64 v[22:23], vcc, v[18:19], v[10:11], v[18:19]
	v_mul_f64 v[24:25], v[22:23], v[20:21]
	v_fma_f64 v[16:17], -v[16:17], v[24:25], v[22:23]
	s_nop 1
	v_div_fmas_f64 v[16:17], v[16:17], v[20:21], v[24:25]
	v_div_fixup_f64 v[18:19], v[16:17], v[10:11], v[18:19]
.LBB8_154:
	s_or_b64 exec, exec, s[2:3]
	global_store_dwordx2 v0, v[8:9], s[4:5]
	global_store_dwordx2 v2, v[14:15], s[4:5]
	;; [unrolled: 1-line block ×4, first 2 shown]
	s_endpgm
.LBB8_155:
	s_mov_b32 s3, s2
	v_mov_b64_e32 v[0:1], s[2:3]
                                        ; implicit-def: $vgpr2
	v_mov_b32_e32 v3, v22
.LBB8_156:
	s_and_b32 s6, s59, 3
	s_cmp_eq_u32 s6, 0
	s_cbranch_scc1 .LBB8_160
; %bb.157:
	s_lshl_b32 s3, s2, 3
	s_add_u32 s3, s3, s0
	s_addc_u32 s5, s1, 0
	s_add_u32 s4, s3, 0xc4
	s_addc_u32 s5, s5, 0
	s_mul_i32 s2, s2, 12
	s_add_u32 s2, s0, s2
	s_addc_u32 s3, s1, 0
.LBB8_158:                              ; =>This Inner Loop Header: Depth=1
	s_load_dwordx2 s[8:9], s[2:3], 0x4
	s_load_dword s7, s[2:3], 0xc
	s_load_dwordx2 s[10:11], s[4:5], 0x0
	v_mov_b32_e32 v2, v1
	s_add_u32 s2, s2, 12
	s_waitcnt lgkmcnt(0)
	v_mul_hi_u32 v1, s9, v3
	v_add_u32_e32 v1, v3, v1
	v_lshrrev_b32_e32 v1, s7, v1
	s_addc_u32 s3, s3, 0
	v_mul_lo_u32 v4, v1, s8
	s_add_u32 s4, s4, 8
	v_sub_u32_e32 v6, v3, v4
	v_mov_b32_e32 v3, v1
	s_addc_u32 s5, s5, 0
	s_add_i32 s6, s6, -1
	v_mad_u64_u32 v[4:5], s[8:9], v6, s11, v[2:3]
	v_mad_u64_u32 v[0:1], s[8:9], v6, s10, v[0:1]
	s_cmp_lg_u32 s6, 0
	v_mov_b32_e32 v1, v4
	s_cbranch_scc1 .LBB8_158
; %bb.159:
	v_mov_b32_e32 v2, v1
.LBB8_160:
	s_cbranch_execnz .LBB8_163
.LBB8_161:
	s_waitcnt lgkmcnt(0)
	v_mul_hi_u32 v0, s29, v22
	v_add_u32_e32 v0, v22, v0
	v_lshrrev_b32_e32 v1, s30, v0
	v_mul_lo_u32 v0, v1, s28
	v_sub_u32_e32 v0, v22, v0
	v_mul_lo_u32 v2, v0, s25
	s_andn2_b64 vcc, exec, s[44:45]
	v_mul_lo_u32 v0, v0, s24
	s_cbranch_vccnz .LBB8_163
; %bb.162:
	v_mul_hi_u32 v3, s42, v1
	v_add_u32_e32 v3, v1, v3
	v_lshrrev_b32_e32 v3, s43, v3
	v_mul_lo_u32 v3, v3, s31
	v_sub_u32_e32 v3, v1, v3
	v_mad_u64_u32 v[0:1], s[2:3], v3, s26, v[0:1]
	v_mad_u64_u32 v[2:3], s[2:3], v3, s27, v[2:3]
.LBB8_163:
	s_waitcnt lgkmcnt(0)
	global_load_dwordx2 v[2:3], v2, s[22:23]
	s_mov_b32 s2, 0
	s_mov_b32 s3, 0x40140000
                                        ; implicit-def: $vgpr6_vgpr7
	s_waitcnt vmcnt(0)
	v_cmp_ge_f64_e32 vcc, s[2:3], v[2:3]
	s_and_saveexec_b64 s[2:3], vcc
	s_xor_b64 s[2:3], exec, s[2:3]
	s_cbranch_execz .LBB8_173
; %bb.164:
	v_mov_b32_e32 v6, 0
	v_cmp_neq_f64_e32 vcc, 0, v[2:3]
	v_mov_b32_e32 v7, 0xfff00000
	s_and_saveexec_b64 s[4:5], vcc
	s_cbranch_execz .LBB8_172
; %bb.165:
	v_mov_b32_e32 v6, 0
	v_cmp_ngt_f64_e32 vcc, 0, v[2:3]
	v_mov_b32_e32 v7, 0x7ff80000
	s_and_saveexec_b64 s[6:7], vcc
	s_cbranch_execz .LBB8_171
; %bb.166:
	s_mov_b32 s8, 0x88e368f1
	v_mul_f64 v[6:7], v[2:3], v[2:3]
	s_mov_b32 s9, 0x3ee4f8b5
	v_mul_f64 v[8:9], v[6:7], 0
	v_cmp_ngt_f64_e32 vcc, s[8:9], v[2:3]
                                        ; implicit-def: $vgpr4_vgpr5
	s_and_saveexec_b64 s[8:9], vcc
	s_xor_b64 s[8:9], exec, s[8:9]
	s_cbranch_execz .LBB8_168
; %bb.167:
	s_mov_b32 s10, 0xad1c8325
	s_mov_b32 s11, 0xc1f1dc53
	v_add_f64 v[4:5], v[8:9], s[10:11]
	v_mov_b32_e32 v10, 0xc772990d
	v_mov_b32_e32 v11, 0x427c7751
	s_mov_b32 s10, 0xa696b78c
	v_fmac_f64_e32 v[10:11], v[6:7], v[4:5]
	v_mov_b32_e32 v4, 0xe0d900f7
	v_mov_b32_e32 v5, 0xc2ec5614
	s_mov_b32 s11, 0x407f3902
	v_fmac_f64_e32 v[4:5], v[6:7], v[10:11]
	v_add_f64 v[10:11], v[8:9], s[10:11]
	v_mov_b32_e32 v12, 0x36a21a67
	v_mov_b32_e32 v13, 0x410536cb
	v_fmac_f64_e32 v[12:13], v[6:7], v[10:11]
	v_mov_b32_e32 v10, 0x2eac0634
	v_mov_b32_e32 v11, 0x41871934
	v_fmac_f64_e32 v[10:11], v[6:7], v[12:13]
	;; [unrolled: 3-line block ×6, first 2 shown]
	v_mov_b32_e32 v12, 0xc7b662cc
	v_mov_b32_e32 v13, 0x43b7be34
	s_mov_b32 s10, 0x80462bbb
	v_fmac_f64_e32 v[12:13], v[6:7], v[10:11]
	v_mov_b32_e32 v10, 0x69ff5fb4
	v_mov_b32_e32 v11, 0x43413ef8
	s_mov_b32 s11, 0xc01721fb
	v_fmac_f64_e32 v[10:11], v[6:7], v[4:5]
	v_add_f64 v[4:5], v[6:7], s[10:11]
	s_mov_b32 s10, 0xa621dd6f
	s_mov_b32 s11, 0xc03e78a4
	v_add_f64 v[14:15], v[6:7], s[10:11]
	v_mul_f64 v[4:5], v[4:5], v[14:15]
	v_mul_f64 v[4:5], v[4:5], v[10:11]
	v_div_scale_f64 v[10:11], s[10:11], v[12:13], v[12:13], v[4:5]
	v_rcp_f64_e32 v[14:15], v[10:11]
	s_nop 0
	v_fma_f64 v[16:17], -v[10:11], v[14:15], 1.0
	v_fmac_f64_e32 v[14:15], v[14:15], v[16:17]
	v_fma_f64 v[16:17], -v[10:11], v[14:15], 1.0
	v_fmac_f64_e32 v[14:15], v[14:15], v[16:17]
	v_div_scale_f64 v[16:17], vcc, v[4:5], v[12:13], v[4:5]
	v_mul_f64 v[18:19], v[16:17], v[14:15]
	v_fma_f64 v[10:11], -v[10:11], v[18:19], v[16:17]
	s_nop 1
	v_div_fmas_f64 v[10:11], v[10:11], v[14:15], v[18:19]
	v_div_fixup_f64 v[4:5], v[10:11], v[12:13], v[4:5]
.LBB8_168:
	s_andn2_saveexec_b64 s[8:9], s[8:9]
; %bb.169:
	s_mov_b32 s10, 0
	s_mov_b32 s11, 0xbfd00000
	v_fma_f64 v[4:5], v[6:7], s[10:11], 1.0
; %bb.170:
	s_or_b64 exec, exec, s[8:9]
	s_mov_b32 s8, 0xe896898f
	s_mov_b32 s9, 0x40ce7437
	v_add_f64 v[10:11], v[8:9], s[8:9]
	v_mov_b32_e32 v12, 0x32e48896
	v_mov_b32_e32 v13, 0xc16bf81f
	v_fmac_f64_e32 v[12:13], v[6:7], v[10:11]
	v_mov_b32_e32 v10, 0xf0284cdd
	v_mov_b32_e32 v11, 0x41f43f78
	v_fmac_f64_e32 v[10:11], v[6:7], v[12:13]
	;; [unrolled: 3-line block ×4, first 2 shown]
	v_mov_b32_e32 v12, 0xd1d8cc02
	v_mov_b32_e32 v13, 0xc328a121
	s_mov_b32 s8, 0x576dfcb6
	v_fmac_f64_e32 v[12:13], v[6:7], v[10:11]
	v_mov_b32_e32 v10, 0x660b4003
	v_mov_b32_e32 v11, 0x4363a94b
	s_mov_b32 s9, 0x40904522
	v_fmac_f64_e32 v[10:11], v[6:7], v[12:13]
	v_add_f64 v[8:9], v[8:9], s[8:9]
	v_mov_b32_e32 v12, 0xa907bc0c
	v_mov_b32_e32 v13, 0x41231b76
	v_fmac_f64_e32 v[12:13], v[6:7], v[8:9]
	v_mov_b32_e32 v8, 0x5164d101
	v_mov_b32_e32 v9, 0x41b00763
	v_fmac_f64_e32 v[8:9], v[6:7], v[12:13]
	;; [unrolled: 3-line block ×7, first 2 shown]
	v_div_scale_f64 v[6:7], s[8:9], v[8:9], v[8:9], v[12:13]
	v_rcp_f64_e32 v[10:11], v[6:7]
	s_mov_b32 s8, 0x55555555
	v_frexp_exp_i32_f64_e32 v1, v[2:3]
	v_frexp_mant_f64_e32 v[2:3], v[2:3]
	v_fma_f64 v[14:15], -v[6:7], v[10:11], 1.0
	v_fmac_f64_e32 v[10:11], v[10:11], v[14:15]
	v_fma_f64 v[14:15], -v[6:7], v[10:11], 1.0
	v_fmac_f64_e32 v[10:11], v[10:11], v[14:15]
	v_div_scale_f64 v[14:15], vcc, v[12:13], v[8:9], v[12:13]
	v_mul_f64 v[16:17], v[14:15], v[10:11]
	v_fma_f64 v[6:7], -v[6:7], v[16:17], v[14:15]
	s_mov_b32 s9, 0x3fe55555
	s_nop 0
	v_div_fmas_f64 v[6:7], v[6:7], v[10:11], v[16:17]
	v_div_fixup_f64 v[6:7], v[6:7], v[8:9], v[12:13]
	v_mov_b32_e32 v8, 0x3ff00000
	v_cmp_gt_f64_e32 vcc, s[8:9], v[2:3]
	s_mov_b32 s8, 0xbf559e2b
	s_mov_b32 s9, 0x3fc3ab76
	v_cndmask_b32_e64 v9, v8, 2.0, vcc
	v_mov_b32_e32 v8, 0
	v_mul_f64 v[2:3], v[2:3], v[8:9]
	v_add_f64 v[8:9], v[2:3], 1.0
	v_rcp_f64_e32 v[10:11], v[8:9]
	v_add_f64 v[14:15], v[8:9], -1.0
	v_add_f64 v[12:13], v[2:3], -1.0
	v_add_f64 v[2:3], v[2:3], -v[14:15]
	v_fma_f64 v[14:15], -v[8:9], v[10:11], 1.0
	v_fmac_f64_e32 v[10:11], v[14:15], v[10:11]
	v_fma_f64 v[14:15], -v[8:9], v[10:11], 1.0
	v_fmac_f64_e32 v[10:11], v[14:15], v[10:11]
	v_mul_f64 v[14:15], v[12:13], v[10:11]
	v_mul_f64 v[16:17], v[8:9], v[14:15]
	v_fma_f64 v[8:9], v[14:15], v[8:9], -v[16:17]
	v_fmac_f64_e32 v[8:9], v[14:15], v[2:3]
	v_add_f64 v[2:3], v[16:17], v[8:9]
	v_add_f64 v[18:19], v[12:13], -v[2:3]
	v_add_f64 v[16:17], v[2:3], -v[16:17]
	;; [unrolled: 1-line block ×5, first 2 shown]
	v_add_f64 v[2:3], v[8:9], v[2:3]
	v_add_f64 v[2:3], v[18:19], v[2:3]
	v_mul_f64 v[2:3], v[10:11], v[2:3]
	v_add_f64 v[8:9], v[14:15], v[2:3]
	v_add_f64 v[10:11], v[8:9], -v[14:15]
	v_add_f64 v[2:3], v[2:3], -v[10:11]
	v_mul_f64 v[10:11], v[8:9], v[8:9]
	v_mov_b32_e32 v12, 0x6b47b09a
	v_mov_b32_e32 v13, 0x3fc38538
	v_fmac_f64_e32 v[12:13], s[8:9], v[10:11]
	v_mov_b32_e32 v14, 0xd7f4df2e
	v_mov_b32_e32 v15, 0x3fc7474d
	v_fmac_f64_e32 v[14:15], v[10:11], v[12:13]
	v_mov_b32_e32 v12, 0x16291751
	v_mov_b32_e32 v13, 0x3fcc71c0
	v_fmac_f64_e32 v[12:13], v[10:11], v[14:15]
	v_mov_b32_e32 v14, 0x9b27acf1
	v_mov_b32_e32 v15, 0x3fd24924
	v_fmac_f64_e32 v[14:15], v[10:11], v[12:13]
	v_mov_b32_e32 v12, 0x998ef7b6
	v_mov_b32_e32 v13, 0x3fd99999
	v_fmac_f64_e32 v[12:13], v[10:11], v[14:15]
	v_mov_b32_e32 v14, 0x55555780
	v_mov_b32_e32 v15, 0x3fe55555
	v_fmac_f64_e32 v[14:15], v[10:11], v[12:13]
	v_ldexp_f64 v[12:13], v[8:9], 1
	v_mul_f64 v[8:9], v[8:9], v[10:11]
	v_mul_f64 v[8:9], v[8:9], v[14:15]
	v_add_f64 v[10:11], v[12:13], v[8:9]
	v_add_f64 v[12:13], v[10:11], -v[12:13]
	v_ldexp_f64 v[2:3], v[2:3], 1
	v_add_f64 v[8:9], v[8:9], -v[12:13]
	v_add_f64 v[2:3], v[2:3], v[8:9]
	v_add_f64 v[8:9], v[10:11], v[2:3]
	v_subbrev_co_u32_e32 v1, vcc, 0, v1, vcc
	v_add_f64 v[10:11], v[8:9], -v[10:11]
	s_mov_b32 s8, 0xfefa39ef
	v_add_f64 v[2:3], v[2:3], -v[10:11]
	v_cvt_f64_i32_e32 v[10:11], v1
	s_mov_b32 s9, 0x3fe62e42
	v_mul_f64 v[12:13], v[10:11], s[8:9]
	v_fma_f64 v[14:15], v[10:11], s[8:9], -v[12:13]
	s_mov_b32 s8, 0x3b39803f
	s_mov_b32 s9, 0x3c7abc9e
	v_fmac_f64_e32 v[14:15], s[8:9], v[10:11]
	v_add_f64 v[10:11], v[12:13], v[14:15]
	v_add_f64 v[12:13], v[10:11], -v[12:13]
	v_add_f64 v[12:13], v[14:15], -v[12:13]
	v_add_f64 v[14:15], v[10:11], v[8:9]
	v_add_f64 v[16:17], v[14:15], -v[10:11]
	v_add_f64 v[18:19], v[14:15], -v[16:17]
	;; [unrolled: 1-line block ×4, first 2 shown]
	v_add_f64 v[8:9], v[8:9], v[10:11]
	v_add_f64 v[10:11], v[12:13], v[2:3]
	v_add_f64 v[16:17], v[10:11], -v[12:13]
	v_add_f64 v[18:19], v[10:11], -v[16:17]
	v_add_f64 v[8:9], v[10:11], v[8:9]
	v_add_f64 v[12:13], v[12:13], -v[18:19]
	v_add_f64 v[2:3], v[2:3], -v[16:17]
	v_add_f64 v[10:11], v[14:15], v[8:9]
	v_add_f64 v[2:3], v[2:3], v[12:13]
	v_add_f64 v[12:13], v[10:11], -v[14:15]
	v_add_f64 v[8:9], v[8:9], -v[12:13]
	v_add_f64 v[2:3], v[2:3], v[8:9]
	s_mov_b32 s8, 0x6dc9c883
	v_add_f64 v[2:3], v[10:11], v[2:3]
	s_mov_b32 s9, 0x3fe45f30
	v_mul_f64 v[2:3], v[2:3], s[8:9]
	v_fmac_f64_e32 v[6:7], v[2:3], v[4:5]
.LBB8_171:
	s_or_b64 exec, exec, s[6:7]
.LBB8_172:
	s_or_b64 exec, exec, s[4:5]
                                        ; implicit-def: $vgpr2_vgpr3
.LBB8_173:
	s_andn2_saveexec_b64 s[4:5], s[2:3]
	s_cbranch_execz .LBB8_183
; %bb.174:
	s_mov_b32 s9, 0xbfe921fb
	s_mov_b32 s8, 0x54442d18
	;; [unrolled: 1-line block ×3, first 2 shown]
	v_add_f64 v[4:5], v[2:3], s[8:9]
	s_mov_b32 s3, 0x41d00000
	v_cmp_nlt_f64_e64 s[6:7], |v[4:5]|, s[2:3]
                                        ; implicit-def: $vgpr1
                                        ; implicit-def: $vgpr6_vgpr7
                                        ; implicit-def: $vgpr8_vgpr9
	s_and_saveexec_b64 s[2:3], s[6:7]
	s_xor_b64 s[10:11], exec, s[2:3]
	s_cbranch_execz .LBB8_176
; %bb.175:
	s_mov_b32 s2, 0
	s_mov_b32 s3, 0x7b000000
	s_movk_i32 s9, 0xff80
	v_and_b32_e32 v1, 0x7fffffff, v5
	v_ldexp_f64 v[10:11], |v[4:5]|, s9
	v_cmp_ge_f64_e64 vcc, |v[4:5]|, s[2:3]
	v_trig_preop_f64 v[6:7], |v[4:5]|, 0
	v_trig_preop_f64 v[8:9], |v[4:5]|, 1
	v_cndmask_b32_e32 v11, v1, v11, vcc
	v_cndmask_b32_e32 v10, v4, v10, vcc
	v_mul_f64 v[14:15], v[6:7], v[10:11]
	v_mul_f64 v[12:13], v[8:9], v[10:11]
	v_fma_f64 v[6:7], v[6:7], v[10:11], -v[14:15]
	v_add_f64 v[16:17], v[12:13], v[6:7]
	v_add_f64 v[18:19], v[14:15], v[16:17]
	s_mov_b32 s2, 0
	v_ldexp_f64 v[20:21], v[18:19], -2
	s_mov_b32 s3, 0x7ff00000
	v_fract_f64_e32 v[24:25], v[20:21]
	v_cmp_neq_f64_e64 vcc, |v[20:21]|, s[2:3]
	v_fma_f64 v[8:9], v[8:9], v[10:11], -v[12:13]
	v_add_f64 v[14:15], v[18:19], -v[14:15]
	v_cndmask_b32_e32 v21, 0, v25, vcc
	v_cndmask_b32_e32 v20, 0, v24, vcc
	v_add_f64 v[24:25], v[16:17], -v[12:13]
	v_add_f64 v[6:7], v[6:7], -v[24:25]
	;; [unrolled: 1-line block ×4, first 2 shown]
	v_trig_preop_f64 v[12:13], |v[4:5]|, 2
	v_add_f64 v[6:7], v[6:7], v[24:25]
	v_mul_f64 v[24:25], v[12:13], v[10:11]
	v_add_f64 v[28:29], v[24:25], v[8:9]
	v_add_f64 v[30:31], v[28:29], v[6:7]
	v_add_f64 v[18:19], v[30:31], -v[28:29]
	v_add_f64 v[6:7], v[6:7], -v[18:19]
	;; [unrolled: 1-line block ×4, first 2 shown]
	v_add_f64 v[6:7], v[6:7], v[18:19]
	v_add_f64 v[18:19], v[28:29], -v[24:25]
	v_add_f64 v[8:9], v[8:9], -v[18:19]
	v_add_f64 v[18:19], v[28:29], -v[18:19]
	v_add_f64 v[18:19], v[24:25], -v[18:19]
	v_add_f64 v[8:9], v[8:9], v[18:19]
	v_add_f64 v[14:15], v[16:17], -v[14:15]
	v_add_f64 v[6:7], v[8:9], v[6:7]
	v_fma_f64 v[8:9], v[12:13], v[10:11], -v[24:25]
	v_add_f64 v[16:17], v[14:15], v[30:31]
	v_add_f64 v[6:7], v[8:9], v[6:7]
	v_ldexp_f64 v[8:9], v[20:21], 2
	v_add_f64 v[10:11], v[16:17], v[8:9]
	v_mov_b32_e32 v1, 0x40100000
	v_cmp_gt_f64_e32 vcc, 0, v[10:11]
	v_mov_b32_e32 v26, 0
	v_add_f64 v[14:15], v[16:17], -v[14:15]
	v_cndmask_b32_e32 v27, 0, v1, vcc
	v_add_f64 v[8:9], v[8:9], v[26:27]
	v_add_f64 v[10:11], v[16:17], v[8:9]
	v_cvt_i32_f64_e32 v1, v[10:11]
	v_cvt_f64_i32_e32 v[10:11], v1
	v_add_f64 v[8:9], v[8:9], -v[10:11]
	v_add_f64 v[10:11], v[16:17], v[8:9]
	v_add_f64 v[14:15], v[30:31], -v[14:15]
	v_add_f64 v[8:9], v[10:11], -v[8:9]
	v_add_f64 v[6:7], v[14:15], v[6:7]
	v_add_f64 v[8:9], v[16:17], -v[8:9]
	v_add_f64 v[6:7], v[6:7], v[8:9]
	v_cmp_le_f64_e32 vcc, 0.5, v[10:11]
	v_mov_b32_e32 v8, 0x3ff00000
	s_mov_b32 s9, 0x3ff921fb
	v_cndmask_b32_e32 v27, 0, v8, vcc
	v_add_f64 v[8:9], v[10:11], -v[26:27]
	v_add_f64 v[10:11], v[8:9], v[6:7]
	v_addc_co_u32_e64 v1, s[2:3], 0, v1, vcc
	v_add_f64 v[8:9], v[10:11], -v[8:9]
	v_add_f64 v[6:7], v[6:7], -v[8:9]
	v_mul_f64 v[8:9], v[10:11], s[8:9]
	s_mov_b32 s2, 0x33145c07
	v_fma_f64 v[12:13], v[10:11], s[8:9], -v[8:9]
	s_mov_b32 s3, 0x3c91a626
	v_fmac_f64_e32 v[12:13], s[2:3], v[10:11]
	v_fmac_f64_e32 v[12:13], s[8:9], v[6:7]
	v_add_f64 v[6:7], v[8:9], v[12:13]
	v_add_f64 v[8:9], v[6:7], -v[8:9]
	v_add_f64 v[8:9], v[12:13], -v[8:9]
	s_andn2_saveexec_b64 s[2:3], s[10:11]
	s_cbranch_execz .LBB8_178
	s_branch .LBB8_177
.LBB8_176:
	s_andn2_saveexec_b64 s[2:3], s[10:11]
	s_cbranch_execz .LBB8_178
.LBB8_177:
	s_mov_b32 s8, 0x6dc9c883
	s_mov_b32 s9, 0x3fe45f30
	v_mul_f64 v[6:7], |v[4:5]|, s[8:9]
	s_mov_b32 s8, 0x54442d18
	v_rndne_f64_e32 v[10:11], v[6:7]
	s_mov_b32 s9, 0xbff921fb
	v_fma_f64 v[6:7], v[10:11], s[8:9], |v[4:5]|
	s_mov_b32 s9, 0xbc91a626
	s_mov_b32 s8, 0x33145c00
	v_mul_f64 v[12:13], v[10:11], s[8:9]
	v_add_f64 v[16:17], v[6:7], v[12:13]
	v_fma_f64 v[8:9], s[8:9], v[10:11], v[6:7]
	s_mov_b32 s9, 0x3c91a626
	v_add_f64 v[6:7], v[6:7], -v[16:17]
	v_fma_f64 v[14:15], s[8:9], v[10:11], v[12:13]
	v_add_f64 v[6:7], v[6:7], v[12:13]
	v_add_f64 v[12:13], v[16:17], -v[8:9]
	v_add_f64 v[6:7], v[12:13], v[6:7]
	s_mov_b32 s8, 0x252049c0
	v_add_f64 v[12:13], v[6:7], -v[14:15]
	s_mov_b32 s9, 0xb97b839a
	v_fmac_f64_e32 v[12:13], s[8:9], v[10:11]
	v_add_f64 v[6:7], v[8:9], v[12:13]
	v_add_f64 v[8:9], v[6:7], -v[8:9]
	v_add_f64 v[8:9], v[12:13], -v[8:9]
	v_cvt_i32_f64_e32 v1, v[10:11]
.LBB8_178:
	s_or_b64 exec, exec, s[2:3]
                                        ; implicit-def: $vgpr23
                                        ; implicit-def: $vgpr10_vgpr11
                                        ; implicit-def: $vgpr12_vgpr13
	s_and_saveexec_b64 s[2:3], s[6:7]
	s_xor_b64 s[6:7], exec, s[2:3]
	s_cbranch_execz .LBB8_180
; %bb.179:
	s_mov_b32 s2, 0
	s_mov_b32 s3, 0x7b000000
	s_movk_i32 s8, 0xff80
	v_and_b32_e32 v16, 0x7fffffff, v5
	v_ldexp_f64 v[14:15], |v[4:5]|, s8
	v_cmp_ge_f64_e64 vcc, |v[4:5]|, s[2:3]
	v_trig_preop_f64 v[10:11], |v[4:5]|, 0
	v_trig_preop_f64 v[12:13], |v[4:5]|, 1
	v_cndmask_b32_e32 v15, v16, v15, vcc
	v_cndmask_b32_e32 v14, v4, v14, vcc
	v_mul_f64 v[18:19], v[10:11], v[14:15]
	v_mul_f64 v[16:17], v[12:13], v[14:15]
	v_fma_f64 v[10:11], v[10:11], v[14:15], -v[18:19]
	v_add_f64 v[20:21], v[16:17], v[10:11]
	v_add_f64 v[24:25], v[18:19], v[20:21]
	s_mov_b32 s2, 0
	v_ldexp_f64 v[26:27], v[24:25], -2
	s_mov_b32 s3, 0x7ff00000
	v_fract_f64_e32 v[28:29], v[26:27]
	v_cmp_neq_f64_e64 vcc, |v[26:27]|, s[2:3]
	v_fma_f64 v[12:13], v[12:13], v[14:15], -v[16:17]
	v_add_f64 v[18:19], v[24:25], -v[18:19]
	v_cndmask_b32_e32 v27, 0, v29, vcc
	v_cndmask_b32_e32 v26, 0, v28, vcc
	v_add_f64 v[28:29], v[20:21], -v[16:17]
	v_add_f64 v[10:11], v[10:11], -v[28:29]
	;; [unrolled: 1-line block ×4, first 2 shown]
	v_trig_preop_f64 v[16:17], |v[4:5]|, 2
	v_add_f64 v[10:11], v[10:11], v[28:29]
	v_mul_f64 v[28:29], v[16:17], v[14:15]
	v_add_f64 v[32:33], v[28:29], v[12:13]
	v_add_f64 v[34:35], v[32:33], v[10:11]
	v_add_f64 v[24:25], v[34:35], -v[32:33]
	v_add_f64 v[10:11], v[10:11], -v[24:25]
	;; [unrolled: 1-line block ×4, first 2 shown]
	v_add_f64 v[10:11], v[10:11], v[24:25]
	v_add_f64 v[24:25], v[32:33], -v[28:29]
	v_add_f64 v[12:13], v[12:13], -v[24:25]
	;; [unrolled: 1-line block ×4, first 2 shown]
	v_add_f64 v[12:13], v[12:13], v[24:25]
	v_add_f64 v[18:19], v[20:21], -v[18:19]
	v_add_f64 v[10:11], v[12:13], v[10:11]
	v_fma_f64 v[12:13], v[16:17], v[14:15], -v[28:29]
	v_add_f64 v[20:21], v[18:19], v[34:35]
	v_add_f64 v[10:11], v[12:13], v[10:11]
	v_ldexp_f64 v[12:13], v[26:27], 2
	v_add_f64 v[14:15], v[20:21], v[12:13]
	v_mov_b32_e32 v16, 0x40100000
	v_cmp_gt_f64_e32 vcc, 0, v[14:15]
	v_mov_b32_e32 v30, 0
	v_add_f64 v[18:19], v[20:21], -v[18:19]
	v_cndmask_b32_e32 v31, 0, v16, vcc
	v_add_f64 v[12:13], v[12:13], v[30:31]
	v_add_f64 v[14:15], v[20:21], v[12:13]
	v_cvt_i32_f64_e32 v16, v[14:15]
	v_cvt_f64_i32_e32 v[14:15], v16
	v_add_f64 v[12:13], v[12:13], -v[14:15]
	v_add_f64 v[14:15], v[20:21], v[12:13]
	v_add_f64 v[18:19], v[34:35], -v[18:19]
	v_add_f64 v[12:13], v[14:15], -v[12:13]
	v_add_f64 v[10:11], v[18:19], v[10:11]
	v_add_f64 v[12:13], v[20:21], -v[12:13]
	v_add_f64 v[10:11], v[10:11], v[12:13]
	v_cmp_le_f64_e32 vcc, 0.5, v[14:15]
	v_mov_b32_e32 v12, 0x3ff00000
	s_mov_b32 s8, 0x33145c07
	v_cndmask_b32_e32 v31, 0, v12, vcc
	v_addc_co_u32_e64 v23, s[2:3], 0, v16, vcc
	v_add_f64 v[12:13], v[14:15], -v[30:31]
	v_add_f64 v[14:15], v[12:13], v[10:11]
	s_mov_b32 s2, 0x54442d18
	v_add_f64 v[12:13], v[14:15], -v[12:13]
	s_mov_b32 s3, 0x3ff921fb
	v_add_f64 v[10:11], v[10:11], -v[12:13]
	v_mul_f64 v[12:13], v[14:15], s[2:3]
	v_fma_f64 v[16:17], v[14:15], s[2:3], -v[12:13]
	s_mov_b32 s9, 0x3c91a626
	v_fmac_f64_e32 v[16:17], s[8:9], v[14:15]
	v_fmac_f64_e32 v[16:17], s[2:3], v[10:11]
	v_add_f64 v[10:11], v[12:13], v[16:17]
	v_add_f64 v[12:13], v[10:11], -v[12:13]
	v_add_f64 v[12:13], v[16:17], -v[12:13]
	s_andn2_saveexec_b64 s[2:3], s[6:7]
	s_cbranch_execnz .LBB8_181
	s_branch .LBB8_182
.LBB8_180:
	s_andn2_saveexec_b64 s[2:3], s[6:7]
	s_cbranch_execz .LBB8_182
.LBB8_181:
	s_mov_b32 s6, 0x6dc9c883
	s_mov_b32 s7, 0x3fe45f30
	v_mul_f64 v[10:11], |v[4:5]|, s[6:7]
	s_mov_b32 s6, 0x54442d18
	v_rndne_f64_e32 v[14:15], v[10:11]
	s_mov_b32 s7, 0xbff921fb
	v_fma_f64 v[10:11], v[14:15], s[6:7], |v[4:5]|
	s_mov_b32 s7, 0xbc91a626
	s_mov_b32 s6, 0x33145c00
	v_mul_f64 v[16:17], v[14:15], s[6:7]
	v_add_f64 v[20:21], v[10:11], v[16:17]
	v_fma_f64 v[12:13], s[6:7], v[14:15], v[10:11]
	s_mov_b32 s7, 0x3c91a626
	v_add_f64 v[10:11], v[10:11], -v[20:21]
	v_fma_f64 v[18:19], s[6:7], v[14:15], v[16:17]
	v_add_f64 v[10:11], v[10:11], v[16:17]
	v_add_f64 v[16:17], v[20:21], -v[12:13]
	v_add_f64 v[10:11], v[16:17], v[10:11]
	s_mov_b32 s6, 0x252049c0
	v_add_f64 v[16:17], v[10:11], -v[18:19]
	s_mov_b32 s7, 0xb97b839a
	v_fmac_f64_e32 v[16:17], s[6:7], v[14:15]
	v_add_f64 v[10:11], v[12:13], v[16:17]
	v_add_f64 v[12:13], v[10:11], -v[12:13]
	v_add_f64 v[12:13], v[16:17], -v[12:13]
	v_cvt_i32_f64_e32 v23, v[14:15]
.LBB8_182:
	s_or_b64 exec, exec, s[2:3]
	s_mov_b32 s2, 0
	v_mul_f64 v[14:15], v[2:3], v[2:3]
	s_mov_b32 s3, 0x40390000
	v_div_scale_f64 v[16:17], s[6:7], v[14:15], v[14:15], s[2:3]
	v_rcp_f64_e32 v[18:19], v[16:17]
	v_mov_b32_e32 v26, 0x55b218cd
	v_mov_b32_e32 v27, 0xc049b48c
	s_mov_b32 s6, 0x46cc5e42
	v_fma_f64 v[20:21], -v[16:17], v[18:19], 1.0
	v_fmac_f64_e32 v[18:19], v[18:19], v[20:21]
	v_fma_f64 v[20:21], -v[16:17], v[18:19], 1.0
	v_fmac_f64_e32 v[18:19], v[18:19], v[20:21]
	v_div_scale_f64 v[20:21], vcc, s[2:3], v[14:15], s[2:3]
	v_mul_f64 v[24:25], v[20:21], v[18:19]
	v_fma_f64 v[16:17], -v[16:17], v[24:25], v[20:21]
	v_mov_b32_e32 v20, 0xab5454e3
	s_nop 0
	v_div_fmas_f64 v[16:17], v[16:17], v[18:19], v[24:25]
	v_div_fixup_f64 v[16:17], v[16:17], v[14:15], s[2:3]
	v_mov_b32_e32 v14, 0x983b6b27
	v_mov_b32_e32 v15, 0x3f4a1d30
	v_fmac_f64_e32 v[14:15], 0, v[16:17]
	v_mov_b32_e32 v18, 0xb35dd1cf
	v_mov_b32_e32 v19, 0x3fb534b0
	v_fmac_f64_e32 v[18:19], v[16:17], v[14:15]
	;; [unrolled: 3-line block ×7, first 2 shown]
	v_mov_b32_e32 v21, 0x3fb5ebc5
	v_fmac_f64_e32 v[20:21], v[16:17], v[14:15]
	v_mov_b32_e32 v14, 0xc9b3069f
	v_mov_b32_e32 v15, 0x3ff40e72
	v_fmac_f64_e32 v[14:15], v[16:17], v[20:21]
	v_mov_b32_e32 v20, 0xe68162bb
	;; [unrolled: 3-line block ×10, first 2 shown]
	v_mov_b32_e32 v25, 0xc062627a
	v_fmac_f64_e32 v[24:25], v[16:17], v[14:15]
	v_fmac_f64_e32 v[26:27], v[16:17], v[24:25]
	v_mov_b32_e32 v14, 0xd1b9a1dd
	v_mov_b32_e32 v15, 0xc0183358
	;; [unrolled: 1-line block ×4, first 2 shown]
	v_fmac_f64_e32 v[14:15], v[16:17], v[26:27]
	v_fmac_f64_e32 v[24:25], 0, v[16:17]
	v_mov_b32_e32 v26, 0xb1759c7f
	v_mov_b32_e32 v27, 0x408ac370
	v_fmac_f64_e32 v[26:27], v[16:17], v[24:25]
	v_mov_b32_e32 v24, 0xbd748cb5
	v_mov_b32_e32 v25, 0x40ae54cd
	;; [unrolled: 3-line block ×5, first 2 shown]
	v_fma_f64 v[20:21], v[16:17], v[20:21], 1.0
	v_fmac_f64_e32 v[26:27], v[16:17], v[24:25]
	v_fma_f64 v[24:25], v[16:17], v[18:19], 1.0
	v_div_scale_f64 v[28:29], s[2:3], v[20:21], v[20:21], v[24:25]
	v_rcp_f64_e32 v[30:31], v[28:29]
	v_mov_b32_e32 v18, 0x6280a54
	v_mov_b32_e32 v19, 0x406e402f
	v_fmac_f64_e32 v[18:19], v[16:17], v[26:27]
	v_fma_f64 v[16:17], -v[28:29], v[30:31], 1.0
	v_fmac_f64_e32 v[30:31], v[30:31], v[16:17]
	v_fma_f64 v[16:17], -v[28:29], v[30:31], 1.0
	v_fmac_f64_e32 v[30:31], v[30:31], v[16:17]
	v_div_scale_f64 v[16:17], vcc, v[24:25], v[20:21], v[24:25]
	v_mul_f64 v[26:27], v[16:17], v[30:31]
	v_fma_f64 v[16:17], -v[28:29], v[26:27], v[16:17]
	s_mov_b32 s2, 0x9037ab78
	s_nop 0
	v_div_fmas_f64 v[16:17], v[16:17], v[30:31], v[26:27]
	v_div_fixup_f64 v[16:17], v[16:17], v[20:21], v[24:25]
	v_mul_f64 v[24:25], v[6:7], v[6:7]
	v_mul_f64 v[20:21], v[24:25], 0.5
	v_add_f64 v[26:27], -v[20:21], 1.0
	v_add_f64 v[28:29], -v[26:27], 1.0
	s_mov_b32 s3, 0x3e21eeb6
	v_add_f64 v[28:29], v[28:29], -v[20:21]
	s_mov_b32 s7, 0xbda907db
	v_mov_b64_e32 v[20:21], s[2:3]
	s_mov_b32 s8, 0xa17f65f6
	v_fma_f64 v[32:33], s[6:7], v[24:25], v[20:21]
	s_mov_b32 s9, 0xbe927e4f
	s_mov_b32 s10, 0x19f4ec90
	v_fma_f64 v[32:33], v[24:25], v[32:33], s[8:9]
	s_mov_b32 s11, 0x3efa01a0
	;; [unrolled: 3-line block ×4, first 2 shown]
	v_mul_f64 v[30:31], v[24:25], v[24:25]
	v_fma_f64 v[32:33], v[24:25], v[32:33], s[14:15]
	v_fma_f64 v[28:29], v[6:7], -v[8:9], v[28:29]
	s_mov_b32 s2, 0xb42fdfa7
	v_fmac_f64_e32 v[28:29], v[30:31], v[32:33]
	s_mov_b32 s3, 0xbe5ae600
	s_mov_b32 s16, 0xf9a43bb8
	v_add_f64 v[26:27], v[26:27], v[28:29]
	s_mov_b32 s17, 0x3de5e0b2
	v_mov_b64_e32 v[28:29], s[2:3]
	s_mov_b32 s18, 0x796cde01
	v_fma_f64 v[30:31], s[16:17], v[24:25], v[28:29]
	s_mov_b32 s19, 0x3ec71de3
	s_mov_b32 s36, 0x19e83e5c
	v_fma_f64 v[30:31], v[24:25], v[30:31], s[18:19]
	s_mov_b32 s37, 0xbf2a01a0
	;; [unrolled: 3-line block ×3, first 2 shown]
	v_fma_f64 v[30:31], v[24:25], v[30:31], s[38:39]
	v_mul_f64 v[32:33], v[6:7], -v[24:25]
	v_mul_f64 v[34:35], v[8:9], 0.5
	v_fmac_f64_e32 v[34:35], v[32:33], v[30:31]
	v_fma_f64 v[8:9], v[24:25], v[34:35], -v[8:9]
	s_mov_b32 s53, 0xbfc55555
	s_mov_b32 s52, s14
	v_fmac_f64_e32 v[8:9], s[52:53], v[32:33]
	v_add_f64 v[6:7], v[6:7], -v[8:9]
	v_and_b32_e32 v8, 1, v1
	v_lshlrev_b32_e32 v1, 30, v1
	v_cmp_eq_u32_e32 vcc, 0, v8
	v_xor_b32_e32 v1, v1, v5
	s_mov_b32 s54, 0
	v_cndmask_b32_e32 v24, v26, v6, vcc
	v_cndmask_b32_e32 v6, v27, v7, vcc
	v_and_b32_e32 v1, 0x80000000, v1
	s_mov_b32 s55, 0x40140000
	v_xor_b32_e32 v1, v6, v1
	v_div_scale_f64 v[6:7], s[2:3], v[2:3], v[2:3], s[54:55]
	v_rcp_f64_e32 v[8:9], v[6:7]
	s_movk_i32 s59, 0x1f8
	v_cmp_class_f64_e64 s[2:3], v[4:5], s59
	v_mov_b32_e32 v32, 0x7ff80000
	s_nop 0
	v_cndmask_b32_e64 v4, 0, v24, s[2:3]
	v_fma_f64 v[24:25], -v[6:7], v[8:9], 1.0
	v_fmac_f64_e32 v[8:9], v[8:9], v[24:25]
	v_fma_f64 v[24:25], -v[6:7], v[8:9], 1.0
	v_fmac_f64_e32 v[8:9], v[8:9], v[24:25]
	v_div_scale_f64 v[24:25], vcc, s[54:55], v[2:3], s[54:55]
	v_mul_f64 v[26:27], v[24:25], v[8:9]
	v_fma_f64 v[6:7], -v[6:7], v[26:27], v[24:25]
	v_div_scale_f64 v[24:25], s[60:61], v[18:19], v[18:19], v[14:15]
	v_rcp_f64_e32 v[30:31], v[24:25]
	v_div_fmas_f64 v[6:7], v[6:7], v[8:9], v[26:27]
	v_div_fixup_f64 v[6:7], v[6:7], v[2:3], s[54:55]
	v_cndmask_b32_e64 v5, v32, v1, s[2:3]
	v_fma_f64 v[8:9], -v[24:25], v[30:31], 1.0
	v_fmac_f64_e32 v[30:31], v[30:31], v[8:9]
	v_fma_f64 v[8:9], -v[24:25], v[30:31], 1.0
	v_fmac_f64_e32 v[30:31], v[30:31], v[8:9]
	v_div_scale_f64 v[8:9], vcc, v[14:15], v[18:19], v[14:15]
	v_mul_f64 v[26:27], v[8:9], v[30:31]
	v_fma_f64 v[8:9], -v[24:25], v[26:27], v[8:9]
	s_nop 1
	v_div_fmas_f64 v[8:9], v[8:9], v[30:31], v[26:27]
	v_div_fixup_f64 v[8:9], v[8:9], v[18:19], v[14:15]
	v_mul_f64 v[6:7], v[6:7], v[8:9]
	v_mul_f64 v[8:9], v[10:11], v[10:11]
	v_mul_f64 v[14:15], v[8:9], 0.5
	v_fmac_f64_e32 v[20:21], s[6:7], v[8:9]
	v_add_f64 v[18:19], -v[14:15], 1.0
	v_fma_f64 v[20:21], v[8:9], v[20:21], s[8:9]
	v_add_f64 v[24:25], -v[18:19], 1.0
	v_fma_f64 v[20:21], v[8:9], v[20:21], s[10:11]
	v_add_f64 v[14:15], v[24:25], -v[14:15]
	v_fma_f64 v[20:21], v[8:9], v[20:21], s[12:13]
	v_mul_f64 v[24:25], v[8:9], v[8:9]
	v_fma_f64 v[20:21], v[8:9], v[20:21], s[14:15]
	v_fma_f64 v[14:15], v[10:11], -v[12:13], v[14:15]
	v_fmac_f64_e32 v[14:15], v[24:25], v[20:21]
	v_fmac_f64_e32 v[28:29], s[16:17], v[8:9]
	v_add_f64 v[14:15], v[18:19], v[14:15]
	v_fma_f64 v[18:19], v[8:9], v[28:29], s[18:19]
	v_fma_f64 v[18:19], v[8:9], v[18:19], s[36:37]
	;; [unrolled: 1-line block ×3, first 2 shown]
	v_mul_f64 v[20:21], v[10:11], -v[8:9]
	v_mul_f64 v[24:25], v[12:13], 0.5
	v_fmac_f64_e32 v[24:25], v[20:21], v[18:19]
	v_fma_f64 v[8:9], v[8:9], v[24:25], -v[12:13]
	v_fmac_f64_e32 v[8:9], s[52:53], v[20:21]
	v_add_f64 v[8:9], v[10:11], -v[8:9]
	v_xor_b32_e32 v1, 0x80000000, v9
	v_and_b32_e32 v9, 1, v23
	v_cmp_eq_u32_e32 vcc, 0, v9
	v_lshlrev_b32_e32 v9, 30, v23
	v_and_b32_e32 v9, 0x80000000, v9
	v_cndmask_b32_e32 v1, v1, v15, vcc
	v_cndmask_b32_e32 v8, v8, v14, vcc
	v_xor_b32_e32 v1, v1, v9
	v_cndmask_b32_e64 v8, 0, v8, s[2:3]
	v_cndmask_b32_e64 v9, v32, v1, s[2:3]
	s_mov_b32 s2, 0
	s_brev_b32 s3, 8
	v_cmp_gt_f64_e32 vcc, s[2:3], v[2:3]
	v_mul_f64 v[6:7], v[6:7], v[8:9]
	v_fmac_f64_e32 v[6:7], v[16:17], v[4:5]
	v_cndmask_b32_e64 v1, 0, 1, vcc
	v_lshlrev_b32_e32 v1, 8, v1
	v_ldexp_f64 v[2:3], v[2:3], v1
	v_rsq_f64_e32 v[4:5], v[2:3]
	v_mov_b32_e32 v1, 0xffffff80
	v_cndmask_b32_e32 v1, 0, v1, vcc
	s_mov_b32 s2, 0x33d43651
	v_mul_f64 v[8:9], v[2:3], v[4:5]
	v_mul_f64 v[4:5], v[4:5], 0.5
	v_fma_f64 v[10:11], -v[4:5], v[8:9], 0.5
	v_fmac_f64_e32 v[8:9], v[8:9], v[10:11]
	v_fma_f64 v[12:13], -v[8:9], v[8:9], v[2:3]
	v_fmac_f64_e32 v[4:5], v[4:5], v[10:11]
	v_fmac_f64_e32 v[8:9], v[12:13], v[4:5]
	v_fma_f64 v[10:11], -v[8:9], v[8:9], v[2:3]
	v_fmac_f64_e32 v[8:9], v[10:11], v[4:5]
	v_ldexp_f64 v[4:5], v[8:9], v1
	v_mov_b32_e32 v1, 0x260
	s_mov_b32 s3, 0x3fe98845
	v_cmp_class_f64_e32 vcc, v[2:3], v1
	v_mul_f64 v[6:7], v[6:7], s[2:3]
	s_nop 0
	v_cndmask_b32_e32 v3, v5, v3, vcc
	v_cndmask_b32_e32 v2, v4, v2, vcc
	v_div_scale_f64 v[4:5], s[2:3], v[2:3], v[2:3], v[6:7]
	v_rcp_f64_e32 v[8:9], v[4:5]
	s_nop 0
	v_fma_f64 v[10:11], -v[4:5], v[8:9], 1.0
	v_fmac_f64_e32 v[8:9], v[8:9], v[10:11]
	v_fma_f64 v[10:11], -v[4:5], v[8:9], 1.0
	v_fmac_f64_e32 v[8:9], v[8:9], v[10:11]
	v_div_scale_f64 v[10:11], vcc, v[6:7], v[2:3], v[6:7]
	v_mul_f64 v[12:13], v[10:11], v[8:9]
	v_fma_f64 v[4:5], -v[4:5], v[12:13], v[10:11]
	s_nop 1
	v_div_fmas_f64 v[4:5], v[4:5], v[8:9], v[12:13]
	v_div_fixup_f64 v[6:7], v[4:5], v[2:3], v[6:7]
.LBB8_183:
	s_or_b64 exec, exec, s[4:5]
	v_add_u32_e32 v22, 0x80, v22
	global_store_dwordx2 v0, v[6:7], s[20:21]
	s_or_b64 exec, exec, s[50:51]
	v_cmp_gt_i32_e32 vcc, s57, v22
	s_and_saveexec_b64 s[50:51], vcc
	s_cbranch_execnz .LBB8_17
.LBB8_184:
	s_or_b64 exec, exec, s[50:51]
	v_cmp_gt_i32_e32 vcc, s57, v22
	s_and_saveexec_b64 s[50:51], vcc
	s_cbranch_execz .LBB8_221
.LBB8_185:
	s_andn2_b64 vcc, exec, s[34:35]
	s_cbranch_vccnz .LBB8_191
; %bb.186:
	s_mov_b32 s2, 0
	s_andn2_b64 vcc, exec, s[48:49]
	v_mov_b32_e32 v2, 0
	v_mov_b32_e32 v0, 0
	s_cbranch_vccnz .LBB8_229
; %bb.187:
	s_add_i32 s59, s58, 1
	s_cmp_eq_u32 s56, 2
	s_cbranch_scc1 .LBB8_224
; %bb.188:
	s_and_b32 s2, s59, 28
	s_mov_b32 s3, 0
	v_mov_b32_e32 v0, 0
	s_mov_b64 s[52:53], s[0:1]
	s_mov_b64 s[54:55], s[46:47]
	v_mov_b32_e32 v3, v22
	v_mov_b32_e32 v2, 0
.LBB8_189:                              ; =>This Inner Loop Header: Depth=1
	s_load_dwordx8 s[12:19], s[52:53], 0x4
	s_load_dwordx4 s[36:39], s[52:53], 0x24
	s_load_dwordx8 s[4:11], s[54:55], 0x0
	s_add_u32 s52, s52, 48
	s_addc_u32 s53, s53, 0
	s_waitcnt lgkmcnt(0)
	v_mul_hi_u32 v1, s13, v3
	v_add_u32_e32 v1, v3, v1
	v_lshrrev_b32_e32 v1, s14, v1
	v_mul_lo_u32 v4, v1, s12
	v_mul_hi_u32 v5, s16, v1
	v_sub_u32_e32 v3, v3, v4
	v_add_u32_e32 v4, v1, v5
	v_lshrrev_b32_e32 v4, s17, v4
	v_mul_lo_u32 v6, v4, s15
	v_mul_hi_u32 v7, s19, v4
	v_sub_u32_e32 v1, v1, v6
	v_add_u32_e32 v6, v4, v7
	v_mul_lo_u32 v5, v3, s5
	v_mul_lo_u32 v3, v3, s4
	v_mul_lo_u32 v7, v1, s7
	v_mul_lo_u32 v1, v1, s6
	v_lshrrev_b32_e32 v6, s36, v6
	v_add3_u32 v0, v3, v0, v1
	v_mul_hi_u32 v3, s38, v6
	v_add_u32_e32 v3, v6, v3
	v_lshrrev_b32_e32 v3, s39, v3
	s_add_i32 s3, s3, 4
	v_add3_u32 v1, v5, v2, v7
	v_mul_lo_u32 v2, v6, s18
	v_mul_lo_u32 v5, v3, s37
	s_add_u32 s54, s54, 32
	v_sub_u32_e32 v2, v4, v2
	v_sub_u32_e32 v5, v6, v5
	s_addc_u32 s55, s55, 0
	v_mul_lo_u32 v4, v2, s8
	v_mul_lo_u32 v2, v2, s9
	;; [unrolled: 1-line block ×4, first 2 shown]
	s_cmp_eq_u32 s2, s3
	v_add3_u32 v2, v2, v1, v5
	v_add3_u32 v0, v4, v0, v6
	s_cbranch_scc0 .LBB8_189
; %bb.190:
	v_mov_b32_e32 v1, v2
	s_branch .LBB8_225
.LBB8_191:
                                        ; implicit-def: $vgpr2
                                        ; implicit-def: $vgpr0
	s_branch .LBB8_230
.LBB8_192:
	s_mov_b32 s3, s2
	v_mov_b64_e32 v[0:1], s[2:3]
                                        ; implicit-def: $vgpr2
	v_mov_b32_e32 v3, v22
.LBB8_193:
	s_and_b32 s6, s59, 3
	s_cmp_eq_u32 s6, 0
	s_cbranch_scc1 .LBB8_197
; %bb.194:
	s_lshl_b32 s3, s2, 3
	s_add_u32 s3, s3, s0
	s_addc_u32 s5, s1, 0
	s_add_u32 s4, s3, 0xc4
	s_addc_u32 s5, s5, 0
	s_mul_i32 s2, s2, 12
	s_add_u32 s2, s0, s2
	s_addc_u32 s3, s1, 0
.LBB8_195:                              ; =>This Inner Loop Header: Depth=1
	s_load_dwordx2 s[8:9], s[2:3], 0x4
	s_load_dword s7, s[2:3], 0xc
	s_load_dwordx2 s[10:11], s[4:5], 0x0
	v_mov_b32_e32 v2, v1
	s_add_u32 s2, s2, 12
	s_waitcnt lgkmcnt(0)
	v_mul_hi_u32 v1, s9, v3
	v_add_u32_e32 v1, v3, v1
	v_lshrrev_b32_e32 v1, s7, v1
	s_addc_u32 s3, s3, 0
	v_mul_lo_u32 v4, v1, s8
	s_add_u32 s4, s4, 8
	v_sub_u32_e32 v6, v3, v4
	v_mov_b32_e32 v3, v1
	s_addc_u32 s5, s5, 0
	s_add_i32 s6, s6, -1
	v_mad_u64_u32 v[4:5], s[8:9], v6, s11, v[2:3]
	v_mad_u64_u32 v[0:1], s[8:9], v6, s10, v[0:1]
	s_cmp_lg_u32 s6, 0
	v_mov_b32_e32 v1, v4
	s_cbranch_scc1 .LBB8_195
; %bb.196:
	v_mov_b32_e32 v2, v1
.LBB8_197:
	s_cbranch_execnz .LBB8_200
.LBB8_198:
	s_waitcnt lgkmcnt(0)
	v_mul_hi_u32 v0, s29, v22
	v_add_u32_e32 v0, v22, v0
	v_lshrrev_b32_e32 v1, s30, v0
	v_mul_lo_u32 v0, v1, s28
	v_sub_u32_e32 v0, v22, v0
	v_mul_lo_u32 v2, v0, s25
	s_andn2_b64 vcc, exec, s[44:45]
	v_mul_lo_u32 v0, v0, s24
	s_cbranch_vccnz .LBB8_200
; %bb.199:
	v_mul_hi_u32 v3, s42, v1
	v_add_u32_e32 v3, v1, v3
	v_lshrrev_b32_e32 v3, s43, v3
	v_mul_lo_u32 v3, v3, s31
	v_sub_u32_e32 v3, v1, v3
	v_mad_u64_u32 v[0:1], s[2:3], v3, s26, v[0:1]
	v_mad_u64_u32 v[2:3], s[2:3], v3, s27, v[2:3]
.LBB8_200:
	s_waitcnt lgkmcnt(0)
	global_load_dwordx2 v[2:3], v2, s[22:23]
	s_mov_b32 s2, 0
	s_mov_b32 s3, 0x40140000
                                        ; implicit-def: $vgpr6_vgpr7
	s_waitcnt vmcnt(0)
	v_cmp_ge_f64_e32 vcc, s[2:3], v[2:3]
	s_and_saveexec_b64 s[2:3], vcc
	s_xor_b64 s[2:3], exec, s[2:3]
	s_cbranch_execz .LBB8_210
; %bb.201:
	v_mov_b32_e32 v6, 0
	v_cmp_neq_f64_e32 vcc, 0, v[2:3]
	v_mov_b32_e32 v7, 0xfff00000
	s_and_saveexec_b64 s[4:5], vcc
	s_cbranch_execz .LBB8_209
; %bb.202:
	v_mov_b32_e32 v6, 0
	v_cmp_ngt_f64_e32 vcc, 0, v[2:3]
	v_mov_b32_e32 v7, 0x7ff80000
	s_and_saveexec_b64 s[6:7], vcc
	s_cbranch_execz .LBB8_208
; %bb.203:
	s_mov_b32 s8, 0x88e368f1
	v_mul_f64 v[6:7], v[2:3], v[2:3]
	s_mov_b32 s9, 0x3ee4f8b5
	v_mul_f64 v[8:9], v[6:7], 0
	v_cmp_ngt_f64_e32 vcc, s[8:9], v[2:3]
                                        ; implicit-def: $vgpr4_vgpr5
	s_and_saveexec_b64 s[8:9], vcc
	s_xor_b64 s[8:9], exec, s[8:9]
	s_cbranch_execz .LBB8_205
; %bb.204:
	s_mov_b32 s10, 0xad1c8325
	s_mov_b32 s11, 0xc1f1dc53
	v_add_f64 v[4:5], v[8:9], s[10:11]
	v_mov_b32_e32 v10, 0xc772990d
	v_mov_b32_e32 v11, 0x427c7751
	s_mov_b32 s10, 0xa696b78c
	v_fmac_f64_e32 v[10:11], v[6:7], v[4:5]
	v_mov_b32_e32 v4, 0xe0d900f7
	v_mov_b32_e32 v5, 0xc2ec5614
	s_mov_b32 s11, 0x407f3902
	v_fmac_f64_e32 v[4:5], v[6:7], v[10:11]
	v_add_f64 v[10:11], v[8:9], s[10:11]
	v_mov_b32_e32 v12, 0x36a21a67
	v_mov_b32_e32 v13, 0x410536cb
	v_fmac_f64_e32 v[12:13], v[6:7], v[10:11]
	v_mov_b32_e32 v10, 0x2eac0634
	v_mov_b32_e32 v11, 0x41871934
	v_fmac_f64_e32 v[10:11], v[6:7], v[12:13]
	;; [unrolled: 3-line block ×6, first 2 shown]
	v_mov_b32_e32 v12, 0xc7b662cc
	v_mov_b32_e32 v13, 0x43b7be34
	s_mov_b32 s10, 0x80462bbb
	v_fmac_f64_e32 v[12:13], v[6:7], v[10:11]
	v_mov_b32_e32 v10, 0x69ff5fb4
	v_mov_b32_e32 v11, 0x43413ef8
	s_mov_b32 s11, 0xc01721fb
	v_fmac_f64_e32 v[10:11], v[6:7], v[4:5]
	v_add_f64 v[4:5], v[6:7], s[10:11]
	s_mov_b32 s10, 0xa621dd6f
	s_mov_b32 s11, 0xc03e78a4
	v_add_f64 v[14:15], v[6:7], s[10:11]
	v_mul_f64 v[4:5], v[4:5], v[14:15]
	v_mul_f64 v[4:5], v[4:5], v[10:11]
	v_div_scale_f64 v[10:11], s[10:11], v[12:13], v[12:13], v[4:5]
	v_rcp_f64_e32 v[14:15], v[10:11]
	s_nop 0
	v_fma_f64 v[16:17], -v[10:11], v[14:15], 1.0
	v_fmac_f64_e32 v[14:15], v[14:15], v[16:17]
	v_fma_f64 v[16:17], -v[10:11], v[14:15], 1.0
	v_fmac_f64_e32 v[14:15], v[14:15], v[16:17]
	v_div_scale_f64 v[16:17], vcc, v[4:5], v[12:13], v[4:5]
	v_mul_f64 v[18:19], v[16:17], v[14:15]
	v_fma_f64 v[10:11], -v[10:11], v[18:19], v[16:17]
	s_nop 1
	v_div_fmas_f64 v[10:11], v[10:11], v[14:15], v[18:19]
	v_div_fixup_f64 v[4:5], v[10:11], v[12:13], v[4:5]
.LBB8_205:
	s_andn2_saveexec_b64 s[8:9], s[8:9]
; %bb.206:
	s_mov_b32 s10, 0
	s_mov_b32 s11, 0xbfd00000
	v_fma_f64 v[4:5], v[6:7], s[10:11], 1.0
; %bb.207:
	s_or_b64 exec, exec, s[8:9]
	s_mov_b32 s8, 0xe896898f
	s_mov_b32 s9, 0x40ce7437
	v_add_f64 v[10:11], v[8:9], s[8:9]
	v_mov_b32_e32 v12, 0x32e48896
	v_mov_b32_e32 v13, 0xc16bf81f
	v_fmac_f64_e32 v[12:13], v[6:7], v[10:11]
	v_mov_b32_e32 v10, 0xf0284cdd
	v_mov_b32_e32 v11, 0x41f43f78
	v_fmac_f64_e32 v[10:11], v[6:7], v[12:13]
	;; [unrolled: 3-line block ×4, first 2 shown]
	v_mov_b32_e32 v12, 0xd1d8cc02
	v_mov_b32_e32 v13, 0xc328a121
	s_mov_b32 s8, 0x576dfcb6
	v_fmac_f64_e32 v[12:13], v[6:7], v[10:11]
	v_mov_b32_e32 v10, 0x660b4003
	v_mov_b32_e32 v11, 0x4363a94b
	s_mov_b32 s9, 0x40904522
	v_fmac_f64_e32 v[10:11], v[6:7], v[12:13]
	v_add_f64 v[8:9], v[8:9], s[8:9]
	v_mov_b32_e32 v12, 0xa907bc0c
	v_mov_b32_e32 v13, 0x41231b76
	v_fmac_f64_e32 v[12:13], v[6:7], v[8:9]
	v_mov_b32_e32 v8, 0x5164d101
	v_mov_b32_e32 v9, 0x41b00763
	v_fmac_f64_e32 v[8:9], v[6:7], v[12:13]
	;; [unrolled: 3-line block ×7, first 2 shown]
	v_div_scale_f64 v[6:7], s[8:9], v[8:9], v[8:9], v[12:13]
	v_rcp_f64_e32 v[10:11], v[6:7]
	s_mov_b32 s8, 0x55555555
	v_frexp_exp_i32_f64_e32 v1, v[2:3]
	v_frexp_mant_f64_e32 v[2:3], v[2:3]
	v_fma_f64 v[14:15], -v[6:7], v[10:11], 1.0
	v_fmac_f64_e32 v[10:11], v[10:11], v[14:15]
	v_fma_f64 v[14:15], -v[6:7], v[10:11], 1.0
	v_fmac_f64_e32 v[10:11], v[10:11], v[14:15]
	v_div_scale_f64 v[14:15], vcc, v[12:13], v[8:9], v[12:13]
	v_mul_f64 v[16:17], v[14:15], v[10:11]
	v_fma_f64 v[6:7], -v[6:7], v[16:17], v[14:15]
	s_mov_b32 s9, 0x3fe55555
	s_nop 0
	v_div_fmas_f64 v[6:7], v[6:7], v[10:11], v[16:17]
	v_div_fixup_f64 v[6:7], v[6:7], v[8:9], v[12:13]
	v_mov_b32_e32 v8, 0x3ff00000
	v_cmp_gt_f64_e32 vcc, s[8:9], v[2:3]
	s_mov_b32 s8, 0xbf559e2b
	s_mov_b32 s9, 0x3fc3ab76
	v_cndmask_b32_e64 v9, v8, 2.0, vcc
	v_mov_b32_e32 v8, 0
	v_mul_f64 v[2:3], v[2:3], v[8:9]
	v_add_f64 v[8:9], v[2:3], 1.0
	v_rcp_f64_e32 v[10:11], v[8:9]
	v_add_f64 v[14:15], v[8:9], -1.0
	v_add_f64 v[12:13], v[2:3], -1.0
	v_add_f64 v[2:3], v[2:3], -v[14:15]
	v_fma_f64 v[14:15], -v[8:9], v[10:11], 1.0
	v_fmac_f64_e32 v[10:11], v[14:15], v[10:11]
	v_fma_f64 v[14:15], -v[8:9], v[10:11], 1.0
	v_fmac_f64_e32 v[10:11], v[14:15], v[10:11]
	v_mul_f64 v[14:15], v[12:13], v[10:11]
	v_mul_f64 v[16:17], v[8:9], v[14:15]
	v_fma_f64 v[8:9], v[14:15], v[8:9], -v[16:17]
	v_fmac_f64_e32 v[8:9], v[14:15], v[2:3]
	v_add_f64 v[2:3], v[16:17], v[8:9]
	v_add_f64 v[18:19], v[12:13], -v[2:3]
	v_add_f64 v[16:17], v[2:3], -v[16:17]
	;; [unrolled: 1-line block ×5, first 2 shown]
	v_add_f64 v[2:3], v[8:9], v[2:3]
	v_add_f64 v[2:3], v[18:19], v[2:3]
	v_mul_f64 v[2:3], v[10:11], v[2:3]
	v_add_f64 v[8:9], v[14:15], v[2:3]
	v_add_f64 v[10:11], v[8:9], -v[14:15]
	v_add_f64 v[2:3], v[2:3], -v[10:11]
	v_mul_f64 v[10:11], v[8:9], v[8:9]
	v_mov_b32_e32 v12, 0x6b47b09a
	v_mov_b32_e32 v13, 0x3fc38538
	v_fmac_f64_e32 v[12:13], s[8:9], v[10:11]
	v_mov_b32_e32 v14, 0xd7f4df2e
	v_mov_b32_e32 v15, 0x3fc7474d
	v_fmac_f64_e32 v[14:15], v[10:11], v[12:13]
	;; [unrolled: 3-line block ×6, first 2 shown]
	v_ldexp_f64 v[12:13], v[8:9], 1
	v_mul_f64 v[8:9], v[8:9], v[10:11]
	v_mul_f64 v[8:9], v[8:9], v[14:15]
	v_add_f64 v[10:11], v[12:13], v[8:9]
	v_add_f64 v[12:13], v[10:11], -v[12:13]
	v_ldexp_f64 v[2:3], v[2:3], 1
	v_add_f64 v[8:9], v[8:9], -v[12:13]
	v_add_f64 v[2:3], v[2:3], v[8:9]
	v_add_f64 v[8:9], v[10:11], v[2:3]
	v_subbrev_co_u32_e32 v1, vcc, 0, v1, vcc
	v_add_f64 v[10:11], v[8:9], -v[10:11]
	s_mov_b32 s8, 0xfefa39ef
	v_add_f64 v[2:3], v[2:3], -v[10:11]
	v_cvt_f64_i32_e32 v[10:11], v1
	s_mov_b32 s9, 0x3fe62e42
	v_mul_f64 v[12:13], v[10:11], s[8:9]
	v_fma_f64 v[14:15], v[10:11], s[8:9], -v[12:13]
	s_mov_b32 s8, 0x3b39803f
	s_mov_b32 s9, 0x3c7abc9e
	v_fmac_f64_e32 v[14:15], s[8:9], v[10:11]
	v_add_f64 v[10:11], v[12:13], v[14:15]
	v_add_f64 v[12:13], v[10:11], -v[12:13]
	v_add_f64 v[12:13], v[14:15], -v[12:13]
	v_add_f64 v[14:15], v[10:11], v[8:9]
	v_add_f64 v[16:17], v[14:15], -v[10:11]
	v_add_f64 v[18:19], v[14:15], -v[16:17]
	;; [unrolled: 1-line block ×4, first 2 shown]
	v_add_f64 v[8:9], v[8:9], v[10:11]
	v_add_f64 v[10:11], v[12:13], v[2:3]
	v_add_f64 v[16:17], v[10:11], -v[12:13]
	v_add_f64 v[18:19], v[10:11], -v[16:17]
	v_add_f64 v[8:9], v[10:11], v[8:9]
	v_add_f64 v[12:13], v[12:13], -v[18:19]
	v_add_f64 v[2:3], v[2:3], -v[16:17]
	v_add_f64 v[10:11], v[14:15], v[8:9]
	v_add_f64 v[2:3], v[2:3], v[12:13]
	v_add_f64 v[12:13], v[10:11], -v[14:15]
	v_add_f64 v[8:9], v[8:9], -v[12:13]
	v_add_f64 v[2:3], v[2:3], v[8:9]
	s_mov_b32 s8, 0x6dc9c883
	v_add_f64 v[2:3], v[10:11], v[2:3]
	s_mov_b32 s9, 0x3fe45f30
	v_mul_f64 v[2:3], v[2:3], s[8:9]
	v_fmac_f64_e32 v[6:7], v[2:3], v[4:5]
.LBB8_208:
	s_or_b64 exec, exec, s[6:7]
.LBB8_209:
	s_or_b64 exec, exec, s[4:5]
                                        ; implicit-def: $vgpr2_vgpr3
.LBB8_210:
	s_andn2_saveexec_b64 s[4:5], s[2:3]
	s_cbranch_execz .LBB8_220
; %bb.211:
	s_mov_b32 s9, 0xbfe921fb
	s_mov_b32 s8, 0x54442d18
	;; [unrolled: 1-line block ×3, first 2 shown]
	v_add_f64 v[4:5], v[2:3], s[8:9]
	s_mov_b32 s3, 0x41d00000
	v_cmp_nlt_f64_e64 s[6:7], |v[4:5]|, s[2:3]
                                        ; implicit-def: $vgpr1
                                        ; implicit-def: $vgpr6_vgpr7
                                        ; implicit-def: $vgpr8_vgpr9
	s_and_saveexec_b64 s[2:3], s[6:7]
	s_xor_b64 s[10:11], exec, s[2:3]
	s_cbranch_execz .LBB8_213
; %bb.212:
	s_mov_b32 s2, 0
	s_mov_b32 s3, 0x7b000000
	s_movk_i32 s9, 0xff80
	v_and_b32_e32 v1, 0x7fffffff, v5
	v_ldexp_f64 v[10:11], |v[4:5]|, s9
	v_cmp_ge_f64_e64 vcc, |v[4:5]|, s[2:3]
	v_trig_preop_f64 v[6:7], |v[4:5]|, 0
	v_trig_preop_f64 v[8:9], |v[4:5]|, 1
	v_cndmask_b32_e32 v11, v1, v11, vcc
	v_cndmask_b32_e32 v10, v4, v10, vcc
	v_mul_f64 v[14:15], v[6:7], v[10:11]
	v_mul_f64 v[12:13], v[8:9], v[10:11]
	v_fma_f64 v[6:7], v[6:7], v[10:11], -v[14:15]
	v_add_f64 v[16:17], v[12:13], v[6:7]
	v_add_f64 v[18:19], v[14:15], v[16:17]
	s_mov_b32 s2, 0
	v_ldexp_f64 v[20:21], v[18:19], -2
	s_mov_b32 s3, 0x7ff00000
	v_fract_f64_e32 v[24:25], v[20:21]
	v_cmp_neq_f64_e64 vcc, |v[20:21]|, s[2:3]
	v_fma_f64 v[8:9], v[8:9], v[10:11], -v[12:13]
	v_add_f64 v[14:15], v[18:19], -v[14:15]
	v_cndmask_b32_e32 v21, 0, v25, vcc
	v_cndmask_b32_e32 v20, 0, v24, vcc
	v_add_f64 v[24:25], v[16:17], -v[12:13]
	v_add_f64 v[6:7], v[6:7], -v[24:25]
	;; [unrolled: 1-line block ×4, first 2 shown]
	v_trig_preop_f64 v[12:13], |v[4:5]|, 2
	v_add_f64 v[6:7], v[6:7], v[24:25]
	v_mul_f64 v[24:25], v[12:13], v[10:11]
	v_add_f64 v[28:29], v[24:25], v[8:9]
	v_add_f64 v[30:31], v[28:29], v[6:7]
	v_add_f64 v[18:19], v[30:31], -v[28:29]
	v_add_f64 v[6:7], v[6:7], -v[18:19]
	;; [unrolled: 1-line block ×4, first 2 shown]
	v_add_f64 v[6:7], v[6:7], v[18:19]
	v_add_f64 v[18:19], v[28:29], -v[24:25]
	v_add_f64 v[8:9], v[8:9], -v[18:19]
	;; [unrolled: 1-line block ×4, first 2 shown]
	v_add_f64 v[8:9], v[8:9], v[18:19]
	v_add_f64 v[14:15], v[16:17], -v[14:15]
	v_add_f64 v[6:7], v[8:9], v[6:7]
	v_fma_f64 v[8:9], v[12:13], v[10:11], -v[24:25]
	v_add_f64 v[16:17], v[14:15], v[30:31]
	v_add_f64 v[6:7], v[8:9], v[6:7]
	v_ldexp_f64 v[8:9], v[20:21], 2
	v_add_f64 v[10:11], v[16:17], v[8:9]
	v_mov_b32_e32 v1, 0x40100000
	v_cmp_gt_f64_e32 vcc, 0, v[10:11]
	v_mov_b32_e32 v26, 0
	v_add_f64 v[14:15], v[16:17], -v[14:15]
	v_cndmask_b32_e32 v27, 0, v1, vcc
	v_add_f64 v[8:9], v[8:9], v[26:27]
	v_add_f64 v[10:11], v[16:17], v[8:9]
	v_cvt_i32_f64_e32 v1, v[10:11]
	v_cvt_f64_i32_e32 v[10:11], v1
	v_add_f64 v[8:9], v[8:9], -v[10:11]
	v_add_f64 v[10:11], v[16:17], v[8:9]
	v_add_f64 v[14:15], v[30:31], -v[14:15]
	v_add_f64 v[8:9], v[10:11], -v[8:9]
	v_add_f64 v[6:7], v[14:15], v[6:7]
	v_add_f64 v[8:9], v[16:17], -v[8:9]
	v_add_f64 v[6:7], v[6:7], v[8:9]
	v_cmp_le_f64_e32 vcc, 0.5, v[10:11]
	v_mov_b32_e32 v8, 0x3ff00000
	s_mov_b32 s9, 0x3ff921fb
	v_cndmask_b32_e32 v27, 0, v8, vcc
	v_add_f64 v[8:9], v[10:11], -v[26:27]
	v_add_f64 v[10:11], v[8:9], v[6:7]
	v_addc_co_u32_e64 v1, s[2:3], 0, v1, vcc
	v_add_f64 v[8:9], v[10:11], -v[8:9]
	v_add_f64 v[6:7], v[6:7], -v[8:9]
	v_mul_f64 v[8:9], v[10:11], s[8:9]
	s_mov_b32 s2, 0x33145c07
	v_fma_f64 v[12:13], v[10:11], s[8:9], -v[8:9]
	s_mov_b32 s3, 0x3c91a626
	v_fmac_f64_e32 v[12:13], s[2:3], v[10:11]
	v_fmac_f64_e32 v[12:13], s[8:9], v[6:7]
	v_add_f64 v[6:7], v[8:9], v[12:13]
	v_add_f64 v[8:9], v[6:7], -v[8:9]
	v_add_f64 v[8:9], v[12:13], -v[8:9]
	s_andn2_saveexec_b64 s[2:3], s[10:11]
	s_cbranch_execz .LBB8_215
	s_branch .LBB8_214
.LBB8_213:
	s_andn2_saveexec_b64 s[2:3], s[10:11]
	s_cbranch_execz .LBB8_215
.LBB8_214:
	s_mov_b32 s8, 0x6dc9c883
	s_mov_b32 s9, 0x3fe45f30
	v_mul_f64 v[6:7], |v[4:5]|, s[8:9]
	s_mov_b32 s8, 0x54442d18
	v_rndne_f64_e32 v[10:11], v[6:7]
	s_mov_b32 s9, 0xbff921fb
	v_fma_f64 v[6:7], v[10:11], s[8:9], |v[4:5]|
	s_mov_b32 s9, 0xbc91a626
	s_mov_b32 s8, 0x33145c00
	v_mul_f64 v[12:13], v[10:11], s[8:9]
	v_add_f64 v[16:17], v[6:7], v[12:13]
	v_fma_f64 v[8:9], s[8:9], v[10:11], v[6:7]
	s_mov_b32 s9, 0x3c91a626
	v_add_f64 v[6:7], v[6:7], -v[16:17]
	v_fma_f64 v[14:15], s[8:9], v[10:11], v[12:13]
	v_add_f64 v[6:7], v[6:7], v[12:13]
	v_add_f64 v[12:13], v[16:17], -v[8:9]
	v_add_f64 v[6:7], v[12:13], v[6:7]
	s_mov_b32 s8, 0x252049c0
	v_add_f64 v[12:13], v[6:7], -v[14:15]
	s_mov_b32 s9, 0xb97b839a
	v_fmac_f64_e32 v[12:13], s[8:9], v[10:11]
	v_add_f64 v[6:7], v[8:9], v[12:13]
	v_add_f64 v[8:9], v[6:7], -v[8:9]
	v_add_f64 v[8:9], v[12:13], -v[8:9]
	v_cvt_i32_f64_e32 v1, v[10:11]
.LBB8_215:
	s_or_b64 exec, exec, s[2:3]
                                        ; implicit-def: $vgpr23
                                        ; implicit-def: $vgpr10_vgpr11
                                        ; implicit-def: $vgpr12_vgpr13
	s_and_saveexec_b64 s[2:3], s[6:7]
	s_xor_b64 s[6:7], exec, s[2:3]
	s_cbranch_execz .LBB8_217
; %bb.216:
	s_mov_b32 s2, 0
	s_mov_b32 s3, 0x7b000000
	s_movk_i32 s8, 0xff80
	v_and_b32_e32 v16, 0x7fffffff, v5
	v_ldexp_f64 v[14:15], |v[4:5]|, s8
	v_cmp_ge_f64_e64 vcc, |v[4:5]|, s[2:3]
	v_trig_preop_f64 v[10:11], |v[4:5]|, 0
	v_trig_preop_f64 v[12:13], |v[4:5]|, 1
	v_cndmask_b32_e32 v15, v16, v15, vcc
	v_cndmask_b32_e32 v14, v4, v14, vcc
	v_mul_f64 v[18:19], v[10:11], v[14:15]
	v_mul_f64 v[16:17], v[12:13], v[14:15]
	v_fma_f64 v[10:11], v[10:11], v[14:15], -v[18:19]
	v_add_f64 v[20:21], v[16:17], v[10:11]
	v_add_f64 v[24:25], v[18:19], v[20:21]
	s_mov_b32 s2, 0
	v_ldexp_f64 v[26:27], v[24:25], -2
	s_mov_b32 s3, 0x7ff00000
	v_fract_f64_e32 v[28:29], v[26:27]
	v_cmp_neq_f64_e64 vcc, |v[26:27]|, s[2:3]
	v_fma_f64 v[12:13], v[12:13], v[14:15], -v[16:17]
	v_add_f64 v[18:19], v[24:25], -v[18:19]
	v_cndmask_b32_e32 v27, 0, v29, vcc
	v_cndmask_b32_e32 v26, 0, v28, vcc
	v_add_f64 v[28:29], v[20:21], -v[16:17]
	v_add_f64 v[10:11], v[10:11], -v[28:29]
	;; [unrolled: 1-line block ×4, first 2 shown]
	v_trig_preop_f64 v[16:17], |v[4:5]|, 2
	v_add_f64 v[10:11], v[10:11], v[28:29]
	v_mul_f64 v[28:29], v[16:17], v[14:15]
	v_add_f64 v[32:33], v[28:29], v[12:13]
	v_add_f64 v[34:35], v[32:33], v[10:11]
	v_add_f64 v[24:25], v[34:35], -v[32:33]
	v_add_f64 v[10:11], v[10:11], -v[24:25]
	;; [unrolled: 1-line block ×4, first 2 shown]
	v_add_f64 v[10:11], v[10:11], v[24:25]
	v_add_f64 v[24:25], v[32:33], -v[28:29]
	v_add_f64 v[12:13], v[12:13], -v[24:25]
	v_add_f64 v[24:25], v[32:33], -v[24:25]
	v_add_f64 v[24:25], v[28:29], -v[24:25]
	v_add_f64 v[12:13], v[12:13], v[24:25]
	v_add_f64 v[18:19], v[20:21], -v[18:19]
	v_add_f64 v[10:11], v[12:13], v[10:11]
	v_fma_f64 v[12:13], v[16:17], v[14:15], -v[28:29]
	v_add_f64 v[20:21], v[18:19], v[34:35]
	v_add_f64 v[10:11], v[12:13], v[10:11]
	v_ldexp_f64 v[12:13], v[26:27], 2
	v_add_f64 v[14:15], v[20:21], v[12:13]
	v_mov_b32_e32 v16, 0x40100000
	v_cmp_gt_f64_e32 vcc, 0, v[14:15]
	v_mov_b32_e32 v30, 0
	v_add_f64 v[18:19], v[20:21], -v[18:19]
	v_cndmask_b32_e32 v31, 0, v16, vcc
	v_add_f64 v[12:13], v[12:13], v[30:31]
	v_add_f64 v[14:15], v[20:21], v[12:13]
	v_cvt_i32_f64_e32 v16, v[14:15]
	v_cvt_f64_i32_e32 v[14:15], v16
	v_add_f64 v[12:13], v[12:13], -v[14:15]
	v_add_f64 v[14:15], v[20:21], v[12:13]
	v_add_f64 v[18:19], v[34:35], -v[18:19]
	v_add_f64 v[12:13], v[14:15], -v[12:13]
	v_add_f64 v[10:11], v[18:19], v[10:11]
	v_add_f64 v[12:13], v[20:21], -v[12:13]
	v_add_f64 v[10:11], v[10:11], v[12:13]
	v_cmp_le_f64_e32 vcc, 0.5, v[14:15]
	v_mov_b32_e32 v12, 0x3ff00000
	s_mov_b32 s8, 0x33145c07
	v_cndmask_b32_e32 v31, 0, v12, vcc
	v_addc_co_u32_e64 v23, s[2:3], 0, v16, vcc
	v_add_f64 v[12:13], v[14:15], -v[30:31]
	v_add_f64 v[14:15], v[12:13], v[10:11]
	s_mov_b32 s2, 0x54442d18
	v_add_f64 v[12:13], v[14:15], -v[12:13]
	s_mov_b32 s3, 0x3ff921fb
	v_add_f64 v[10:11], v[10:11], -v[12:13]
	v_mul_f64 v[12:13], v[14:15], s[2:3]
	v_fma_f64 v[16:17], v[14:15], s[2:3], -v[12:13]
	s_mov_b32 s9, 0x3c91a626
	v_fmac_f64_e32 v[16:17], s[8:9], v[14:15]
	v_fmac_f64_e32 v[16:17], s[2:3], v[10:11]
	v_add_f64 v[10:11], v[12:13], v[16:17]
	v_add_f64 v[12:13], v[10:11], -v[12:13]
	v_add_f64 v[12:13], v[16:17], -v[12:13]
	s_andn2_saveexec_b64 s[2:3], s[6:7]
	s_cbranch_execnz .LBB8_218
	s_branch .LBB8_219
.LBB8_217:
	s_andn2_saveexec_b64 s[2:3], s[6:7]
	s_cbranch_execz .LBB8_219
.LBB8_218:
	s_mov_b32 s6, 0x6dc9c883
	s_mov_b32 s7, 0x3fe45f30
	v_mul_f64 v[10:11], |v[4:5]|, s[6:7]
	s_mov_b32 s6, 0x54442d18
	v_rndne_f64_e32 v[14:15], v[10:11]
	s_mov_b32 s7, 0xbff921fb
	v_fma_f64 v[10:11], v[14:15], s[6:7], |v[4:5]|
	s_mov_b32 s7, 0xbc91a626
	s_mov_b32 s6, 0x33145c00
	v_mul_f64 v[16:17], v[14:15], s[6:7]
	v_add_f64 v[20:21], v[10:11], v[16:17]
	v_fma_f64 v[12:13], s[6:7], v[14:15], v[10:11]
	s_mov_b32 s7, 0x3c91a626
	v_add_f64 v[10:11], v[10:11], -v[20:21]
	v_fma_f64 v[18:19], s[6:7], v[14:15], v[16:17]
	v_add_f64 v[10:11], v[10:11], v[16:17]
	v_add_f64 v[16:17], v[20:21], -v[12:13]
	v_add_f64 v[10:11], v[16:17], v[10:11]
	s_mov_b32 s6, 0x252049c0
	v_add_f64 v[16:17], v[10:11], -v[18:19]
	s_mov_b32 s7, 0xb97b839a
	v_fmac_f64_e32 v[16:17], s[6:7], v[14:15]
	v_add_f64 v[10:11], v[12:13], v[16:17]
	v_add_f64 v[12:13], v[10:11], -v[12:13]
	v_add_f64 v[12:13], v[16:17], -v[12:13]
	v_cvt_i32_f64_e32 v23, v[14:15]
.LBB8_219:
	s_or_b64 exec, exec, s[2:3]
	s_mov_b32 s2, 0
	v_mul_f64 v[14:15], v[2:3], v[2:3]
	s_mov_b32 s3, 0x40390000
	v_div_scale_f64 v[16:17], s[6:7], v[14:15], v[14:15], s[2:3]
	v_rcp_f64_e32 v[18:19], v[16:17]
	v_mov_b32_e32 v26, 0x55b218cd
	v_mov_b32_e32 v27, 0xc049b48c
	s_mov_b32 s6, 0x46cc5e42
	v_fma_f64 v[20:21], -v[16:17], v[18:19], 1.0
	v_fmac_f64_e32 v[18:19], v[18:19], v[20:21]
	v_fma_f64 v[20:21], -v[16:17], v[18:19], 1.0
	v_fmac_f64_e32 v[18:19], v[18:19], v[20:21]
	v_div_scale_f64 v[20:21], vcc, s[2:3], v[14:15], s[2:3]
	v_mul_f64 v[24:25], v[20:21], v[18:19]
	v_fma_f64 v[16:17], -v[16:17], v[24:25], v[20:21]
	v_mov_b32_e32 v20, 0xab5454e3
	s_nop 0
	v_div_fmas_f64 v[16:17], v[16:17], v[18:19], v[24:25]
	v_div_fixup_f64 v[16:17], v[16:17], v[14:15], s[2:3]
	v_mov_b32_e32 v14, 0x983b6b27
	v_mov_b32_e32 v15, 0x3f4a1d30
	v_fmac_f64_e32 v[14:15], 0, v[16:17]
	v_mov_b32_e32 v18, 0xb35dd1cf
	v_mov_b32_e32 v19, 0x3fb534b0
	v_fmac_f64_e32 v[18:19], v[16:17], v[14:15]
	;; [unrolled: 3-line block ×7, first 2 shown]
	v_mov_b32_e32 v21, 0x3fb5ebc5
	v_fmac_f64_e32 v[20:21], v[16:17], v[14:15]
	v_mov_b32_e32 v14, 0xc9b3069f
	v_mov_b32_e32 v15, 0x3ff40e72
	v_fmac_f64_e32 v[14:15], v[16:17], v[20:21]
	v_mov_b32_e32 v20, 0xe68162bb
	;; [unrolled: 3-line block ×10, first 2 shown]
	v_mov_b32_e32 v25, 0xc062627a
	v_fmac_f64_e32 v[24:25], v[16:17], v[14:15]
	v_fmac_f64_e32 v[26:27], v[16:17], v[24:25]
	v_mov_b32_e32 v14, 0xd1b9a1dd
	v_mov_b32_e32 v15, 0xc0183358
	;; [unrolled: 1-line block ×4, first 2 shown]
	v_fmac_f64_e32 v[14:15], v[16:17], v[26:27]
	v_fmac_f64_e32 v[24:25], 0, v[16:17]
	v_mov_b32_e32 v26, 0xb1759c7f
	v_mov_b32_e32 v27, 0x408ac370
	v_fmac_f64_e32 v[26:27], v[16:17], v[24:25]
	v_mov_b32_e32 v24, 0xbd748cb5
	v_mov_b32_e32 v25, 0x40ae54cd
	;; [unrolled: 3-line block ×5, first 2 shown]
	v_fma_f64 v[20:21], v[16:17], v[20:21], 1.0
	v_fmac_f64_e32 v[26:27], v[16:17], v[24:25]
	v_fma_f64 v[24:25], v[16:17], v[18:19], 1.0
	v_div_scale_f64 v[28:29], s[2:3], v[20:21], v[20:21], v[24:25]
	v_rcp_f64_e32 v[30:31], v[28:29]
	v_mov_b32_e32 v18, 0x6280a54
	v_mov_b32_e32 v19, 0x406e402f
	v_fmac_f64_e32 v[18:19], v[16:17], v[26:27]
	v_fma_f64 v[16:17], -v[28:29], v[30:31], 1.0
	v_fmac_f64_e32 v[30:31], v[30:31], v[16:17]
	v_fma_f64 v[16:17], -v[28:29], v[30:31], 1.0
	v_fmac_f64_e32 v[30:31], v[30:31], v[16:17]
	v_div_scale_f64 v[16:17], vcc, v[24:25], v[20:21], v[24:25]
	v_mul_f64 v[26:27], v[16:17], v[30:31]
	v_fma_f64 v[16:17], -v[28:29], v[26:27], v[16:17]
	s_mov_b32 s2, 0x9037ab78
	s_nop 0
	v_div_fmas_f64 v[16:17], v[16:17], v[30:31], v[26:27]
	v_div_fixup_f64 v[16:17], v[16:17], v[20:21], v[24:25]
	v_mul_f64 v[24:25], v[6:7], v[6:7]
	v_mul_f64 v[20:21], v[24:25], 0.5
	v_add_f64 v[26:27], -v[20:21], 1.0
	v_add_f64 v[28:29], -v[26:27], 1.0
	s_mov_b32 s3, 0x3e21eeb6
	v_add_f64 v[28:29], v[28:29], -v[20:21]
	s_mov_b32 s7, 0xbda907db
	v_mov_b64_e32 v[20:21], s[2:3]
	s_mov_b32 s8, 0xa17f65f6
	v_fma_f64 v[32:33], s[6:7], v[24:25], v[20:21]
	s_mov_b32 s9, 0xbe927e4f
	s_mov_b32 s10, 0x19f4ec90
	v_fma_f64 v[32:33], v[24:25], v[32:33], s[8:9]
	s_mov_b32 s11, 0x3efa01a0
	;; [unrolled: 3-line block ×4, first 2 shown]
	v_mul_f64 v[30:31], v[24:25], v[24:25]
	v_fma_f64 v[32:33], v[24:25], v[32:33], s[14:15]
	v_fma_f64 v[28:29], v[6:7], -v[8:9], v[28:29]
	s_mov_b32 s2, 0xb42fdfa7
	v_fmac_f64_e32 v[28:29], v[30:31], v[32:33]
	s_mov_b32 s3, 0xbe5ae600
	s_mov_b32 s16, 0xf9a43bb8
	v_add_f64 v[26:27], v[26:27], v[28:29]
	s_mov_b32 s17, 0x3de5e0b2
	v_mov_b64_e32 v[28:29], s[2:3]
	s_mov_b32 s18, 0x796cde01
	v_fma_f64 v[30:31], s[16:17], v[24:25], v[28:29]
	s_mov_b32 s19, 0x3ec71de3
	s_mov_b32 s36, 0x19e83e5c
	v_fma_f64 v[30:31], v[24:25], v[30:31], s[18:19]
	s_mov_b32 s37, 0xbf2a01a0
	;; [unrolled: 3-line block ×3, first 2 shown]
	v_fma_f64 v[30:31], v[24:25], v[30:31], s[38:39]
	v_mul_f64 v[32:33], v[6:7], -v[24:25]
	v_mul_f64 v[34:35], v[8:9], 0.5
	v_fmac_f64_e32 v[34:35], v[32:33], v[30:31]
	v_fma_f64 v[8:9], v[24:25], v[34:35], -v[8:9]
	s_mov_b32 s53, 0xbfc55555
	s_mov_b32 s52, s14
	v_fmac_f64_e32 v[8:9], s[52:53], v[32:33]
	v_add_f64 v[6:7], v[6:7], -v[8:9]
	v_and_b32_e32 v8, 1, v1
	v_lshlrev_b32_e32 v1, 30, v1
	v_cmp_eq_u32_e32 vcc, 0, v8
	v_xor_b32_e32 v1, v1, v5
	s_mov_b32 s54, 0
	v_cndmask_b32_e32 v24, v26, v6, vcc
	v_cndmask_b32_e32 v6, v27, v7, vcc
	v_and_b32_e32 v1, 0x80000000, v1
	s_mov_b32 s55, 0x40140000
	v_xor_b32_e32 v1, v6, v1
	v_div_scale_f64 v[6:7], s[2:3], v[2:3], v[2:3], s[54:55]
	v_rcp_f64_e32 v[8:9], v[6:7]
	s_movk_i32 s59, 0x1f8
	v_cmp_class_f64_e64 s[2:3], v[4:5], s59
	v_mov_b32_e32 v32, 0x7ff80000
	s_nop 0
	v_cndmask_b32_e64 v4, 0, v24, s[2:3]
	v_fma_f64 v[24:25], -v[6:7], v[8:9], 1.0
	v_fmac_f64_e32 v[8:9], v[8:9], v[24:25]
	v_fma_f64 v[24:25], -v[6:7], v[8:9], 1.0
	v_fmac_f64_e32 v[8:9], v[8:9], v[24:25]
	v_div_scale_f64 v[24:25], vcc, s[54:55], v[2:3], s[54:55]
	v_mul_f64 v[26:27], v[24:25], v[8:9]
	v_fma_f64 v[6:7], -v[6:7], v[26:27], v[24:25]
	v_div_scale_f64 v[24:25], s[60:61], v[18:19], v[18:19], v[14:15]
	v_rcp_f64_e32 v[30:31], v[24:25]
	v_div_fmas_f64 v[6:7], v[6:7], v[8:9], v[26:27]
	v_div_fixup_f64 v[6:7], v[6:7], v[2:3], s[54:55]
	v_cndmask_b32_e64 v5, v32, v1, s[2:3]
	v_fma_f64 v[8:9], -v[24:25], v[30:31], 1.0
	v_fmac_f64_e32 v[30:31], v[30:31], v[8:9]
	v_fma_f64 v[8:9], -v[24:25], v[30:31], 1.0
	v_fmac_f64_e32 v[30:31], v[30:31], v[8:9]
	v_div_scale_f64 v[8:9], vcc, v[14:15], v[18:19], v[14:15]
	v_mul_f64 v[26:27], v[8:9], v[30:31]
	v_fma_f64 v[8:9], -v[24:25], v[26:27], v[8:9]
	s_nop 1
	v_div_fmas_f64 v[8:9], v[8:9], v[30:31], v[26:27]
	v_div_fixup_f64 v[8:9], v[8:9], v[18:19], v[14:15]
	v_mul_f64 v[6:7], v[6:7], v[8:9]
	v_mul_f64 v[8:9], v[10:11], v[10:11]
	v_mul_f64 v[14:15], v[8:9], 0.5
	v_fmac_f64_e32 v[20:21], s[6:7], v[8:9]
	v_add_f64 v[18:19], -v[14:15], 1.0
	v_fma_f64 v[20:21], v[8:9], v[20:21], s[8:9]
	v_add_f64 v[24:25], -v[18:19], 1.0
	v_fma_f64 v[20:21], v[8:9], v[20:21], s[10:11]
	v_add_f64 v[14:15], v[24:25], -v[14:15]
	v_fma_f64 v[20:21], v[8:9], v[20:21], s[12:13]
	v_mul_f64 v[24:25], v[8:9], v[8:9]
	v_fma_f64 v[20:21], v[8:9], v[20:21], s[14:15]
	v_fma_f64 v[14:15], v[10:11], -v[12:13], v[14:15]
	v_fmac_f64_e32 v[14:15], v[24:25], v[20:21]
	v_fmac_f64_e32 v[28:29], s[16:17], v[8:9]
	v_add_f64 v[14:15], v[18:19], v[14:15]
	v_fma_f64 v[18:19], v[8:9], v[28:29], s[18:19]
	v_fma_f64 v[18:19], v[8:9], v[18:19], s[36:37]
	;; [unrolled: 1-line block ×3, first 2 shown]
	v_mul_f64 v[20:21], v[10:11], -v[8:9]
	v_mul_f64 v[24:25], v[12:13], 0.5
	v_fmac_f64_e32 v[24:25], v[20:21], v[18:19]
	v_fma_f64 v[8:9], v[8:9], v[24:25], -v[12:13]
	v_fmac_f64_e32 v[8:9], s[52:53], v[20:21]
	v_add_f64 v[8:9], v[10:11], -v[8:9]
	v_xor_b32_e32 v1, 0x80000000, v9
	v_and_b32_e32 v9, 1, v23
	v_cmp_eq_u32_e32 vcc, 0, v9
	v_lshlrev_b32_e32 v9, 30, v23
	v_and_b32_e32 v9, 0x80000000, v9
	v_cndmask_b32_e32 v1, v1, v15, vcc
	v_cndmask_b32_e32 v8, v8, v14, vcc
	v_xor_b32_e32 v1, v1, v9
	v_cndmask_b32_e64 v8, 0, v8, s[2:3]
	v_cndmask_b32_e64 v9, v32, v1, s[2:3]
	s_mov_b32 s2, 0
	s_brev_b32 s3, 8
	v_cmp_gt_f64_e32 vcc, s[2:3], v[2:3]
	v_mul_f64 v[6:7], v[6:7], v[8:9]
	v_fmac_f64_e32 v[6:7], v[16:17], v[4:5]
	v_cndmask_b32_e64 v1, 0, 1, vcc
	v_lshlrev_b32_e32 v1, 8, v1
	v_ldexp_f64 v[2:3], v[2:3], v1
	v_rsq_f64_e32 v[4:5], v[2:3]
	v_mov_b32_e32 v1, 0xffffff80
	v_cndmask_b32_e32 v1, 0, v1, vcc
	s_mov_b32 s2, 0x33d43651
	v_mul_f64 v[8:9], v[2:3], v[4:5]
	v_mul_f64 v[4:5], v[4:5], 0.5
	v_fma_f64 v[10:11], -v[4:5], v[8:9], 0.5
	v_fmac_f64_e32 v[8:9], v[8:9], v[10:11]
	v_fma_f64 v[12:13], -v[8:9], v[8:9], v[2:3]
	v_fmac_f64_e32 v[4:5], v[4:5], v[10:11]
	v_fmac_f64_e32 v[8:9], v[12:13], v[4:5]
	v_fma_f64 v[10:11], -v[8:9], v[8:9], v[2:3]
	v_fmac_f64_e32 v[8:9], v[10:11], v[4:5]
	v_ldexp_f64 v[4:5], v[8:9], v1
	v_mov_b32_e32 v1, 0x260
	s_mov_b32 s3, 0x3fe98845
	v_cmp_class_f64_e32 vcc, v[2:3], v1
	v_mul_f64 v[6:7], v[6:7], s[2:3]
	s_nop 0
	v_cndmask_b32_e32 v3, v5, v3, vcc
	v_cndmask_b32_e32 v2, v4, v2, vcc
	v_div_scale_f64 v[4:5], s[2:3], v[2:3], v[2:3], v[6:7]
	v_rcp_f64_e32 v[8:9], v[4:5]
	s_nop 0
	v_fma_f64 v[10:11], -v[4:5], v[8:9], 1.0
	v_fmac_f64_e32 v[8:9], v[8:9], v[10:11]
	v_fma_f64 v[10:11], -v[4:5], v[8:9], 1.0
	v_fmac_f64_e32 v[8:9], v[8:9], v[10:11]
	v_div_scale_f64 v[10:11], vcc, v[6:7], v[2:3], v[6:7]
	v_mul_f64 v[12:13], v[10:11], v[8:9]
	v_fma_f64 v[4:5], -v[4:5], v[12:13], v[10:11]
	s_nop 1
	v_div_fmas_f64 v[4:5], v[4:5], v[8:9], v[12:13]
	v_div_fixup_f64 v[6:7], v[4:5], v[2:3], v[6:7]
.LBB8_220:
	s_or_b64 exec, exec, s[4:5]
	v_add_u32_e32 v22, 0x80, v22
	global_store_dwordx2 v0, v[6:7], s[20:21]
	s_or_b64 exec, exec, s[50:51]
	v_cmp_gt_i32_e32 vcc, s57, v22
	s_and_saveexec_b64 s[50:51], vcc
	s_cbranch_execnz .LBB8_185
.LBB8_221:
	s_or_b64 exec, exec, s[50:51]
	v_cmp_gt_i32_e32 vcc, s57, v22
	s_and_saveexec_b64 s[50:51], vcc
	s_cbranch_execnz .LBB8_253
.LBB8_222:
	s_or_b64 exec, exec, s[50:51]
                                        ; implicit-def: $vgpr11
                                        ; implicit-def: $vgpr22
	s_andn2_saveexec_b64 s[2:3], s[40:41]
	s_cbranch_execnz .LBB8_9
.LBB8_223:
	s_endpgm
.LBB8_224:
	s_mov_b32 s3, s2
	v_mov_b64_e32 v[0:1], s[2:3]
                                        ; implicit-def: $vgpr2
	v_mov_b32_e32 v3, v22
.LBB8_225:
	s_and_b32 s6, s59, 3
	s_cmp_eq_u32 s6, 0
	s_cbranch_scc1 .LBB8_229
; %bb.226:
	s_lshl_b32 s3, s2, 3
	s_add_u32 s3, s3, s0
	s_addc_u32 s5, s1, 0
	s_add_u32 s4, s3, 0xc4
	s_addc_u32 s5, s5, 0
	s_mul_i32 s2, s2, 12
	s_add_u32 s2, s0, s2
	s_addc_u32 s3, s1, 0
.LBB8_227:                              ; =>This Inner Loop Header: Depth=1
	s_load_dwordx2 s[8:9], s[2:3], 0x4
	s_load_dword s7, s[2:3], 0xc
	s_load_dwordx2 s[10:11], s[4:5], 0x0
	v_mov_b32_e32 v2, v1
	s_add_u32 s2, s2, 12
	s_waitcnt lgkmcnt(0)
	v_mul_hi_u32 v1, s9, v3
	v_add_u32_e32 v1, v3, v1
	v_lshrrev_b32_e32 v1, s7, v1
	s_addc_u32 s3, s3, 0
	v_mul_lo_u32 v4, v1, s8
	s_add_u32 s4, s4, 8
	v_sub_u32_e32 v6, v3, v4
	v_mov_b32_e32 v3, v1
	s_addc_u32 s5, s5, 0
	s_add_i32 s6, s6, -1
	v_mad_u64_u32 v[4:5], s[8:9], v6, s11, v[2:3]
	v_mad_u64_u32 v[0:1], s[8:9], v6, s10, v[0:1]
	s_cmp_lg_u32 s6, 0
	v_mov_b32_e32 v1, v4
	s_cbranch_scc1 .LBB8_227
; %bb.228:
	v_mov_b32_e32 v2, v1
.LBB8_229:
	s_cbranch_execnz .LBB8_232
.LBB8_230:
	s_waitcnt lgkmcnt(0)
	v_mul_hi_u32 v0, s29, v22
	v_add_u32_e32 v0, v22, v0
	v_lshrrev_b32_e32 v1, s30, v0
	v_mul_lo_u32 v0, v1, s28
	v_sub_u32_e32 v0, v22, v0
	v_mul_lo_u32 v2, v0, s25
	s_andn2_b64 vcc, exec, s[44:45]
	v_mul_lo_u32 v0, v0, s24
	s_cbranch_vccnz .LBB8_232
; %bb.231:
	v_mul_hi_u32 v3, s42, v1
	v_add_u32_e32 v3, v1, v3
	v_lshrrev_b32_e32 v3, s43, v3
	v_mul_lo_u32 v3, v3, s31
	v_sub_u32_e32 v3, v1, v3
	v_mad_u64_u32 v[0:1], s[2:3], v3, s26, v[0:1]
	v_mad_u64_u32 v[2:3], s[2:3], v3, s27, v[2:3]
.LBB8_232:
	s_waitcnt lgkmcnt(0)
	global_load_dwordx2 v[2:3], v2, s[22:23]
	s_mov_b32 s2, 0
	s_mov_b32 s3, 0x40140000
                                        ; implicit-def: $vgpr6_vgpr7
	s_waitcnt vmcnt(0)
	v_cmp_ge_f64_e32 vcc, s[2:3], v[2:3]
	s_and_saveexec_b64 s[2:3], vcc
	s_xor_b64 s[2:3], exec, s[2:3]
	s_cbranch_execz .LBB8_242
; %bb.233:
	v_mov_b32_e32 v6, 0
	v_cmp_neq_f64_e32 vcc, 0, v[2:3]
	v_mov_b32_e32 v7, 0xfff00000
	s_and_saveexec_b64 s[4:5], vcc
	s_cbranch_execz .LBB8_241
; %bb.234:
	v_mov_b32_e32 v6, 0
	v_cmp_ngt_f64_e32 vcc, 0, v[2:3]
	v_mov_b32_e32 v7, 0x7ff80000
	s_and_saveexec_b64 s[6:7], vcc
	s_cbranch_execz .LBB8_240
; %bb.235:
	s_mov_b32 s8, 0x88e368f1
	v_mul_f64 v[6:7], v[2:3], v[2:3]
	s_mov_b32 s9, 0x3ee4f8b5
	v_mul_f64 v[8:9], v[6:7], 0
	v_cmp_ngt_f64_e32 vcc, s[8:9], v[2:3]
                                        ; implicit-def: $vgpr4_vgpr5
	s_and_saveexec_b64 s[8:9], vcc
	s_xor_b64 s[8:9], exec, s[8:9]
	s_cbranch_execz .LBB8_237
; %bb.236:
	s_mov_b32 s10, 0xad1c8325
	s_mov_b32 s11, 0xc1f1dc53
	v_add_f64 v[4:5], v[8:9], s[10:11]
	v_mov_b32_e32 v10, 0xc772990d
	v_mov_b32_e32 v11, 0x427c7751
	s_mov_b32 s10, 0xa696b78c
	v_fmac_f64_e32 v[10:11], v[6:7], v[4:5]
	v_mov_b32_e32 v4, 0xe0d900f7
	v_mov_b32_e32 v5, 0xc2ec5614
	s_mov_b32 s11, 0x407f3902
	v_fmac_f64_e32 v[4:5], v[6:7], v[10:11]
	v_add_f64 v[10:11], v[8:9], s[10:11]
	v_mov_b32_e32 v12, 0x36a21a67
	v_mov_b32_e32 v13, 0x410536cb
	v_fmac_f64_e32 v[12:13], v[6:7], v[10:11]
	v_mov_b32_e32 v10, 0x2eac0634
	v_mov_b32_e32 v11, 0x41871934
	v_fmac_f64_e32 v[10:11], v[6:7], v[12:13]
	;; [unrolled: 3-line block ×6, first 2 shown]
	v_mov_b32_e32 v12, 0xc7b662cc
	v_mov_b32_e32 v13, 0x43b7be34
	s_mov_b32 s10, 0x80462bbb
	v_fmac_f64_e32 v[12:13], v[6:7], v[10:11]
	v_mov_b32_e32 v10, 0x69ff5fb4
	v_mov_b32_e32 v11, 0x43413ef8
	s_mov_b32 s11, 0xc01721fb
	v_fmac_f64_e32 v[10:11], v[6:7], v[4:5]
	v_add_f64 v[4:5], v[6:7], s[10:11]
	s_mov_b32 s10, 0xa621dd6f
	s_mov_b32 s11, 0xc03e78a4
	v_add_f64 v[14:15], v[6:7], s[10:11]
	v_mul_f64 v[4:5], v[4:5], v[14:15]
	v_mul_f64 v[4:5], v[4:5], v[10:11]
	v_div_scale_f64 v[10:11], s[10:11], v[12:13], v[12:13], v[4:5]
	v_rcp_f64_e32 v[14:15], v[10:11]
	s_nop 0
	v_fma_f64 v[16:17], -v[10:11], v[14:15], 1.0
	v_fmac_f64_e32 v[14:15], v[14:15], v[16:17]
	v_fma_f64 v[16:17], -v[10:11], v[14:15], 1.0
	v_fmac_f64_e32 v[14:15], v[14:15], v[16:17]
	v_div_scale_f64 v[16:17], vcc, v[4:5], v[12:13], v[4:5]
	v_mul_f64 v[18:19], v[16:17], v[14:15]
	v_fma_f64 v[10:11], -v[10:11], v[18:19], v[16:17]
	s_nop 1
	v_div_fmas_f64 v[10:11], v[10:11], v[14:15], v[18:19]
	v_div_fixup_f64 v[4:5], v[10:11], v[12:13], v[4:5]
.LBB8_237:
	s_andn2_saveexec_b64 s[8:9], s[8:9]
; %bb.238:
	s_mov_b32 s10, 0
	s_mov_b32 s11, 0xbfd00000
	v_fma_f64 v[4:5], v[6:7], s[10:11], 1.0
; %bb.239:
	s_or_b64 exec, exec, s[8:9]
	s_mov_b32 s8, 0xe896898f
	s_mov_b32 s9, 0x40ce7437
	v_add_f64 v[10:11], v[8:9], s[8:9]
	v_mov_b32_e32 v12, 0x32e48896
	v_mov_b32_e32 v13, 0xc16bf81f
	v_fmac_f64_e32 v[12:13], v[6:7], v[10:11]
	v_mov_b32_e32 v10, 0xf0284cdd
	v_mov_b32_e32 v11, 0x41f43f78
	v_fmac_f64_e32 v[10:11], v[6:7], v[12:13]
	;; [unrolled: 3-line block ×4, first 2 shown]
	v_mov_b32_e32 v12, 0xd1d8cc02
	v_mov_b32_e32 v13, 0xc328a121
	s_mov_b32 s8, 0x576dfcb6
	v_fmac_f64_e32 v[12:13], v[6:7], v[10:11]
	v_mov_b32_e32 v10, 0x660b4003
	v_mov_b32_e32 v11, 0x4363a94b
	s_mov_b32 s9, 0x40904522
	v_fmac_f64_e32 v[10:11], v[6:7], v[12:13]
	v_add_f64 v[8:9], v[8:9], s[8:9]
	v_mov_b32_e32 v12, 0xa907bc0c
	v_mov_b32_e32 v13, 0x41231b76
	v_fmac_f64_e32 v[12:13], v[6:7], v[8:9]
	v_mov_b32_e32 v8, 0x5164d101
	v_mov_b32_e32 v9, 0x41b00763
	v_fmac_f64_e32 v[8:9], v[6:7], v[12:13]
	;; [unrolled: 3-line block ×7, first 2 shown]
	v_div_scale_f64 v[6:7], s[8:9], v[8:9], v[8:9], v[12:13]
	v_rcp_f64_e32 v[10:11], v[6:7]
	s_mov_b32 s8, 0x55555555
	v_frexp_exp_i32_f64_e32 v1, v[2:3]
	v_frexp_mant_f64_e32 v[2:3], v[2:3]
	v_fma_f64 v[14:15], -v[6:7], v[10:11], 1.0
	v_fmac_f64_e32 v[10:11], v[10:11], v[14:15]
	v_fma_f64 v[14:15], -v[6:7], v[10:11], 1.0
	v_fmac_f64_e32 v[10:11], v[10:11], v[14:15]
	v_div_scale_f64 v[14:15], vcc, v[12:13], v[8:9], v[12:13]
	v_mul_f64 v[16:17], v[14:15], v[10:11]
	v_fma_f64 v[6:7], -v[6:7], v[16:17], v[14:15]
	s_mov_b32 s9, 0x3fe55555
	s_nop 0
	v_div_fmas_f64 v[6:7], v[6:7], v[10:11], v[16:17]
	v_div_fixup_f64 v[6:7], v[6:7], v[8:9], v[12:13]
	v_mov_b32_e32 v8, 0x3ff00000
	v_cmp_gt_f64_e32 vcc, s[8:9], v[2:3]
	s_mov_b32 s8, 0xbf559e2b
	s_mov_b32 s9, 0x3fc3ab76
	v_cndmask_b32_e64 v9, v8, 2.0, vcc
	v_mov_b32_e32 v8, 0
	v_mul_f64 v[2:3], v[2:3], v[8:9]
	v_add_f64 v[8:9], v[2:3], 1.0
	v_rcp_f64_e32 v[10:11], v[8:9]
	v_add_f64 v[14:15], v[8:9], -1.0
	v_add_f64 v[12:13], v[2:3], -1.0
	v_add_f64 v[2:3], v[2:3], -v[14:15]
	v_fma_f64 v[14:15], -v[8:9], v[10:11], 1.0
	v_fmac_f64_e32 v[10:11], v[14:15], v[10:11]
	v_fma_f64 v[14:15], -v[8:9], v[10:11], 1.0
	v_fmac_f64_e32 v[10:11], v[14:15], v[10:11]
	v_mul_f64 v[14:15], v[12:13], v[10:11]
	v_mul_f64 v[16:17], v[8:9], v[14:15]
	v_fma_f64 v[8:9], v[14:15], v[8:9], -v[16:17]
	v_fmac_f64_e32 v[8:9], v[14:15], v[2:3]
	v_add_f64 v[2:3], v[16:17], v[8:9]
	v_add_f64 v[18:19], v[12:13], -v[2:3]
	v_add_f64 v[16:17], v[2:3], -v[16:17]
	;; [unrolled: 1-line block ×5, first 2 shown]
	v_add_f64 v[2:3], v[8:9], v[2:3]
	v_add_f64 v[2:3], v[18:19], v[2:3]
	v_mul_f64 v[2:3], v[10:11], v[2:3]
	v_add_f64 v[8:9], v[14:15], v[2:3]
	v_add_f64 v[10:11], v[8:9], -v[14:15]
	v_add_f64 v[2:3], v[2:3], -v[10:11]
	v_mul_f64 v[10:11], v[8:9], v[8:9]
	v_mov_b32_e32 v12, 0x6b47b09a
	v_mov_b32_e32 v13, 0x3fc38538
	v_fmac_f64_e32 v[12:13], s[8:9], v[10:11]
	v_mov_b32_e32 v14, 0xd7f4df2e
	v_mov_b32_e32 v15, 0x3fc7474d
	v_fmac_f64_e32 v[14:15], v[10:11], v[12:13]
	;; [unrolled: 3-line block ×6, first 2 shown]
	v_ldexp_f64 v[12:13], v[8:9], 1
	v_mul_f64 v[8:9], v[8:9], v[10:11]
	v_mul_f64 v[8:9], v[8:9], v[14:15]
	v_add_f64 v[10:11], v[12:13], v[8:9]
	v_add_f64 v[12:13], v[10:11], -v[12:13]
	v_ldexp_f64 v[2:3], v[2:3], 1
	v_add_f64 v[8:9], v[8:9], -v[12:13]
	v_add_f64 v[2:3], v[2:3], v[8:9]
	v_add_f64 v[8:9], v[10:11], v[2:3]
	v_subbrev_co_u32_e32 v1, vcc, 0, v1, vcc
	v_add_f64 v[10:11], v[8:9], -v[10:11]
	s_mov_b32 s8, 0xfefa39ef
	v_add_f64 v[2:3], v[2:3], -v[10:11]
	v_cvt_f64_i32_e32 v[10:11], v1
	s_mov_b32 s9, 0x3fe62e42
	v_mul_f64 v[12:13], v[10:11], s[8:9]
	v_fma_f64 v[14:15], v[10:11], s[8:9], -v[12:13]
	s_mov_b32 s8, 0x3b39803f
	s_mov_b32 s9, 0x3c7abc9e
	v_fmac_f64_e32 v[14:15], s[8:9], v[10:11]
	v_add_f64 v[10:11], v[12:13], v[14:15]
	v_add_f64 v[12:13], v[10:11], -v[12:13]
	v_add_f64 v[12:13], v[14:15], -v[12:13]
	v_add_f64 v[14:15], v[10:11], v[8:9]
	v_add_f64 v[16:17], v[14:15], -v[10:11]
	v_add_f64 v[18:19], v[14:15], -v[16:17]
	;; [unrolled: 1-line block ×4, first 2 shown]
	v_add_f64 v[8:9], v[8:9], v[10:11]
	v_add_f64 v[10:11], v[12:13], v[2:3]
	v_add_f64 v[16:17], v[10:11], -v[12:13]
	v_add_f64 v[18:19], v[10:11], -v[16:17]
	v_add_f64 v[8:9], v[10:11], v[8:9]
	v_add_f64 v[12:13], v[12:13], -v[18:19]
	v_add_f64 v[2:3], v[2:3], -v[16:17]
	v_add_f64 v[10:11], v[14:15], v[8:9]
	v_add_f64 v[2:3], v[2:3], v[12:13]
	v_add_f64 v[12:13], v[10:11], -v[14:15]
	v_add_f64 v[8:9], v[8:9], -v[12:13]
	v_add_f64 v[2:3], v[2:3], v[8:9]
	s_mov_b32 s8, 0x6dc9c883
	v_add_f64 v[2:3], v[10:11], v[2:3]
	s_mov_b32 s9, 0x3fe45f30
	v_mul_f64 v[2:3], v[2:3], s[8:9]
	v_fmac_f64_e32 v[6:7], v[2:3], v[4:5]
.LBB8_240:
	s_or_b64 exec, exec, s[6:7]
.LBB8_241:
	s_or_b64 exec, exec, s[4:5]
                                        ; implicit-def: $vgpr2_vgpr3
.LBB8_242:
	s_andn2_saveexec_b64 s[4:5], s[2:3]
	s_cbranch_execz .LBB8_252
; %bb.243:
	s_mov_b32 s9, 0xbfe921fb
	s_mov_b32 s8, 0x54442d18
	;; [unrolled: 1-line block ×3, first 2 shown]
	v_add_f64 v[4:5], v[2:3], s[8:9]
	s_mov_b32 s3, 0x41d00000
	v_cmp_nlt_f64_e64 s[6:7], |v[4:5]|, s[2:3]
                                        ; implicit-def: $vgpr1
                                        ; implicit-def: $vgpr6_vgpr7
                                        ; implicit-def: $vgpr8_vgpr9
	s_and_saveexec_b64 s[2:3], s[6:7]
	s_xor_b64 s[10:11], exec, s[2:3]
	s_cbranch_execz .LBB8_245
; %bb.244:
	s_mov_b32 s2, 0
	s_mov_b32 s3, 0x7b000000
	s_movk_i32 s9, 0xff80
	v_and_b32_e32 v1, 0x7fffffff, v5
	v_ldexp_f64 v[10:11], |v[4:5]|, s9
	v_cmp_ge_f64_e64 vcc, |v[4:5]|, s[2:3]
	v_trig_preop_f64 v[6:7], |v[4:5]|, 0
	v_trig_preop_f64 v[8:9], |v[4:5]|, 1
	v_cndmask_b32_e32 v11, v1, v11, vcc
	v_cndmask_b32_e32 v10, v4, v10, vcc
	v_mul_f64 v[14:15], v[6:7], v[10:11]
	v_mul_f64 v[12:13], v[8:9], v[10:11]
	v_fma_f64 v[6:7], v[6:7], v[10:11], -v[14:15]
	v_add_f64 v[16:17], v[12:13], v[6:7]
	v_add_f64 v[18:19], v[14:15], v[16:17]
	s_mov_b32 s2, 0
	v_ldexp_f64 v[20:21], v[18:19], -2
	s_mov_b32 s3, 0x7ff00000
	v_fract_f64_e32 v[24:25], v[20:21]
	v_cmp_neq_f64_e64 vcc, |v[20:21]|, s[2:3]
	v_fma_f64 v[8:9], v[8:9], v[10:11], -v[12:13]
	v_add_f64 v[14:15], v[18:19], -v[14:15]
	v_cndmask_b32_e32 v21, 0, v25, vcc
	v_cndmask_b32_e32 v20, 0, v24, vcc
	v_add_f64 v[24:25], v[16:17], -v[12:13]
	v_add_f64 v[6:7], v[6:7], -v[24:25]
	;; [unrolled: 1-line block ×4, first 2 shown]
	v_trig_preop_f64 v[12:13], |v[4:5]|, 2
	v_add_f64 v[6:7], v[6:7], v[24:25]
	v_mul_f64 v[24:25], v[12:13], v[10:11]
	v_add_f64 v[28:29], v[24:25], v[8:9]
	v_add_f64 v[30:31], v[28:29], v[6:7]
	v_add_f64 v[18:19], v[30:31], -v[28:29]
	v_add_f64 v[6:7], v[6:7], -v[18:19]
	;; [unrolled: 1-line block ×4, first 2 shown]
	v_add_f64 v[6:7], v[6:7], v[18:19]
	v_add_f64 v[18:19], v[28:29], -v[24:25]
	v_add_f64 v[8:9], v[8:9], -v[18:19]
	;; [unrolled: 1-line block ×4, first 2 shown]
	v_add_f64 v[8:9], v[8:9], v[18:19]
	v_add_f64 v[14:15], v[16:17], -v[14:15]
	v_add_f64 v[6:7], v[8:9], v[6:7]
	v_fma_f64 v[8:9], v[12:13], v[10:11], -v[24:25]
	v_add_f64 v[16:17], v[14:15], v[30:31]
	v_add_f64 v[6:7], v[8:9], v[6:7]
	v_ldexp_f64 v[8:9], v[20:21], 2
	v_add_f64 v[10:11], v[16:17], v[8:9]
	v_mov_b32_e32 v1, 0x40100000
	v_cmp_gt_f64_e32 vcc, 0, v[10:11]
	v_mov_b32_e32 v26, 0
	v_add_f64 v[14:15], v[16:17], -v[14:15]
	v_cndmask_b32_e32 v27, 0, v1, vcc
	v_add_f64 v[8:9], v[8:9], v[26:27]
	v_add_f64 v[10:11], v[16:17], v[8:9]
	v_cvt_i32_f64_e32 v1, v[10:11]
	v_cvt_f64_i32_e32 v[10:11], v1
	v_add_f64 v[8:9], v[8:9], -v[10:11]
	v_add_f64 v[10:11], v[16:17], v[8:9]
	v_add_f64 v[14:15], v[30:31], -v[14:15]
	v_add_f64 v[8:9], v[10:11], -v[8:9]
	v_add_f64 v[6:7], v[14:15], v[6:7]
	v_add_f64 v[8:9], v[16:17], -v[8:9]
	v_add_f64 v[6:7], v[6:7], v[8:9]
	v_cmp_le_f64_e32 vcc, 0.5, v[10:11]
	v_mov_b32_e32 v8, 0x3ff00000
	s_mov_b32 s9, 0x3ff921fb
	v_cndmask_b32_e32 v27, 0, v8, vcc
	v_add_f64 v[8:9], v[10:11], -v[26:27]
	v_add_f64 v[10:11], v[8:9], v[6:7]
	v_addc_co_u32_e64 v1, s[2:3], 0, v1, vcc
	v_add_f64 v[8:9], v[10:11], -v[8:9]
	v_add_f64 v[6:7], v[6:7], -v[8:9]
	v_mul_f64 v[8:9], v[10:11], s[8:9]
	s_mov_b32 s2, 0x33145c07
	v_fma_f64 v[12:13], v[10:11], s[8:9], -v[8:9]
	s_mov_b32 s3, 0x3c91a626
	v_fmac_f64_e32 v[12:13], s[2:3], v[10:11]
	v_fmac_f64_e32 v[12:13], s[8:9], v[6:7]
	v_add_f64 v[6:7], v[8:9], v[12:13]
	v_add_f64 v[8:9], v[6:7], -v[8:9]
	v_add_f64 v[8:9], v[12:13], -v[8:9]
	s_andn2_saveexec_b64 s[2:3], s[10:11]
	s_cbranch_execz .LBB8_247
	s_branch .LBB8_246
.LBB8_245:
	s_andn2_saveexec_b64 s[2:3], s[10:11]
	s_cbranch_execz .LBB8_247
.LBB8_246:
	s_mov_b32 s8, 0x6dc9c883
	s_mov_b32 s9, 0x3fe45f30
	v_mul_f64 v[6:7], |v[4:5]|, s[8:9]
	s_mov_b32 s8, 0x54442d18
	v_rndne_f64_e32 v[10:11], v[6:7]
	s_mov_b32 s9, 0xbff921fb
	v_fma_f64 v[6:7], v[10:11], s[8:9], |v[4:5]|
	s_mov_b32 s9, 0xbc91a626
	s_mov_b32 s8, 0x33145c00
	v_mul_f64 v[12:13], v[10:11], s[8:9]
	v_add_f64 v[16:17], v[6:7], v[12:13]
	v_fma_f64 v[8:9], s[8:9], v[10:11], v[6:7]
	s_mov_b32 s9, 0x3c91a626
	v_add_f64 v[6:7], v[6:7], -v[16:17]
	v_fma_f64 v[14:15], s[8:9], v[10:11], v[12:13]
	v_add_f64 v[6:7], v[6:7], v[12:13]
	v_add_f64 v[12:13], v[16:17], -v[8:9]
	v_add_f64 v[6:7], v[12:13], v[6:7]
	s_mov_b32 s8, 0x252049c0
	v_add_f64 v[12:13], v[6:7], -v[14:15]
	s_mov_b32 s9, 0xb97b839a
	v_fmac_f64_e32 v[12:13], s[8:9], v[10:11]
	v_add_f64 v[6:7], v[8:9], v[12:13]
	v_add_f64 v[8:9], v[6:7], -v[8:9]
	v_add_f64 v[8:9], v[12:13], -v[8:9]
	v_cvt_i32_f64_e32 v1, v[10:11]
.LBB8_247:
	s_or_b64 exec, exec, s[2:3]
                                        ; implicit-def: $vgpr23
                                        ; implicit-def: $vgpr10_vgpr11
                                        ; implicit-def: $vgpr12_vgpr13
	s_and_saveexec_b64 s[2:3], s[6:7]
	s_xor_b64 s[6:7], exec, s[2:3]
	s_cbranch_execz .LBB8_249
; %bb.248:
	s_mov_b32 s2, 0
	s_mov_b32 s3, 0x7b000000
	s_movk_i32 s8, 0xff80
	v_and_b32_e32 v16, 0x7fffffff, v5
	v_ldexp_f64 v[14:15], |v[4:5]|, s8
	v_cmp_ge_f64_e64 vcc, |v[4:5]|, s[2:3]
	v_trig_preop_f64 v[10:11], |v[4:5]|, 0
	v_trig_preop_f64 v[12:13], |v[4:5]|, 1
	v_cndmask_b32_e32 v15, v16, v15, vcc
	v_cndmask_b32_e32 v14, v4, v14, vcc
	v_mul_f64 v[18:19], v[10:11], v[14:15]
	v_mul_f64 v[16:17], v[12:13], v[14:15]
	v_fma_f64 v[10:11], v[10:11], v[14:15], -v[18:19]
	v_add_f64 v[20:21], v[16:17], v[10:11]
	v_add_f64 v[24:25], v[18:19], v[20:21]
	s_mov_b32 s2, 0
	v_ldexp_f64 v[26:27], v[24:25], -2
	s_mov_b32 s3, 0x7ff00000
	v_fract_f64_e32 v[28:29], v[26:27]
	v_cmp_neq_f64_e64 vcc, |v[26:27]|, s[2:3]
	v_fma_f64 v[12:13], v[12:13], v[14:15], -v[16:17]
	v_add_f64 v[18:19], v[24:25], -v[18:19]
	v_cndmask_b32_e32 v27, 0, v29, vcc
	v_cndmask_b32_e32 v26, 0, v28, vcc
	v_add_f64 v[28:29], v[20:21], -v[16:17]
	v_add_f64 v[10:11], v[10:11], -v[28:29]
	;; [unrolled: 1-line block ×4, first 2 shown]
	v_trig_preop_f64 v[16:17], |v[4:5]|, 2
	v_add_f64 v[10:11], v[10:11], v[28:29]
	v_mul_f64 v[28:29], v[16:17], v[14:15]
	v_add_f64 v[32:33], v[28:29], v[12:13]
	v_add_f64 v[34:35], v[32:33], v[10:11]
	v_add_f64 v[24:25], v[34:35], -v[32:33]
	v_add_f64 v[10:11], v[10:11], -v[24:25]
	;; [unrolled: 1-line block ×4, first 2 shown]
	v_add_f64 v[10:11], v[10:11], v[24:25]
	v_add_f64 v[24:25], v[32:33], -v[28:29]
	v_add_f64 v[12:13], v[12:13], -v[24:25]
	;; [unrolled: 1-line block ×4, first 2 shown]
	v_add_f64 v[12:13], v[12:13], v[24:25]
	v_add_f64 v[18:19], v[20:21], -v[18:19]
	v_add_f64 v[10:11], v[12:13], v[10:11]
	v_fma_f64 v[12:13], v[16:17], v[14:15], -v[28:29]
	v_add_f64 v[20:21], v[18:19], v[34:35]
	v_add_f64 v[10:11], v[12:13], v[10:11]
	v_ldexp_f64 v[12:13], v[26:27], 2
	v_add_f64 v[14:15], v[20:21], v[12:13]
	v_mov_b32_e32 v16, 0x40100000
	v_cmp_gt_f64_e32 vcc, 0, v[14:15]
	v_mov_b32_e32 v30, 0
	v_add_f64 v[18:19], v[20:21], -v[18:19]
	v_cndmask_b32_e32 v31, 0, v16, vcc
	v_add_f64 v[12:13], v[12:13], v[30:31]
	v_add_f64 v[14:15], v[20:21], v[12:13]
	v_cvt_i32_f64_e32 v16, v[14:15]
	v_cvt_f64_i32_e32 v[14:15], v16
	v_add_f64 v[12:13], v[12:13], -v[14:15]
	v_add_f64 v[14:15], v[20:21], v[12:13]
	v_add_f64 v[18:19], v[34:35], -v[18:19]
	v_add_f64 v[12:13], v[14:15], -v[12:13]
	v_add_f64 v[10:11], v[18:19], v[10:11]
	v_add_f64 v[12:13], v[20:21], -v[12:13]
	v_add_f64 v[10:11], v[10:11], v[12:13]
	v_cmp_le_f64_e32 vcc, 0.5, v[14:15]
	v_mov_b32_e32 v12, 0x3ff00000
	s_mov_b32 s8, 0x33145c07
	v_cndmask_b32_e32 v31, 0, v12, vcc
	v_addc_co_u32_e64 v23, s[2:3], 0, v16, vcc
	v_add_f64 v[12:13], v[14:15], -v[30:31]
	v_add_f64 v[14:15], v[12:13], v[10:11]
	s_mov_b32 s2, 0x54442d18
	v_add_f64 v[12:13], v[14:15], -v[12:13]
	s_mov_b32 s3, 0x3ff921fb
	v_add_f64 v[10:11], v[10:11], -v[12:13]
	v_mul_f64 v[12:13], v[14:15], s[2:3]
	v_fma_f64 v[16:17], v[14:15], s[2:3], -v[12:13]
	s_mov_b32 s9, 0x3c91a626
	v_fmac_f64_e32 v[16:17], s[8:9], v[14:15]
	v_fmac_f64_e32 v[16:17], s[2:3], v[10:11]
	v_add_f64 v[10:11], v[12:13], v[16:17]
	v_add_f64 v[12:13], v[10:11], -v[12:13]
	v_add_f64 v[12:13], v[16:17], -v[12:13]
	s_andn2_saveexec_b64 s[2:3], s[6:7]
	s_cbranch_execnz .LBB8_250
	s_branch .LBB8_251
.LBB8_249:
	s_andn2_saveexec_b64 s[2:3], s[6:7]
	s_cbranch_execz .LBB8_251
.LBB8_250:
	s_mov_b32 s6, 0x6dc9c883
	s_mov_b32 s7, 0x3fe45f30
	v_mul_f64 v[10:11], |v[4:5]|, s[6:7]
	s_mov_b32 s6, 0x54442d18
	v_rndne_f64_e32 v[14:15], v[10:11]
	s_mov_b32 s7, 0xbff921fb
	v_fma_f64 v[10:11], v[14:15], s[6:7], |v[4:5]|
	s_mov_b32 s7, 0xbc91a626
	s_mov_b32 s6, 0x33145c00
	v_mul_f64 v[16:17], v[14:15], s[6:7]
	v_add_f64 v[20:21], v[10:11], v[16:17]
	v_fma_f64 v[12:13], s[6:7], v[14:15], v[10:11]
	s_mov_b32 s7, 0x3c91a626
	v_add_f64 v[10:11], v[10:11], -v[20:21]
	v_fma_f64 v[18:19], s[6:7], v[14:15], v[16:17]
	v_add_f64 v[10:11], v[10:11], v[16:17]
	v_add_f64 v[16:17], v[20:21], -v[12:13]
	v_add_f64 v[10:11], v[16:17], v[10:11]
	s_mov_b32 s6, 0x252049c0
	v_add_f64 v[16:17], v[10:11], -v[18:19]
	s_mov_b32 s7, 0xb97b839a
	v_fmac_f64_e32 v[16:17], s[6:7], v[14:15]
	v_add_f64 v[10:11], v[12:13], v[16:17]
	v_add_f64 v[12:13], v[10:11], -v[12:13]
	v_add_f64 v[12:13], v[16:17], -v[12:13]
	v_cvt_i32_f64_e32 v23, v[14:15]
.LBB8_251:
	s_or_b64 exec, exec, s[2:3]
	s_mov_b32 s2, 0
	v_mul_f64 v[14:15], v[2:3], v[2:3]
	s_mov_b32 s3, 0x40390000
	v_div_scale_f64 v[16:17], s[6:7], v[14:15], v[14:15], s[2:3]
	v_rcp_f64_e32 v[18:19], v[16:17]
	v_mov_b32_e32 v26, 0x55b218cd
	v_mov_b32_e32 v27, 0xc049b48c
	s_mov_b32 s6, 0x46cc5e42
	v_fma_f64 v[20:21], -v[16:17], v[18:19], 1.0
	v_fmac_f64_e32 v[18:19], v[18:19], v[20:21]
	v_fma_f64 v[20:21], -v[16:17], v[18:19], 1.0
	v_fmac_f64_e32 v[18:19], v[18:19], v[20:21]
	v_div_scale_f64 v[20:21], vcc, s[2:3], v[14:15], s[2:3]
	v_mul_f64 v[24:25], v[20:21], v[18:19]
	v_fma_f64 v[16:17], -v[16:17], v[24:25], v[20:21]
	v_mov_b32_e32 v20, 0xab5454e3
	s_nop 0
	v_div_fmas_f64 v[16:17], v[16:17], v[18:19], v[24:25]
	v_div_fixup_f64 v[16:17], v[16:17], v[14:15], s[2:3]
	v_mov_b32_e32 v14, 0x983b6b27
	v_mov_b32_e32 v15, 0x3f4a1d30
	v_fmac_f64_e32 v[14:15], 0, v[16:17]
	v_mov_b32_e32 v18, 0xb35dd1cf
	v_mov_b32_e32 v19, 0x3fb534b0
	v_fmac_f64_e32 v[18:19], v[16:17], v[14:15]
	;; [unrolled: 3-line block ×7, first 2 shown]
	v_mov_b32_e32 v21, 0x3fb5ebc5
	v_fmac_f64_e32 v[20:21], v[16:17], v[14:15]
	v_mov_b32_e32 v14, 0xc9b3069f
	v_mov_b32_e32 v15, 0x3ff40e72
	v_fmac_f64_e32 v[14:15], v[16:17], v[20:21]
	v_mov_b32_e32 v20, 0xe68162bb
	;; [unrolled: 3-line block ×10, first 2 shown]
	v_mov_b32_e32 v25, 0xc062627a
	v_fmac_f64_e32 v[24:25], v[16:17], v[14:15]
	v_fmac_f64_e32 v[26:27], v[16:17], v[24:25]
	v_mov_b32_e32 v14, 0xd1b9a1dd
	v_mov_b32_e32 v15, 0xc0183358
	v_mov_b32_e32 v24, 0x413c25ac
	v_mov_b32_e32 v25, 0x40501457
	v_fmac_f64_e32 v[14:15], v[16:17], v[26:27]
	v_fmac_f64_e32 v[24:25], 0, v[16:17]
	v_mov_b32_e32 v26, 0xb1759c7f
	v_mov_b32_e32 v27, 0x408ac370
	v_fmac_f64_e32 v[26:27], v[16:17], v[24:25]
	v_mov_b32_e32 v24, 0xbd748cb5
	v_mov_b32_e32 v25, 0x40ae54cd
	;; [unrolled: 3-line block ×5, first 2 shown]
	v_fma_f64 v[20:21], v[16:17], v[20:21], 1.0
	v_fmac_f64_e32 v[26:27], v[16:17], v[24:25]
	v_fma_f64 v[24:25], v[16:17], v[18:19], 1.0
	v_div_scale_f64 v[28:29], s[2:3], v[20:21], v[20:21], v[24:25]
	v_rcp_f64_e32 v[30:31], v[28:29]
	v_mov_b32_e32 v18, 0x6280a54
	v_mov_b32_e32 v19, 0x406e402f
	v_fmac_f64_e32 v[18:19], v[16:17], v[26:27]
	v_fma_f64 v[16:17], -v[28:29], v[30:31], 1.0
	v_fmac_f64_e32 v[30:31], v[30:31], v[16:17]
	v_fma_f64 v[16:17], -v[28:29], v[30:31], 1.0
	v_fmac_f64_e32 v[30:31], v[30:31], v[16:17]
	v_div_scale_f64 v[16:17], vcc, v[24:25], v[20:21], v[24:25]
	v_mul_f64 v[26:27], v[16:17], v[30:31]
	v_fma_f64 v[16:17], -v[28:29], v[26:27], v[16:17]
	s_mov_b32 s2, 0x9037ab78
	s_nop 0
	v_div_fmas_f64 v[16:17], v[16:17], v[30:31], v[26:27]
	v_div_fixup_f64 v[16:17], v[16:17], v[20:21], v[24:25]
	v_mul_f64 v[24:25], v[6:7], v[6:7]
	v_mul_f64 v[20:21], v[24:25], 0.5
	v_add_f64 v[26:27], -v[20:21], 1.0
	v_add_f64 v[28:29], -v[26:27], 1.0
	s_mov_b32 s3, 0x3e21eeb6
	v_add_f64 v[28:29], v[28:29], -v[20:21]
	s_mov_b32 s7, 0xbda907db
	v_mov_b64_e32 v[20:21], s[2:3]
	s_mov_b32 s8, 0xa17f65f6
	v_fma_f64 v[32:33], s[6:7], v[24:25], v[20:21]
	s_mov_b32 s9, 0xbe927e4f
	s_mov_b32 s10, 0x19f4ec90
	v_fma_f64 v[32:33], v[24:25], v[32:33], s[8:9]
	s_mov_b32 s11, 0x3efa01a0
	;; [unrolled: 3-line block ×4, first 2 shown]
	v_mul_f64 v[30:31], v[24:25], v[24:25]
	v_fma_f64 v[32:33], v[24:25], v[32:33], s[14:15]
	v_fma_f64 v[28:29], v[6:7], -v[8:9], v[28:29]
	s_mov_b32 s2, 0xb42fdfa7
	v_fmac_f64_e32 v[28:29], v[30:31], v[32:33]
	s_mov_b32 s3, 0xbe5ae600
	s_mov_b32 s16, 0xf9a43bb8
	v_add_f64 v[26:27], v[26:27], v[28:29]
	s_mov_b32 s17, 0x3de5e0b2
	v_mov_b64_e32 v[28:29], s[2:3]
	s_mov_b32 s18, 0x796cde01
	v_fma_f64 v[30:31], s[16:17], v[24:25], v[28:29]
	s_mov_b32 s19, 0x3ec71de3
	s_mov_b32 s36, 0x19e83e5c
	v_fma_f64 v[30:31], v[24:25], v[30:31], s[18:19]
	s_mov_b32 s37, 0xbf2a01a0
	;; [unrolled: 3-line block ×3, first 2 shown]
	v_fma_f64 v[30:31], v[24:25], v[30:31], s[38:39]
	v_mul_f64 v[32:33], v[6:7], -v[24:25]
	v_mul_f64 v[34:35], v[8:9], 0.5
	v_fmac_f64_e32 v[34:35], v[32:33], v[30:31]
	v_fma_f64 v[8:9], v[24:25], v[34:35], -v[8:9]
	s_mov_b32 s53, 0xbfc55555
	s_mov_b32 s52, s14
	v_fmac_f64_e32 v[8:9], s[52:53], v[32:33]
	v_add_f64 v[6:7], v[6:7], -v[8:9]
	v_and_b32_e32 v8, 1, v1
	v_lshlrev_b32_e32 v1, 30, v1
	v_cmp_eq_u32_e32 vcc, 0, v8
	v_xor_b32_e32 v1, v1, v5
	s_mov_b32 s54, 0
	v_cndmask_b32_e32 v24, v26, v6, vcc
	v_cndmask_b32_e32 v6, v27, v7, vcc
	v_and_b32_e32 v1, 0x80000000, v1
	s_mov_b32 s55, 0x40140000
	v_xor_b32_e32 v1, v6, v1
	v_div_scale_f64 v[6:7], s[2:3], v[2:3], v[2:3], s[54:55]
	v_rcp_f64_e32 v[8:9], v[6:7]
	s_movk_i32 s59, 0x1f8
	v_cmp_class_f64_e64 s[2:3], v[4:5], s59
	v_mov_b32_e32 v32, 0x7ff80000
	s_nop 0
	v_cndmask_b32_e64 v4, 0, v24, s[2:3]
	v_fma_f64 v[24:25], -v[6:7], v[8:9], 1.0
	v_fmac_f64_e32 v[8:9], v[8:9], v[24:25]
	v_fma_f64 v[24:25], -v[6:7], v[8:9], 1.0
	v_fmac_f64_e32 v[8:9], v[8:9], v[24:25]
	v_div_scale_f64 v[24:25], vcc, s[54:55], v[2:3], s[54:55]
	v_mul_f64 v[26:27], v[24:25], v[8:9]
	v_fma_f64 v[6:7], -v[6:7], v[26:27], v[24:25]
	v_div_scale_f64 v[24:25], s[60:61], v[18:19], v[18:19], v[14:15]
	v_rcp_f64_e32 v[30:31], v[24:25]
	v_div_fmas_f64 v[6:7], v[6:7], v[8:9], v[26:27]
	v_div_fixup_f64 v[6:7], v[6:7], v[2:3], s[54:55]
	v_cndmask_b32_e64 v5, v32, v1, s[2:3]
	v_fma_f64 v[8:9], -v[24:25], v[30:31], 1.0
	v_fmac_f64_e32 v[30:31], v[30:31], v[8:9]
	v_fma_f64 v[8:9], -v[24:25], v[30:31], 1.0
	v_fmac_f64_e32 v[30:31], v[30:31], v[8:9]
	v_div_scale_f64 v[8:9], vcc, v[14:15], v[18:19], v[14:15]
	v_mul_f64 v[26:27], v[8:9], v[30:31]
	v_fma_f64 v[8:9], -v[24:25], v[26:27], v[8:9]
	s_nop 1
	v_div_fmas_f64 v[8:9], v[8:9], v[30:31], v[26:27]
	v_div_fixup_f64 v[8:9], v[8:9], v[18:19], v[14:15]
	v_mul_f64 v[6:7], v[6:7], v[8:9]
	v_mul_f64 v[8:9], v[10:11], v[10:11]
	v_mul_f64 v[14:15], v[8:9], 0.5
	v_fmac_f64_e32 v[20:21], s[6:7], v[8:9]
	v_add_f64 v[18:19], -v[14:15], 1.0
	v_fma_f64 v[20:21], v[8:9], v[20:21], s[8:9]
	v_add_f64 v[24:25], -v[18:19], 1.0
	v_fma_f64 v[20:21], v[8:9], v[20:21], s[10:11]
	v_add_f64 v[14:15], v[24:25], -v[14:15]
	v_fma_f64 v[20:21], v[8:9], v[20:21], s[12:13]
	v_mul_f64 v[24:25], v[8:9], v[8:9]
	v_fma_f64 v[20:21], v[8:9], v[20:21], s[14:15]
	v_fma_f64 v[14:15], v[10:11], -v[12:13], v[14:15]
	v_fmac_f64_e32 v[14:15], v[24:25], v[20:21]
	v_fmac_f64_e32 v[28:29], s[16:17], v[8:9]
	v_add_f64 v[14:15], v[18:19], v[14:15]
	v_fma_f64 v[18:19], v[8:9], v[28:29], s[18:19]
	v_fma_f64 v[18:19], v[8:9], v[18:19], s[36:37]
	;; [unrolled: 1-line block ×3, first 2 shown]
	v_mul_f64 v[20:21], v[10:11], -v[8:9]
	v_mul_f64 v[24:25], v[12:13], 0.5
	v_fmac_f64_e32 v[24:25], v[20:21], v[18:19]
	v_fma_f64 v[8:9], v[8:9], v[24:25], -v[12:13]
	v_fmac_f64_e32 v[8:9], s[52:53], v[20:21]
	v_add_f64 v[8:9], v[10:11], -v[8:9]
	v_xor_b32_e32 v1, 0x80000000, v9
	v_and_b32_e32 v9, 1, v23
	v_cmp_eq_u32_e32 vcc, 0, v9
	v_lshlrev_b32_e32 v9, 30, v23
	v_and_b32_e32 v9, 0x80000000, v9
	v_cndmask_b32_e32 v1, v1, v15, vcc
	v_cndmask_b32_e32 v8, v8, v14, vcc
	v_xor_b32_e32 v1, v1, v9
	v_cndmask_b32_e64 v8, 0, v8, s[2:3]
	v_cndmask_b32_e64 v9, v32, v1, s[2:3]
	s_mov_b32 s2, 0
	s_brev_b32 s3, 8
	v_cmp_gt_f64_e32 vcc, s[2:3], v[2:3]
	v_mul_f64 v[6:7], v[6:7], v[8:9]
	v_fmac_f64_e32 v[6:7], v[16:17], v[4:5]
	v_cndmask_b32_e64 v1, 0, 1, vcc
	v_lshlrev_b32_e32 v1, 8, v1
	v_ldexp_f64 v[2:3], v[2:3], v1
	v_rsq_f64_e32 v[4:5], v[2:3]
	v_mov_b32_e32 v1, 0xffffff80
	v_cndmask_b32_e32 v1, 0, v1, vcc
	s_mov_b32 s2, 0x33d43651
	v_mul_f64 v[8:9], v[2:3], v[4:5]
	v_mul_f64 v[4:5], v[4:5], 0.5
	v_fma_f64 v[10:11], -v[4:5], v[8:9], 0.5
	v_fmac_f64_e32 v[8:9], v[8:9], v[10:11]
	v_fma_f64 v[12:13], -v[8:9], v[8:9], v[2:3]
	v_fmac_f64_e32 v[4:5], v[4:5], v[10:11]
	v_fmac_f64_e32 v[8:9], v[12:13], v[4:5]
	v_fma_f64 v[10:11], -v[8:9], v[8:9], v[2:3]
	v_fmac_f64_e32 v[8:9], v[10:11], v[4:5]
	v_ldexp_f64 v[4:5], v[8:9], v1
	v_mov_b32_e32 v1, 0x260
	s_mov_b32 s3, 0x3fe98845
	v_cmp_class_f64_e32 vcc, v[2:3], v1
	v_mul_f64 v[6:7], v[6:7], s[2:3]
	s_nop 0
	v_cndmask_b32_e32 v3, v5, v3, vcc
	v_cndmask_b32_e32 v2, v4, v2, vcc
	v_div_scale_f64 v[4:5], s[2:3], v[2:3], v[2:3], v[6:7]
	v_rcp_f64_e32 v[8:9], v[4:5]
	s_nop 0
	v_fma_f64 v[10:11], -v[4:5], v[8:9], 1.0
	v_fmac_f64_e32 v[8:9], v[8:9], v[10:11]
	v_fma_f64 v[10:11], -v[4:5], v[8:9], 1.0
	v_fmac_f64_e32 v[8:9], v[8:9], v[10:11]
	v_div_scale_f64 v[10:11], vcc, v[6:7], v[2:3], v[6:7]
	v_mul_f64 v[12:13], v[10:11], v[8:9]
	v_fma_f64 v[4:5], -v[4:5], v[12:13], v[10:11]
	s_nop 1
	v_div_fmas_f64 v[4:5], v[4:5], v[8:9], v[12:13]
	v_div_fixup_f64 v[6:7], v[4:5], v[2:3], v[6:7]
.LBB8_252:
	s_or_b64 exec, exec, s[4:5]
	v_add_u32_e32 v22, 0x80, v22
	global_store_dwordx2 v0, v[6:7], s[20:21]
	s_or_b64 exec, exec, s[50:51]
	v_cmp_gt_i32_e32 vcc, s57, v22
	s_and_saveexec_b64 s[50:51], vcc
	s_cbranch_execz .LBB8_222
.LBB8_253:
	s_andn2_b64 vcc, exec, s[34:35]
	s_cbranch_vccnz .LBB8_259
; %bb.254:
	s_mov_b32 s2, 0
	s_andn2_b64 vcc, exec, s[48:49]
	v_mov_b32_e32 v2, 0
	v_mov_b32_e32 v0, 0
	s_cbranch_vccnz .LBB8_265
; %bb.255:
	s_add_i32 s58, s58, 1
	s_cmp_eq_u32 s56, 2
	s_cbranch_scc1 .LBB8_260
; %bb.256:
	s_and_b32 s2, s58, 28
	s_mov_b32 s3, 0
	v_mov_b32_e32 v0, 0
	s_mov_b64 s[48:49], s[0:1]
	v_mov_b32_e32 v3, v22
	v_mov_b32_e32 v2, 0
.LBB8_257:                              ; =>This Inner Loop Header: Depth=1
	s_load_dwordx8 s[12:19], s[48:49], 0x4
	s_load_dwordx4 s[36:39], s[48:49], 0x24
	s_load_dwordx8 s[4:11], s[46:47], 0x0
	s_add_u32 s48, s48, 48
	s_addc_u32 s49, s49, 0
	s_waitcnt lgkmcnt(0)
	v_mul_hi_u32 v1, s13, v3
	v_add_u32_e32 v1, v3, v1
	v_lshrrev_b32_e32 v1, s14, v1
	v_mul_lo_u32 v4, v1, s12
	v_mul_hi_u32 v5, s16, v1
	v_sub_u32_e32 v3, v3, v4
	v_add_u32_e32 v4, v1, v5
	v_lshrrev_b32_e32 v4, s17, v4
	v_mul_lo_u32 v6, v4, s15
	v_mul_hi_u32 v7, s19, v4
	v_sub_u32_e32 v1, v1, v6
	v_add_u32_e32 v6, v4, v7
	v_mul_lo_u32 v5, v3, s5
	v_mul_lo_u32 v3, v3, s4
	;; [unrolled: 1-line block ×4, first 2 shown]
	v_lshrrev_b32_e32 v6, s36, v6
	v_add3_u32 v0, v3, v0, v1
	v_mul_hi_u32 v3, s38, v6
	v_add_u32_e32 v3, v6, v3
	v_lshrrev_b32_e32 v3, s39, v3
	s_add_i32 s3, s3, 4
	v_add3_u32 v1, v5, v2, v7
	v_mul_lo_u32 v2, v6, s18
	v_mul_lo_u32 v5, v3, s37
	s_add_u32 s46, s46, 32
	v_sub_u32_e32 v2, v4, v2
	v_sub_u32_e32 v5, v6, v5
	s_addc_u32 s47, s47, 0
	v_mul_lo_u32 v4, v2, s8
	v_mul_lo_u32 v2, v2, s9
	;; [unrolled: 1-line block ×4, first 2 shown]
	s_cmp_eq_u32 s2, s3
	v_add3_u32 v2, v2, v1, v5
	v_add3_u32 v0, v4, v0, v6
	s_cbranch_scc0 .LBB8_257
; %bb.258:
	v_mov_b32_e32 v1, v2
	s_branch .LBB8_261
.LBB8_259:
                                        ; implicit-def: $vgpr2
                                        ; implicit-def: $vgpr0
	s_branch .LBB8_266
.LBB8_260:
	s_mov_b32 s3, s2
	v_mov_b64_e32 v[0:1], s[2:3]
                                        ; implicit-def: $vgpr2
	v_mov_b32_e32 v3, v22
.LBB8_261:
	s_and_b32 s6, s58, 3
	s_cmp_eq_u32 s6, 0
	s_cbranch_scc1 .LBB8_265
; %bb.262:
	s_lshl_b32 s3, s2, 3
	s_add_u32 s3, s3, s0
	s_addc_u32 s5, s1, 0
	s_add_u32 s4, s3, 0xc4
	s_addc_u32 s5, s5, 0
	s_mul_i32 s2, s2, 12
	s_add_u32 s2, s0, s2
	s_addc_u32 s3, s1, 0
.LBB8_263:                              ; =>This Inner Loop Header: Depth=1
	s_load_dwordx2 s[8:9], s[2:3], 0x4
	s_load_dword s7, s[2:3], 0xc
	s_load_dwordx2 s[10:11], s[4:5], 0x0
	v_mov_b32_e32 v2, v1
	s_add_u32 s2, s2, 12
	s_waitcnt lgkmcnt(0)
	v_mul_hi_u32 v1, s9, v3
	v_add_u32_e32 v1, v3, v1
	v_lshrrev_b32_e32 v1, s7, v1
	s_addc_u32 s3, s3, 0
	v_mul_lo_u32 v4, v1, s8
	s_add_u32 s4, s4, 8
	v_sub_u32_e32 v6, v3, v4
	v_mov_b32_e32 v3, v1
	s_addc_u32 s5, s5, 0
	s_add_i32 s6, s6, -1
	v_mad_u64_u32 v[4:5], s[8:9], v6, s11, v[2:3]
	v_mad_u64_u32 v[0:1], s[8:9], v6, s10, v[0:1]
	s_cmp_lg_u32 s6, 0
	v_mov_b32_e32 v1, v4
	s_cbranch_scc1 .LBB8_263
; %bb.264:
	v_mov_b32_e32 v2, v1
.LBB8_265:
	s_cbranch_execnz .LBB8_268
.LBB8_266:
	s_waitcnt lgkmcnt(0)
	v_mul_hi_u32 v0, s29, v22
	v_add_u32_e32 v0, v22, v0
	v_lshrrev_b32_e32 v1, s30, v0
	v_mul_lo_u32 v0, v1, s28
	v_sub_u32_e32 v0, v22, v0
	v_mul_lo_u32 v2, v0, s25
	s_andn2_b64 vcc, exec, s[44:45]
	v_mul_lo_u32 v0, v0, s24
	s_cbranch_vccnz .LBB8_268
; %bb.267:
	v_mul_hi_u32 v3, s42, v1
	v_add_u32_e32 v3, v1, v3
	v_lshrrev_b32_e32 v3, s43, v3
	v_mul_lo_u32 v3, v3, s31
	v_sub_u32_e32 v3, v1, v3
	v_mad_u64_u32 v[0:1], s[2:3], v3, s26, v[0:1]
	v_mad_u64_u32 v[2:3], s[2:3], v3, s27, v[2:3]
.LBB8_268:
	s_waitcnt lgkmcnt(0)
	global_load_dwordx2 v[2:3], v2, s[22:23]
	s_mov_b32 s2, 0
	s_mov_b32 s3, 0x40140000
                                        ; implicit-def: $vgpr6_vgpr7
	s_waitcnt vmcnt(0)
	v_cmp_ge_f64_e32 vcc, s[2:3], v[2:3]
	s_and_saveexec_b64 s[2:3], vcc
	s_xor_b64 s[2:3], exec, s[2:3]
	s_cbranch_execz .LBB8_278
; %bb.269:
	v_mov_b32_e32 v6, 0
	v_cmp_neq_f64_e32 vcc, 0, v[2:3]
	v_mov_b32_e32 v7, 0xfff00000
	s_and_saveexec_b64 s[4:5], vcc
	s_cbranch_execz .LBB8_277
; %bb.270:
	v_mov_b32_e32 v6, 0
	v_cmp_ngt_f64_e32 vcc, 0, v[2:3]
	v_mov_b32_e32 v7, 0x7ff80000
	s_and_saveexec_b64 s[6:7], vcc
	s_cbranch_execz .LBB8_276
; %bb.271:
	s_mov_b32 s8, 0x88e368f1
	v_mul_f64 v[6:7], v[2:3], v[2:3]
	s_mov_b32 s9, 0x3ee4f8b5
	v_mul_f64 v[8:9], v[6:7], 0
	v_cmp_ngt_f64_e32 vcc, s[8:9], v[2:3]
                                        ; implicit-def: $vgpr4_vgpr5
	s_and_saveexec_b64 s[8:9], vcc
	s_xor_b64 s[8:9], exec, s[8:9]
	s_cbranch_execz .LBB8_273
; %bb.272:
	s_mov_b32 s10, 0xad1c8325
	s_mov_b32 s11, 0xc1f1dc53
	v_add_f64 v[4:5], v[8:9], s[10:11]
	v_mov_b32_e32 v10, 0xc772990d
	v_mov_b32_e32 v11, 0x427c7751
	s_mov_b32 s10, 0xa696b78c
	v_fmac_f64_e32 v[10:11], v[6:7], v[4:5]
	v_mov_b32_e32 v4, 0xe0d900f7
	v_mov_b32_e32 v5, 0xc2ec5614
	s_mov_b32 s11, 0x407f3902
	v_fmac_f64_e32 v[4:5], v[6:7], v[10:11]
	v_add_f64 v[10:11], v[8:9], s[10:11]
	v_mov_b32_e32 v12, 0x36a21a67
	v_mov_b32_e32 v13, 0x410536cb
	v_fmac_f64_e32 v[12:13], v[6:7], v[10:11]
	v_mov_b32_e32 v10, 0x2eac0634
	v_mov_b32_e32 v11, 0x41871934
	v_fmac_f64_e32 v[10:11], v[6:7], v[12:13]
	;; [unrolled: 3-line block ×6, first 2 shown]
	v_mov_b32_e32 v12, 0xc7b662cc
	v_mov_b32_e32 v13, 0x43b7be34
	s_mov_b32 s10, 0x80462bbb
	v_fmac_f64_e32 v[12:13], v[6:7], v[10:11]
	v_mov_b32_e32 v10, 0x69ff5fb4
	v_mov_b32_e32 v11, 0x43413ef8
	s_mov_b32 s11, 0xc01721fb
	v_fmac_f64_e32 v[10:11], v[6:7], v[4:5]
	v_add_f64 v[4:5], v[6:7], s[10:11]
	s_mov_b32 s10, 0xa621dd6f
	s_mov_b32 s11, 0xc03e78a4
	v_add_f64 v[14:15], v[6:7], s[10:11]
	v_mul_f64 v[4:5], v[4:5], v[14:15]
	v_mul_f64 v[4:5], v[4:5], v[10:11]
	v_div_scale_f64 v[10:11], s[10:11], v[12:13], v[12:13], v[4:5]
	v_rcp_f64_e32 v[14:15], v[10:11]
	s_nop 0
	v_fma_f64 v[16:17], -v[10:11], v[14:15], 1.0
	v_fmac_f64_e32 v[14:15], v[14:15], v[16:17]
	v_fma_f64 v[16:17], -v[10:11], v[14:15], 1.0
	v_fmac_f64_e32 v[14:15], v[14:15], v[16:17]
	v_div_scale_f64 v[16:17], vcc, v[4:5], v[12:13], v[4:5]
	v_mul_f64 v[18:19], v[16:17], v[14:15]
	v_fma_f64 v[10:11], -v[10:11], v[18:19], v[16:17]
	s_nop 1
	v_div_fmas_f64 v[10:11], v[10:11], v[14:15], v[18:19]
	v_div_fixup_f64 v[4:5], v[10:11], v[12:13], v[4:5]
.LBB8_273:
	s_andn2_saveexec_b64 s[8:9], s[8:9]
; %bb.274:
	s_mov_b32 s10, 0
	s_mov_b32 s11, 0xbfd00000
	v_fma_f64 v[4:5], v[6:7], s[10:11], 1.0
; %bb.275:
	s_or_b64 exec, exec, s[8:9]
	s_mov_b32 s8, 0xe896898f
	s_mov_b32 s9, 0x40ce7437
	v_add_f64 v[10:11], v[8:9], s[8:9]
	v_mov_b32_e32 v12, 0x32e48896
	v_mov_b32_e32 v13, 0xc16bf81f
	v_fmac_f64_e32 v[12:13], v[6:7], v[10:11]
	v_mov_b32_e32 v10, 0xf0284cdd
	v_mov_b32_e32 v11, 0x41f43f78
	v_fmac_f64_e32 v[10:11], v[6:7], v[12:13]
	;; [unrolled: 3-line block ×4, first 2 shown]
	v_mov_b32_e32 v12, 0xd1d8cc02
	v_mov_b32_e32 v13, 0xc328a121
	s_mov_b32 s8, 0x576dfcb6
	v_fmac_f64_e32 v[12:13], v[6:7], v[10:11]
	v_mov_b32_e32 v10, 0x660b4003
	v_mov_b32_e32 v11, 0x4363a94b
	s_mov_b32 s9, 0x40904522
	v_fmac_f64_e32 v[10:11], v[6:7], v[12:13]
	v_add_f64 v[8:9], v[8:9], s[8:9]
	v_mov_b32_e32 v12, 0xa907bc0c
	v_mov_b32_e32 v13, 0x41231b76
	v_fmac_f64_e32 v[12:13], v[6:7], v[8:9]
	v_mov_b32_e32 v8, 0x5164d101
	v_mov_b32_e32 v9, 0x41b00763
	v_fmac_f64_e32 v[8:9], v[6:7], v[12:13]
	;; [unrolled: 3-line block ×7, first 2 shown]
	v_div_scale_f64 v[6:7], s[8:9], v[8:9], v[8:9], v[12:13]
	v_rcp_f64_e32 v[10:11], v[6:7]
	s_mov_b32 s8, 0x55555555
	v_frexp_exp_i32_f64_e32 v1, v[2:3]
	v_frexp_mant_f64_e32 v[2:3], v[2:3]
	v_fma_f64 v[14:15], -v[6:7], v[10:11], 1.0
	v_fmac_f64_e32 v[10:11], v[10:11], v[14:15]
	v_fma_f64 v[14:15], -v[6:7], v[10:11], 1.0
	v_fmac_f64_e32 v[10:11], v[10:11], v[14:15]
	v_div_scale_f64 v[14:15], vcc, v[12:13], v[8:9], v[12:13]
	v_mul_f64 v[16:17], v[14:15], v[10:11]
	v_fma_f64 v[6:7], -v[6:7], v[16:17], v[14:15]
	s_mov_b32 s9, 0x3fe55555
	s_nop 0
	v_div_fmas_f64 v[6:7], v[6:7], v[10:11], v[16:17]
	v_div_fixup_f64 v[6:7], v[6:7], v[8:9], v[12:13]
	v_mov_b32_e32 v8, 0x3ff00000
	v_cmp_gt_f64_e32 vcc, s[8:9], v[2:3]
	s_mov_b32 s8, 0xbf559e2b
	s_mov_b32 s9, 0x3fc3ab76
	v_cndmask_b32_e64 v9, v8, 2.0, vcc
	v_mov_b32_e32 v8, 0
	v_mul_f64 v[2:3], v[2:3], v[8:9]
	v_add_f64 v[8:9], v[2:3], 1.0
	v_rcp_f64_e32 v[10:11], v[8:9]
	v_add_f64 v[14:15], v[8:9], -1.0
	v_add_f64 v[12:13], v[2:3], -1.0
	v_add_f64 v[2:3], v[2:3], -v[14:15]
	v_fma_f64 v[14:15], -v[8:9], v[10:11], 1.0
	v_fmac_f64_e32 v[10:11], v[14:15], v[10:11]
	v_fma_f64 v[14:15], -v[8:9], v[10:11], 1.0
	v_fmac_f64_e32 v[10:11], v[14:15], v[10:11]
	v_mul_f64 v[14:15], v[12:13], v[10:11]
	v_mul_f64 v[16:17], v[8:9], v[14:15]
	v_fma_f64 v[8:9], v[14:15], v[8:9], -v[16:17]
	v_fmac_f64_e32 v[8:9], v[14:15], v[2:3]
	v_add_f64 v[2:3], v[16:17], v[8:9]
	v_add_f64 v[18:19], v[12:13], -v[2:3]
	v_add_f64 v[16:17], v[2:3], -v[16:17]
	;; [unrolled: 1-line block ×5, first 2 shown]
	v_add_f64 v[2:3], v[8:9], v[2:3]
	v_add_f64 v[2:3], v[18:19], v[2:3]
	v_mul_f64 v[2:3], v[10:11], v[2:3]
	v_add_f64 v[8:9], v[14:15], v[2:3]
	v_add_f64 v[10:11], v[8:9], -v[14:15]
	v_add_f64 v[2:3], v[2:3], -v[10:11]
	v_mul_f64 v[10:11], v[8:9], v[8:9]
	v_mov_b32_e32 v12, 0x6b47b09a
	v_mov_b32_e32 v13, 0x3fc38538
	v_fmac_f64_e32 v[12:13], s[8:9], v[10:11]
	v_mov_b32_e32 v14, 0xd7f4df2e
	v_mov_b32_e32 v15, 0x3fc7474d
	v_fmac_f64_e32 v[14:15], v[10:11], v[12:13]
	;; [unrolled: 3-line block ×6, first 2 shown]
	v_ldexp_f64 v[12:13], v[8:9], 1
	v_mul_f64 v[8:9], v[8:9], v[10:11]
	v_mul_f64 v[8:9], v[8:9], v[14:15]
	v_add_f64 v[10:11], v[12:13], v[8:9]
	v_add_f64 v[12:13], v[10:11], -v[12:13]
	v_ldexp_f64 v[2:3], v[2:3], 1
	v_add_f64 v[8:9], v[8:9], -v[12:13]
	v_add_f64 v[2:3], v[2:3], v[8:9]
	v_add_f64 v[8:9], v[10:11], v[2:3]
	v_subbrev_co_u32_e32 v1, vcc, 0, v1, vcc
	v_add_f64 v[10:11], v[8:9], -v[10:11]
	s_mov_b32 s8, 0xfefa39ef
	v_add_f64 v[2:3], v[2:3], -v[10:11]
	v_cvt_f64_i32_e32 v[10:11], v1
	s_mov_b32 s9, 0x3fe62e42
	v_mul_f64 v[12:13], v[10:11], s[8:9]
	v_fma_f64 v[14:15], v[10:11], s[8:9], -v[12:13]
	s_mov_b32 s8, 0x3b39803f
	s_mov_b32 s9, 0x3c7abc9e
	v_fmac_f64_e32 v[14:15], s[8:9], v[10:11]
	v_add_f64 v[10:11], v[12:13], v[14:15]
	v_add_f64 v[12:13], v[10:11], -v[12:13]
	v_add_f64 v[12:13], v[14:15], -v[12:13]
	v_add_f64 v[14:15], v[10:11], v[8:9]
	v_add_f64 v[16:17], v[14:15], -v[10:11]
	v_add_f64 v[18:19], v[14:15], -v[16:17]
	;; [unrolled: 1-line block ×4, first 2 shown]
	v_add_f64 v[8:9], v[8:9], v[10:11]
	v_add_f64 v[10:11], v[12:13], v[2:3]
	v_add_f64 v[16:17], v[10:11], -v[12:13]
	v_add_f64 v[18:19], v[10:11], -v[16:17]
	v_add_f64 v[8:9], v[10:11], v[8:9]
	v_add_f64 v[12:13], v[12:13], -v[18:19]
	v_add_f64 v[2:3], v[2:3], -v[16:17]
	v_add_f64 v[10:11], v[14:15], v[8:9]
	v_add_f64 v[2:3], v[2:3], v[12:13]
	v_add_f64 v[12:13], v[10:11], -v[14:15]
	v_add_f64 v[8:9], v[8:9], -v[12:13]
	v_add_f64 v[2:3], v[2:3], v[8:9]
	s_mov_b32 s8, 0x6dc9c883
	v_add_f64 v[2:3], v[10:11], v[2:3]
	s_mov_b32 s9, 0x3fe45f30
	v_mul_f64 v[2:3], v[2:3], s[8:9]
	v_fmac_f64_e32 v[6:7], v[2:3], v[4:5]
.LBB8_276:
	s_or_b64 exec, exec, s[6:7]
.LBB8_277:
	s_or_b64 exec, exec, s[4:5]
                                        ; implicit-def: $vgpr2_vgpr3
.LBB8_278:
	s_andn2_saveexec_b64 s[4:5], s[2:3]
	s_cbranch_execz .LBB8_288
; %bb.279:
	s_mov_b32 s9, 0xbfe921fb
	s_mov_b32 s8, 0x54442d18
	;; [unrolled: 1-line block ×3, first 2 shown]
	v_add_f64 v[4:5], v[2:3], s[8:9]
	s_mov_b32 s3, 0x41d00000
	v_cmp_nlt_f64_e64 s[6:7], |v[4:5]|, s[2:3]
                                        ; implicit-def: $vgpr1
                                        ; implicit-def: $vgpr6_vgpr7
                                        ; implicit-def: $vgpr8_vgpr9
	s_and_saveexec_b64 s[2:3], s[6:7]
	s_xor_b64 s[10:11], exec, s[2:3]
	s_cbranch_execz .LBB8_281
; %bb.280:
	s_mov_b32 s2, 0
	s_mov_b32 s3, 0x7b000000
	s_movk_i32 s9, 0xff80
	v_and_b32_e32 v1, 0x7fffffff, v5
	v_ldexp_f64 v[10:11], |v[4:5]|, s9
	v_cmp_ge_f64_e64 vcc, |v[4:5]|, s[2:3]
	v_trig_preop_f64 v[6:7], |v[4:5]|, 0
	v_trig_preop_f64 v[8:9], |v[4:5]|, 1
	v_cndmask_b32_e32 v11, v1, v11, vcc
	v_cndmask_b32_e32 v10, v4, v10, vcc
	v_mul_f64 v[14:15], v[6:7], v[10:11]
	v_mul_f64 v[12:13], v[8:9], v[10:11]
	v_fma_f64 v[6:7], v[6:7], v[10:11], -v[14:15]
	v_add_f64 v[16:17], v[12:13], v[6:7]
	v_add_f64 v[18:19], v[14:15], v[16:17]
	s_mov_b32 s2, 0
	v_ldexp_f64 v[20:21], v[18:19], -2
	s_mov_b32 s3, 0x7ff00000
	v_fract_f64_e32 v[22:23], v[20:21]
	v_cmp_neq_f64_e64 vcc, |v[20:21]|, s[2:3]
	v_fma_f64 v[8:9], v[8:9], v[10:11], -v[12:13]
	v_add_f64 v[14:15], v[18:19], -v[14:15]
	v_cndmask_b32_e32 v21, 0, v23, vcc
	v_cndmask_b32_e32 v20, 0, v22, vcc
	v_add_f64 v[22:23], v[16:17], -v[12:13]
	v_add_f64 v[6:7], v[6:7], -v[22:23]
	v_add_f64 v[22:23], v[16:17], -v[22:23]
	v_add_f64 v[22:23], v[12:13], -v[22:23]
	v_trig_preop_f64 v[12:13], |v[4:5]|, 2
	v_add_f64 v[6:7], v[6:7], v[22:23]
	v_mul_f64 v[22:23], v[12:13], v[10:11]
	v_add_f64 v[26:27], v[22:23], v[8:9]
	v_add_f64 v[28:29], v[26:27], v[6:7]
	v_add_f64 v[18:19], v[28:29], -v[26:27]
	v_add_f64 v[6:7], v[6:7], -v[18:19]
	v_add_f64 v[18:19], v[28:29], -v[18:19]
	v_add_f64 v[18:19], v[26:27], -v[18:19]
	v_add_f64 v[6:7], v[6:7], v[18:19]
	v_add_f64 v[18:19], v[26:27], -v[22:23]
	v_add_f64 v[8:9], v[8:9], -v[18:19]
	;; [unrolled: 1-line block ×4, first 2 shown]
	v_add_f64 v[8:9], v[8:9], v[18:19]
	v_add_f64 v[14:15], v[16:17], -v[14:15]
	v_add_f64 v[6:7], v[8:9], v[6:7]
	v_fma_f64 v[8:9], v[12:13], v[10:11], -v[22:23]
	v_add_f64 v[16:17], v[14:15], v[28:29]
	v_add_f64 v[6:7], v[8:9], v[6:7]
	v_ldexp_f64 v[8:9], v[20:21], 2
	v_add_f64 v[10:11], v[16:17], v[8:9]
	v_mov_b32_e32 v1, 0x40100000
	v_cmp_gt_f64_e32 vcc, 0, v[10:11]
	v_mov_b32_e32 v24, 0
	v_add_f64 v[14:15], v[16:17], -v[14:15]
	v_cndmask_b32_e32 v25, 0, v1, vcc
	v_add_f64 v[8:9], v[8:9], v[24:25]
	v_add_f64 v[10:11], v[16:17], v[8:9]
	v_cvt_i32_f64_e32 v1, v[10:11]
	v_cvt_f64_i32_e32 v[10:11], v1
	v_add_f64 v[8:9], v[8:9], -v[10:11]
	v_add_f64 v[10:11], v[16:17], v[8:9]
	v_add_f64 v[14:15], v[28:29], -v[14:15]
	v_add_f64 v[8:9], v[10:11], -v[8:9]
	v_add_f64 v[6:7], v[14:15], v[6:7]
	v_add_f64 v[8:9], v[16:17], -v[8:9]
	v_add_f64 v[6:7], v[6:7], v[8:9]
	v_cmp_le_f64_e32 vcc, 0.5, v[10:11]
	v_mov_b32_e32 v8, 0x3ff00000
	s_mov_b32 s9, 0x3ff921fb
	v_cndmask_b32_e32 v25, 0, v8, vcc
	v_add_f64 v[8:9], v[10:11], -v[24:25]
	v_add_f64 v[10:11], v[8:9], v[6:7]
	v_addc_co_u32_e64 v1, s[2:3], 0, v1, vcc
	v_add_f64 v[8:9], v[10:11], -v[8:9]
	v_add_f64 v[6:7], v[6:7], -v[8:9]
	v_mul_f64 v[8:9], v[10:11], s[8:9]
	s_mov_b32 s2, 0x33145c07
	v_fma_f64 v[12:13], v[10:11], s[8:9], -v[8:9]
	s_mov_b32 s3, 0x3c91a626
	v_fmac_f64_e32 v[12:13], s[2:3], v[10:11]
	v_fmac_f64_e32 v[12:13], s[8:9], v[6:7]
	v_add_f64 v[6:7], v[8:9], v[12:13]
	v_add_f64 v[8:9], v[6:7], -v[8:9]
	v_add_f64 v[8:9], v[12:13], -v[8:9]
	s_andn2_saveexec_b64 s[2:3], s[10:11]
	s_cbranch_execz .LBB8_283
	s_branch .LBB8_282
.LBB8_281:
	s_andn2_saveexec_b64 s[2:3], s[10:11]
	s_cbranch_execz .LBB8_283
.LBB8_282:
	s_mov_b32 s8, 0x6dc9c883
	s_mov_b32 s9, 0x3fe45f30
	v_mul_f64 v[6:7], |v[4:5]|, s[8:9]
	s_mov_b32 s8, 0x54442d18
	v_rndne_f64_e32 v[10:11], v[6:7]
	s_mov_b32 s9, 0xbff921fb
	v_fma_f64 v[6:7], v[10:11], s[8:9], |v[4:5]|
	s_mov_b32 s9, 0xbc91a626
	s_mov_b32 s8, 0x33145c00
	v_mul_f64 v[12:13], v[10:11], s[8:9]
	v_add_f64 v[16:17], v[6:7], v[12:13]
	v_fma_f64 v[8:9], s[8:9], v[10:11], v[6:7]
	s_mov_b32 s9, 0x3c91a626
	v_add_f64 v[6:7], v[6:7], -v[16:17]
	v_fma_f64 v[14:15], s[8:9], v[10:11], v[12:13]
	v_add_f64 v[6:7], v[6:7], v[12:13]
	v_add_f64 v[12:13], v[16:17], -v[8:9]
	v_add_f64 v[6:7], v[12:13], v[6:7]
	s_mov_b32 s8, 0x252049c0
	v_add_f64 v[12:13], v[6:7], -v[14:15]
	s_mov_b32 s9, 0xb97b839a
	v_fmac_f64_e32 v[12:13], s[8:9], v[10:11]
	v_add_f64 v[6:7], v[8:9], v[12:13]
	v_add_f64 v[8:9], v[6:7], -v[8:9]
	v_add_f64 v[8:9], v[12:13], -v[8:9]
	v_cvt_i32_f64_e32 v1, v[10:11]
.LBB8_283:
	s_or_b64 exec, exec, s[2:3]
                                        ; implicit-def: $vgpr22
                                        ; implicit-def: $vgpr10_vgpr11
                                        ; implicit-def: $vgpr12_vgpr13
	s_and_saveexec_b64 s[2:3], s[6:7]
	s_xor_b64 s[6:7], exec, s[2:3]
	s_cbranch_execz .LBB8_285
; %bb.284:
	s_mov_b32 s2, 0
	s_mov_b32 s3, 0x7b000000
	s_movk_i32 s8, 0xff80
	v_and_b32_e32 v16, 0x7fffffff, v5
	v_ldexp_f64 v[14:15], |v[4:5]|, s8
	v_cmp_ge_f64_e64 vcc, |v[4:5]|, s[2:3]
	v_trig_preop_f64 v[10:11], |v[4:5]|, 0
	v_trig_preop_f64 v[12:13], |v[4:5]|, 1
	v_cndmask_b32_e32 v15, v16, v15, vcc
	v_cndmask_b32_e32 v14, v4, v14, vcc
	v_mul_f64 v[18:19], v[10:11], v[14:15]
	v_mul_f64 v[16:17], v[12:13], v[14:15]
	v_fma_f64 v[10:11], v[10:11], v[14:15], -v[18:19]
	v_add_f64 v[20:21], v[16:17], v[10:11]
	v_add_f64 v[22:23], v[18:19], v[20:21]
	s_mov_b32 s2, 0
	v_ldexp_f64 v[24:25], v[22:23], -2
	s_mov_b32 s3, 0x7ff00000
	v_fract_f64_e32 v[26:27], v[24:25]
	v_cmp_neq_f64_e64 vcc, |v[24:25]|, s[2:3]
	v_fma_f64 v[12:13], v[12:13], v[14:15], -v[16:17]
	v_add_f64 v[18:19], v[22:23], -v[18:19]
	v_cndmask_b32_e32 v25, 0, v27, vcc
	v_cndmask_b32_e32 v24, 0, v26, vcc
	v_add_f64 v[26:27], v[20:21], -v[16:17]
	v_add_f64 v[10:11], v[10:11], -v[26:27]
	;; [unrolled: 1-line block ×4, first 2 shown]
	v_trig_preop_f64 v[16:17], |v[4:5]|, 2
	v_add_f64 v[10:11], v[10:11], v[26:27]
	v_mul_f64 v[26:27], v[16:17], v[14:15]
	v_add_f64 v[30:31], v[26:27], v[12:13]
	v_add_f64 v[32:33], v[30:31], v[10:11]
	v_add_f64 v[22:23], v[32:33], -v[30:31]
	v_add_f64 v[10:11], v[10:11], -v[22:23]
	;; [unrolled: 1-line block ×4, first 2 shown]
	v_add_f64 v[10:11], v[10:11], v[22:23]
	v_add_f64 v[22:23], v[30:31], -v[26:27]
	v_add_f64 v[12:13], v[12:13], -v[22:23]
	;; [unrolled: 1-line block ×4, first 2 shown]
	v_add_f64 v[12:13], v[12:13], v[22:23]
	v_add_f64 v[18:19], v[20:21], -v[18:19]
	v_add_f64 v[10:11], v[12:13], v[10:11]
	v_fma_f64 v[12:13], v[16:17], v[14:15], -v[26:27]
	v_add_f64 v[20:21], v[18:19], v[32:33]
	v_add_f64 v[10:11], v[12:13], v[10:11]
	v_ldexp_f64 v[12:13], v[24:25], 2
	v_add_f64 v[14:15], v[20:21], v[12:13]
	v_mov_b32_e32 v16, 0x40100000
	v_cmp_gt_f64_e32 vcc, 0, v[14:15]
	v_mov_b32_e32 v28, 0
	v_add_f64 v[18:19], v[20:21], -v[18:19]
	v_cndmask_b32_e32 v29, 0, v16, vcc
	v_add_f64 v[12:13], v[12:13], v[28:29]
	v_add_f64 v[14:15], v[20:21], v[12:13]
	v_cvt_i32_f64_e32 v16, v[14:15]
	v_cvt_f64_i32_e32 v[14:15], v16
	v_add_f64 v[12:13], v[12:13], -v[14:15]
	v_add_f64 v[14:15], v[20:21], v[12:13]
	v_add_f64 v[18:19], v[32:33], -v[18:19]
	v_add_f64 v[12:13], v[14:15], -v[12:13]
	v_add_f64 v[10:11], v[18:19], v[10:11]
	v_add_f64 v[12:13], v[20:21], -v[12:13]
	v_add_f64 v[10:11], v[10:11], v[12:13]
	v_cmp_le_f64_e32 vcc, 0.5, v[14:15]
	v_mov_b32_e32 v12, 0x3ff00000
	s_mov_b32 s8, 0x33145c07
	v_cndmask_b32_e32 v29, 0, v12, vcc
	v_addc_co_u32_e64 v22, s[2:3], 0, v16, vcc
	v_add_f64 v[12:13], v[14:15], -v[28:29]
	v_add_f64 v[14:15], v[12:13], v[10:11]
	s_mov_b32 s2, 0x54442d18
	v_add_f64 v[12:13], v[14:15], -v[12:13]
	s_mov_b32 s3, 0x3ff921fb
	v_add_f64 v[10:11], v[10:11], -v[12:13]
	v_mul_f64 v[12:13], v[14:15], s[2:3]
	v_fma_f64 v[16:17], v[14:15], s[2:3], -v[12:13]
	s_mov_b32 s9, 0x3c91a626
	v_fmac_f64_e32 v[16:17], s[8:9], v[14:15]
	v_fmac_f64_e32 v[16:17], s[2:3], v[10:11]
	v_add_f64 v[10:11], v[12:13], v[16:17]
	v_add_f64 v[12:13], v[10:11], -v[12:13]
	v_add_f64 v[12:13], v[16:17], -v[12:13]
	s_andn2_saveexec_b64 s[2:3], s[6:7]
	s_cbranch_execnz .LBB8_286
	s_branch .LBB8_287
.LBB8_285:
	s_andn2_saveexec_b64 s[2:3], s[6:7]
	s_cbranch_execz .LBB8_287
.LBB8_286:
	s_mov_b32 s6, 0x6dc9c883
	s_mov_b32 s7, 0x3fe45f30
	v_mul_f64 v[10:11], |v[4:5]|, s[6:7]
	s_mov_b32 s6, 0x54442d18
	v_rndne_f64_e32 v[14:15], v[10:11]
	s_mov_b32 s7, 0xbff921fb
	v_fma_f64 v[10:11], v[14:15], s[6:7], |v[4:5]|
	s_mov_b32 s7, 0xbc91a626
	s_mov_b32 s6, 0x33145c00
	v_mul_f64 v[16:17], v[14:15], s[6:7]
	v_add_f64 v[20:21], v[10:11], v[16:17]
	v_fma_f64 v[12:13], s[6:7], v[14:15], v[10:11]
	s_mov_b32 s7, 0x3c91a626
	v_add_f64 v[10:11], v[10:11], -v[20:21]
	v_fma_f64 v[18:19], s[6:7], v[14:15], v[16:17]
	v_add_f64 v[10:11], v[10:11], v[16:17]
	v_add_f64 v[16:17], v[20:21], -v[12:13]
	v_add_f64 v[10:11], v[16:17], v[10:11]
	s_mov_b32 s6, 0x252049c0
	v_add_f64 v[16:17], v[10:11], -v[18:19]
	s_mov_b32 s7, 0xb97b839a
	v_fmac_f64_e32 v[16:17], s[6:7], v[14:15]
	v_add_f64 v[10:11], v[12:13], v[16:17]
	v_add_f64 v[12:13], v[10:11], -v[12:13]
	v_add_f64 v[12:13], v[16:17], -v[12:13]
	v_cvt_i32_f64_e32 v22, v[14:15]
.LBB8_287:
	s_or_b64 exec, exec, s[2:3]
	s_mov_b32 s2, 0
	v_mul_f64 v[14:15], v[2:3], v[2:3]
	s_mov_b32 s3, 0x40390000
	v_div_scale_f64 v[16:17], s[6:7], v[14:15], v[14:15], s[2:3]
	v_rcp_f64_e32 v[18:19], v[16:17]
	v_mov_b32_e32 v26, 0x55b218cd
	v_mov_b32_e32 v27, 0xc049b48c
	s_mov_b32 s6, 0x46cc5e42
	v_fma_f64 v[20:21], -v[16:17], v[18:19], 1.0
	v_fmac_f64_e32 v[18:19], v[18:19], v[20:21]
	v_fma_f64 v[20:21], -v[16:17], v[18:19], 1.0
	v_fmac_f64_e32 v[18:19], v[18:19], v[20:21]
	v_div_scale_f64 v[20:21], vcc, s[2:3], v[14:15], s[2:3]
	v_mul_f64 v[24:25], v[20:21], v[18:19]
	v_fma_f64 v[16:17], -v[16:17], v[24:25], v[20:21]
	v_mov_b32_e32 v20, 0xab5454e3
	s_nop 0
	v_div_fmas_f64 v[16:17], v[16:17], v[18:19], v[24:25]
	v_div_fixup_f64 v[16:17], v[16:17], v[14:15], s[2:3]
	v_mov_b32_e32 v14, 0x983b6b27
	v_mov_b32_e32 v15, 0x3f4a1d30
	v_fmac_f64_e32 v[14:15], 0, v[16:17]
	v_mov_b32_e32 v18, 0xb35dd1cf
	v_mov_b32_e32 v19, 0x3fb534b0
	v_fmac_f64_e32 v[18:19], v[16:17], v[14:15]
	;; [unrolled: 3-line block ×7, first 2 shown]
	v_mov_b32_e32 v21, 0x3fb5ebc5
	v_fmac_f64_e32 v[20:21], v[16:17], v[14:15]
	v_mov_b32_e32 v14, 0xc9b3069f
	v_mov_b32_e32 v15, 0x3ff40e72
	v_fmac_f64_e32 v[14:15], v[16:17], v[20:21]
	v_mov_b32_e32 v20, 0xe68162bb
	;; [unrolled: 3-line block ×10, first 2 shown]
	v_mov_b32_e32 v25, 0xc062627a
	v_fmac_f64_e32 v[24:25], v[16:17], v[14:15]
	v_fmac_f64_e32 v[26:27], v[16:17], v[24:25]
	v_mov_b32_e32 v14, 0xd1b9a1dd
	v_mov_b32_e32 v15, 0xc0183358
	;; [unrolled: 1-line block ×4, first 2 shown]
	v_fmac_f64_e32 v[14:15], v[16:17], v[26:27]
	v_fmac_f64_e32 v[24:25], 0, v[16:17]
	v_mov_b32_e32 v26, 0xb1759c7f
	v_mov_b32_e32 v27, 0x408ac370
	v_fmac_f64_e32 v[26:27], v[16:17], v[24:25]
	v_mov_b32_e32 v24, 0xbd748cb5
	v_mov_b32_e32 v25, 0x40ae54cd
	;; [unrolled: 3-line block ×5, first 2 shown]
	v_fma_f64 v[20:21], v[16:17], v[20:21], 1.0
	v_fmac_f64_e32 v[26:27], v[16:17], v[24:25]
	v_fma_f64 v[24:25], v[16:17], v[18:19], 1.0
	v_div_scale_f64 v[28:29], s[2:3], v[20:21], v[20:21], v[24:25]
	v_rcp_f64_e32 v[30:31], v[28:29]
	v_mov_b32_e32 v18, 0x6280a54
	v_mov_b32_e32 v19, 0x406e402f
	v_fmac_f64_e32 v[18:19], v[16:17], v[26:27]
	v_fma_f64 v[16:17], -v[28:29], v[30:31], 1.0
	v_fmac_f64_e32 v[30:31], v[30:31], v[16:17]
	v_fma_f64 v[16:17], -v[28:29], v[30:31], 1.0
	v_fmac_f64_e32 v[30:31], v[30:31], v[16:17]
	v_div_scale_f64 v[16:17], vcc, v[24:25], v[20:21], v[24:25]
	v_mul_f64 v[26:27], v[16:17], v[30:31]
	v_fma_f64 v[16:17], -v[28:29], v[26:27], v[16:17]
	s_mov_b32 s2, 0x9037ab78
	s_nop 0
	v_div_fmas_f64 v[16:17], v[16:17], v[30:31], v[26:27]
	v_div_fixup_f64 v[16:17], v[16:17], v[20:21], v[24:25]
	v_mul_f64 v[24:25], v[6:7], v[6:7]
	v_mul_f64 v[20:21], v[24:25], 0.5
	v_add_f64 v[26:27], -v[20:21], 1.0
	v_add_f64 v[28:29], -v[26:27], 1.0
	s_mov_b32 s3, 0x3e21eeb6
	v_add_f64 v[28:29], v[28:29], -v[20:21]
	s_mov_b32 s7, 0xbda907db
	v_mov_b64_e32 v[20:21], s[2:3]
	s_mov_b32 s8, 0xa17f65f6
	v_fma_f64 v[32:33], s[6:7], v[24:25], v[20:21]
	s_mov_b32 s9, 0xbe927e4f
	s_mov_b32 s10, 0x19f4ec90
	v_fma_f64 v[32:33], v[24:25], v[32:33], s[8:9]
	s_mov_b32 s11, 0x3efa01a0
	;; [unrolled: 3-line block ×4, first 2 shown]
	v_mul_f64 v[30:31], v[24:25], v[24:25]
	v_fma_f64 v[32:33], v[24:25], v[32:33], s[14:15]
	v_fma_f64 v[28:29], v[6:7], -v[8:9], v[28:29]
	s_mov_b32 s2, 0xb42fdfa7
	v_fmac_f64_e32 v[28:29], v[30:31], v[32:33]
	s_mov_b32 s3, 0xbe5ae600
	s_mov_b32 s16, 0xf9a43bb8
	v_add_f64 v[26:27], v[26:27], v[28:29]
	s_mov_b32 s17, 0x3de5e0b2
	v_mov_b64_e32 v[28:29], s[2:3]
	s_mov_b32 s18, 0x796cde01
	v_fma_f64 v[30:31], s[16:17], v[24:25], v[28:29]
	s_mov_b32 s19, 0x3ec71de3
	s_mov_b32 s22, 0x19e83e5c
	v_fma_f64 v[30:31], v[24:25], v[30:31], s[18:19]
	s_mov_b32 s23, 0xbf2a01a0
	;; [unrolled: 3-line block ×3, first 2 shown]
	v_fma_f64 v[30:31], v[24:25], v[30:31], s[24:25]
	v_mul_f64 v[32:33], v[6:7], -v[24:25]
	v_mul_f64 v[34:35], v[8:9], 0.5
	v_fmac_f64_e32 v[34:35], v[32:33], v[30:31]
	v_fma_f64 v[8:9], v[24:25], v[34:35], -v[8:9]
	s_mov_b32 s27, 0xbfc55555
	s_mov_b32 s26, s14
	v_fmac_f64_e32 v[8:9], s[26:27], v[32:33]
	v_add_f64 v[6:7], v[6:7], -v[8:9]
	v_and_b32_e32 v8, 1, v1
	v_lshlrev_b32_e32 v1, 30, v1
	v_cmp_eq_u32_e32 vcc, 0, v8
	v_xor_b32_e32 v1, v1, v5
	s_mov_b32 s28, 0
	v_cndmask_b32_e32 v23, v26, v6, vcc
	v_cndmask_b32_e32 v6, v27, v7, vcc
	v_and_b32_e32 v1, 0x80000000, v1
	s_mov_b32 s29, 0x40140000
	v_xor_b32_e32 v1, v6, v1
	v_div_scale_f64 v[6:7], s[2:3], v[2:3], v[2:3], s[28:29]
	v_rcp_f64_e32 v[8:9], v[6:7]
	s_movk_i32 s30, 0x1f8
	v_cmp_class_f64_e64 s[2:3], v[4:5], s30
	v_fma_f64 v[24:25], -v[6:7], v[8:9], 1.0
	v_fmac_f64_e32 v[8:9], v[8:9], v[24:25]
	v_fma_f64 v[24:25], -v[6:7], v[8:9], 1.0
	v_fmac_f64_e32 v[8:9], v[8:9], v[24:25]
	v_div_scale_f64 v[24:25], vcc, s[28:29], v[2:3], s[28:29]
	v_mul_f64 v[26:27], v[24:25], v[8:9]
	v_fma_f64 v[6:7], -v[6:7], v[26:27], v[24:25]
	v_div_scale_f64 v[24:25], s[30:31], v[18:19], v[18:19], v[14:15]
	v_rcp_f64_e32 v[30:31], v[24:25]
	v_div_fmas_f64 v[6:7], v[6:7], v[8:9], v[26:27]
	v_div_fixup_f64 v[6:7], v[6:7], v[2:3], s[28:29]
	v_cndmask_b32_e64 v4, 0, v23, s[2:3]
	v_fma_f64 v[8:9], -v[24:25], v[30:31], 1.0
	v_fmac_f64_e32 v[30:31], v[30:31], v[8:9]
	v_fma_f64 v[8:9], -v[24:25], v[30:31], 1.0
	v_fmac_f64_e32 v[30:31], v[30:31], v[8:9]
	v_div_scale_f64 v[8:9], vcc, v[14:15], v[18:19], v[14:15]
	v_mul_f64 v[26:27], v[8:9], v[30:31]
	v_fma_f64 v[8:9], -v[24:25], v[26:27], v[8:9]
	v_mov_b32_e32 v23, 0x7ff80000
	s_nop 0
	v_div_fmas_f64 v[8:9], v[8:9], v[30:31], v[26:27]
	v_div_fixup_f64 v[8:9], v[8:9], v[18:19], v[14:15]
	v_mul_f64 v[6:7], v[6:7], v[8:9]
	v_mul_f64 v[8:9], v[10:11], v[10:11]
	v_mul_f64 v[14:15], v[8:9], 0.5
	v_fmac_f64_e32 v[20:21], s[6:7], v[8:9]
	v_add_f64 v[18:19], -v[14:15], 1.0
	v_fma_f64 v[20:21], v[8:9], v[20:21], s[8:9]
	v_add_f64 v[24:25], -v[18:19], 1.0
	v_fma_f64 v[20:21], v[8:9], v[20:21], s[10:11]
	v_add_f64 v[14:15], v[24:25], -v[14:15]
	v_fma_f64 v[20:21], v[8:9], v[20:21], s[12:13]
	v_mul_f64 v[24:25], v[8:9], v[8:9]
	v_fma_f64 v[20:21], v[8:9], v[20:21], s[14:15]
	v_fma_f64 v[14:15], v[10:11], -v[12:13], v[14:15]
	v_fmac_f64_e32 v[14:15], v[24:25], v[20:21]
	v_fmac_f64_e32 v[28:29], s[16:17], v[8:9]
	v_add_f64 v[14:15], v[18:19], v[14:15]
	v_fma_f64 v[18:19], v[8:9], v[28:29], s[18:19]
	v_fma_f64 v[18:19], v[8:9], v[18:19], s[22:23]
	v_fma_f64 v[18:19], v[8:9], v[18:19], s[24:25]
	v_mul_f64 v[20:21], v[10:11], -v[8:9]
	v_mul_f64 v[24:25], v[12:13], 0.5
	v_fmac_f64_e32 v[24:25], v[20:21], v[18:19]
	v_fma_f64 v[8:9], v[8:9], v[24:25], -v[12:13]
	v_fmac_f64_e32 v[8:9], s[26:27], v[20:21]
	v_add_f64 v[8:9], v[10:11], -v[8:9]
	v_cndmask_b32_e64 v5, v23, v1, s[2:3]
	v_xor_b32_e32 v1, 0x80000000, v9
	v_and_b32_e32 v9, 1, v22
	v_cmp_eq_u32_e32 vcc, 0, v9
	v_lshlrev_b32_e32 v9, 30, v22
	v_and_b32_e32 v9, 0x80000000, v9
	v_cndmask_b32_e32 v1, v1, v15, vcc
	v_cndmask_b32_e32 v8, v8, v14, vcc
	v_xor_b32_e32 v1, v1, v9
	v_cndmask_b32_e64 v8, 0, v8, s[2:3]
	v_cndmask_b32_e64 v9, v23, v1, s[2:3]
	s_mov_b32 s2, 0
	s_brev_b32 s3, 8
	v_cmp_gt_f64_e32 vcc, s[2:3], v[2:3]
	v_mul_f64 v[6:7], v[6:7], v[8:9]
	v_fmac_f64_e32 v[6:7], v[16:17], v[4:5]
	v_cndmask_b32_e64 v1, 0, 1, vcc
	v_lshlrev_b32_e32 v1, 8, v1
	v_ldexp_f64 v[2:3], v[2:3], v1
	v_rsq_f64_e32 v[4:5], v[2:3]
	v_mov_b32_e32 v1, 0xffffff80
	v_cndmask_b32_e32 v1, 0, v1, vcc
	s_mov_b32 s2, 0x33d43651
	v_mul_f64 v[8:9], v[2:3], v[4:5]
	v_mul_f64 v[4:5], v[4:5], 0.5
	v_fma_f64 v[10:11], -v[4:5], v[8:9], 0.5
	v_fmac_f64_e32 v[8:9], v[8:9], v[10:11]
	v_fma_f64 v[12:13], -v[8:9], v[8:9], v[2:3]
	v_fmac_f64_e32 v[4:5], v[4:5], v[10:11]
	v_fmac_f64_e32 v[8:9], v[12:13], v[4:5]
	v_fma_f64 v[10:11], -v[8:9], v[8:9], v[2:3]
	v_fmac_f64_e32 v[8:9], v[10:11], v[4:5]
	v_ldexp_f64 v[4:5], v[8:9], v1
	v_mov_b32_e32 v1, 0x260
	s_mov_b32 s3, 0x3fe98845
	v_cmp_class_f64_e32 vcc, v[2:3], v1
	v_mul_f64 v[6:7], v[6:7], s[2:3]
	s_nop 0
	v_cndmask_b32_e32 v3, v5, v3, vcc
	v_cndmask_b32_e32 v2, v4, v2, vcc
	v_div_scale_f64 v[4:5], s[2:3], v[2:3], v[2:3], v[6:7]
	v_rcp_f64_e32 v[8:9], v[4:5]
	s_nop 0
	v_fma_f64 v[10:11], -v[4:5], v[8:9], 1.0
	v_fmac_f64_e32 v[8:9], v[8:9], v[10:11]
	v_fma_f64 v[10:11], -v[4:5], v[8:9], 1.0
	v_fmac_f64_e32 v[8:9], v[8:9], v[10:11]
	v_div_scale_f64 v[10:11], vcc, v[6:7], v[2:3], v[6:7]
	v_mul_f64 v[12:13], v[10:11], v[8:9]
	v_fma_f64 v[4:5], -v[4:5], v[12:13], v[10:11]
	s_nop 1
	v_div_fmas_f64 v[4:5], v[4:5], v[8:9], v[12:13]
	v_div_fixup_f64 v[6:7], v[4:5], v[2:3], v[6:7]
.LBB8_288:
	s_or_b64 exec, exec, s[4:5]
	global_store_dwordx2 v0, v[6:7], s[20:21]
	s_or_b64 exec, exec, s[50:51]
                                        ; implicit-def: $vgpr11
                                        ; implicit-def: $vgpr22
	s_andn2_saveexec_b64 s[2:3], s[40:41]
	s_cbranch_execz .LBB8_223
	s_branch .LBB8_9
	.section	.rodata,"a",@progbits
	.p2align	6, 0x0
	.amdhsa_kernel _ZN2at6native32elementwise_kernel_manual_unrollILi128ELi4EZNS0_22gpu_kernel_impl_nocastIZZZNS0_12_GLOBAL__N_121bessel_y0_kernel_cudaERNS_18TensorIteratorBaseEENKUlvE_clEvENKUlvE_clEvEUldE_EEvS5_RKT_EUlibE_EEviT1_
		.amdhsa_group_segment_fixed_size 0
		.amdhsa_private_segment_fixed_size 0
		.amdhsa_kernarg_size 360
		.amdhsa_user_sgpr_count 2
		.amdhsa_user_sgpr_dispatch_ptr 0
		.amdhsa_user_sgpr_queue_ptr 0
		.amdhsa_user_sgpr_kernarg_segment_ptr 1
		.amdhsa_user_sgpr_dispatch_id 0
		.amdhsa_user_sgpr_kernarg_preload_length 0
		.amdhsa_user_sgpr_kernarg_preload_offset 0
		.amdhsa_user_sgpr_private_segment_size 0
		.amdhsa_uses_dynamic_stack 0
		.amdhsa_enable_private_segment 0
		.amdhsa_system_sgpr_workgroup_id_x 1
		.amdhsa_system_sgpr_workgroup_id_y 0
		.amdhsa_system_sgpr_workgroup_id_z 0
		.amdhsa_system_sgpr_workgroup_info 0
		.amdhsa_system_vgpr_workitem_id 0
		.amdhsa_next_free_vgpr 46
		.amdhsa_next_free_sgpr 62
		.amdhsa_accum_offset 48
		.amdhsa_reserve_vcc 1
		.amdhsa_float_round_mode_32 0
		.amdhsa_float_round_mode_16_64 0
		.amdhsa_float_denorm_mode_32 3
		.amdhsa_float_denorm_mode_16_64 3
		.amdhsa_dx10_clamp 1
		.amdhsa_ieee_mode 1
		.amdhsa_fp16_overflow 0
		.amdhsa_tg_split 0
		.amdhsa_exception_fp_ieee_invalid_op 0
		.amdhsa_exception_fp_denorm_src 0
		.amdhsa_exception_fp_ieee_div_zero 0
		.amdhsa_exception_fp_ieee_overflow 0
		.amdhsa_exception_fp_ieee_underflow 0
		.amdhsa_exception_fp_ieee_inexact 0
		.amdhsa_exception_int_div_zero 0
	.end_amdhsa_kernel
	.section	.text._ZN2at6native32elementwise_kernel_manual_unrollILi128ELi4EZNS0_22gpu_kernel_impl_nocastIZZZNS0_12_GLOBAL__N_121bessel_y0_kernel_cudaERNS_18TensorIteratorBaseEENKUlvE_clEvENKUlvE_clEvEUldE_EEvS5_RKT_EUlibE_EEviT1_,"axG",@progbits,_ZN2at6native32elementwise_kernel_manual_unrollILi128ELi4EZNS0_22gpu_kernel_impl_nocastIZZZNS0_12_GLOBAL__N_121bessel_y0_kernel_cudaERNS_18TensorIteratorBaseEENKUlvE_clEvENKUlvE_clEvEUldE_EEvS5_RKT_EUlibE_EEviT1_,comdat
.Lfunc_end8:
	.size	_ZN2at6native32elementwise_kernel_manual_unrollILi128ELi4EZNS0_22gpu_kernel_impl_nocastIZZZNS0_12_GLOBAL__N_121bessel_y0_kernel_cudaERNS_18TensorIteratorBaseEENKUlvE_clEvENKUlvE_clEvEUldE_EEvS5_RKT_EUlibE_EEviT1_, .Lfunc_end8-_ZN2at6native32elementwise_kernel_manual_unrollILi128ELi4EZNS0_22gpu_kernel_impl_nocastIZZZNS0_12_GLOBAL__N_121bessel_y0_kernel_cudaERNS_18TensorIteratorBaseEENKUlvE_clEvENKUlvE_clEvEUldE_EEvS5_RKT_EUlibE_EEviT1_
                                        ; -- End function
	.section	.AMDGPU.csdata,"",@progbits
; Kernel info:
; codeLenInByte = 47720
; NumSgprs: 68
; NumVgprs: 46
; NumAgprs: 0
; TotalNumVgprs: 46
; ScratchSize: 0
; MemoryBound: 0
; FloatMode: 240
; IeeeMode: 1
; LDSByteSize: 0 bytes/workgroup (compile time only)
; SGPRBlocks: 8
; VGPRBlocks: 5
; NumSGPRsForWavesPerEU: 68
; NumVGPRsForWavesPerEU: 46
; AccumOffset: 48
; Occupancy: 8
; WaveLimiterHint : 1
; COMPUTE_PGM_RSRC2:SCRATCH_EN: 0
; COMPUTE_PGM_RSRC2:USER_SGPR: 2
; COMPUTE_PGM_RSRC2:TRAP_HANDLER: 0
; COMPUTE_PGM_RSRC2:TGID_X_EN: 1
; COMPUTE_PGM_RSRC2:TGID_Y_EN: 0
; COMPUTE_PGM_RSRC2:TGID_Z_EN: 0
; COMPUTE_PGM_RSRC2:TIDIG_COMP_CNT: 0
; COMPUTE_PGM_RSRC3_GFX90A:ACCUM_OFFSET: 11
; COMPUTE_PGM_RSRC3_GFX90A:TG_SPLIT: 0
	.text
	.p2align	2                               ; -- Begin function _ZN2at6native6invokeIZZZNS0_12_GLOBAL__N_121bessel_y0_kernel_cudaERNS_18TensorIteratorBaseEENKUlvE_clEvENKUlvE_clEvEUldE_i15function_traitsIS7_EEENT1_11result_typeERKT_PrKPcPKT0_PKN3c1010ScalarTypeEi
	.type	_ZN2at6native6invokeIZZZNS0_12_GLOBAL__N_121bessel_y0_kernel_cudaERNS_18TensorIteratorBaseEENKUlvE_clEvENKUlvE_clEvEUldE_i15function_traitsIS7_EEENT1_11result_typeERKT_PrKPcPKT0_PKN3c1010ScalarTypeEi,@function
_ZN2at6native6invokeIZZZNS0_12_GLOBAL__N_121bessel_y0_kernel_cudaERNS_18TensorIteratorBaseEENKUlvE_clEvENKUlvE_clEvEUldE_i15function_traitsIS7_EEENT1_11result_typeERKT_PrKPcPKT0_PKN3c1010ScalarTypeEi: ; @_ZN2at6native6invokeIZZZNS0_12_GLOBAL__N_121bessel_y0_kernel_cudaERNS_18TensorIteratorBaseEENKUlvE_clEvENKUlvE_clEvEUldE_i15function_traitsIS7_EEENT1_11result_typeERKT_PrKPcPKT0_PKN3c1010ScalarTypeEi
; %bb.0:
	s_waitcnt vmcnt(0) expcnt(0) lgkmcnt(0)
	v_mul_lo_u32 v4, v4, v2
	v_ashrrev_i32_e32 v5, 31, v4
	v_mov_b32_e32 v2, 10
	v_lshl_add_u64 v[0:1], v[0:1], 0, v[4:5]
	v_cmp_gt_i16_sdwa s[0:1], v3, v2 src0_sel:BYTE_0 src1_sel:DWORD
	s_mov_b64 s[4:5], 0
                                        ; implicit-def: $vgpr4_vgpr5
	s_and_saveexec_b64 s[2:3], s[0:1]
	s_xor_b64 s[0:1], exec, s[2:3]
	s_cbranch_execz .LBB9_53
; %bb.1:
	v_mov_b32_e32 v2, 25
	v_cmp_gt_i16_sdwa s[6:7], v3, v2 src0_sel:BYTE_0 src1_sel:DWORD
	s_mov_b64 s[2:3], 0
	s_mov_b64 s[8:9], 0
                                        ; implicit-def: $vgpr4_vgpr5
	s_and_saveexec_b64 s[10:11], s[6:7]
	s_xor_b64 s[6:7], exec, s[10:11]
	s_cbranch_execz .LBB9_96
; %bb.2:
	v_mov_b32_e32 v2, 28
	v_cmp_gt_i16_sdwa s[4:5], v3, v2 src0_sel:BYTE_0 src1_sel:DWORD
	s_mov_b64 s[10:11], 0
                                        ; implicit-def: $vgpr4_vgpr5
	s_and_saveexec_b64 s[12:13], s[4:5]
	s_xor_b64 s[4:5], exec, s[12:13]
	s_cbranch_execz .LBB9_18
; %bb.3:
	v_mov_b32_e32 v2, 43
	v_cmp_gt_i16_sdwa s[8:9], v3, v2 src0_sel:BYTE_0 src1_sel:DWORD
	s_mov_b64 s[12:13], 0
	s_mov_b64 s[14:15], 0
                                        ; implicit-def: $vgpr4_vgpr5
	s_and_saveexec_b64 s[10:11], s[8:9]
	s_xor_b64 s[8:9], exec, s[10:11]
	s_cbranch_execz .LBB9_13
; %bb.4:
	v_mov_b32_e32 v2, 45
	v_cmp_gt_i16_sdwa s[14:15], v3, v2 src0_sel:BYTE_0 src1_sel:DWORD
	s_mov_b64 s[10:11], 0
                                        ; implicit-def: $vgpr4_vgpr5
	s_and_saveexec_b64 s[16:17], s[14:15]
	s_xor_b64 s[14:15], exec, s[16:17]
	s_cbranch_execz .LBB9_8
; %bb.5:
	v_mov_b32_e32 v2, 46
	v_cmp_eq_u16_sdwa s[18:19], v3, v2 src0_sel:BYTE_0 src1_sel:DWORD
	s_mov_b64 s[16:17], -1
                                        ; implicit-def: $vgpr4_vgpr5
	s_and_saveexec_b64 s[12:13], s[18:19]
	s_cbranch_execz .LBB9_7
; %bb.6:
	flat_load_dword v2, v[0:1]
	s_mov_b64 s[10:11], exec
	s_xor_b64 s[16:17], exec, -1
	s_waitcnt vmcnt(0) lgkmcnt(0)
	v_lshlrev_b32_e32 v2, 16, v2
	v_cvt_f64_f32_e32 v[4:5], v2
.LBB9_7:
	s_or_b64 exec, exec, s[12:13]
	s_and_b64 s[12:13], s[10:11], exec
	s_and_b64 s[10:11], s[16:17], exec
                                        ; implicit-def: $vgpr3
.LBB9_8:
	s_andn2_saveexec_b64 s[14:15], s[14:15]
	s_cbranch_execz .LBB9_12
; %bb.9:
	v_mov_b32_e32 v2, 44
	v_cmp_eq_u16_sdwa s[22:23], v3, v2 src0_sel:BYTE_0 src1_sel:DWORD
	s_mov_b64 s[20:21], -1
	s_mov_b64 s[18:19], s[12:13]
                                        ; implicit-def: $vgpr4_vgpr5
	s_and_saveexec_b64 s[16:17], s[22:23]
	s_cbranch_execz .LBB9_11
; %bb.10:
	flat_load_ubyte v4, v[0:1]
	s_movk_i32 s20, 0xff
	v_bfrev_b32_e32 v5, 4
	v_mov_b32_e32 v6, 0x7ff80000
	v_bfrev_b32_e32 v7, 28
	s_or_b64 s[18:19], s[12:13], exec
	s_waitcnt vmcnt(0) lgkmcnt(0)
	v_lshlrev_b32_e32 v2, 23, v4
	v_cvt_f64_f32_e32 v[2:3], v2
	v_cmp_ne_u32_e32 vcc, s20, v4
	s_xor_b64 s[20:21], exec, -1
	s_nop 0
	v_cndmask_b32_e32 v2, v5, v2, vcc
	v_cndmask_b32_e32 v3, v6, v3, vcc
	v_cmp_ne_u32_e32 vcc, 0, v4
	s_nop 1
	v_cndmask_b32_e32 v5, v7, v3, vcc
	v_cndmask_b32_e32 v4, 0, v2, vcc
.LBB9_11:
	s_or_b64 exec, exec, s[16:17]
	s_andn2_b64 s[12:13], s[12:13], exec
	s_and_b64 s[16:17], s[18:19], exec
	s_or_b64 s[12:13], s[12:13], s[16:17]
	s_andn2_b64 s[10:11], s[10:11], exec
	s_and_b64 s[16:17], s[20:21], exec
	s_or_b64 s[10:11], s[10:11], s[16:17]
.LBB9_12:
	s_or_b64 exec, exec, s[14:15]
	s_and_b64 s[14:15], s[12:13], exec
	s_and_b64 s[12:13], s[10:11], exec
                                        ; implicit-def: $vgpr3
.LBB9_13:
	s_andn2_saveexec_b64 s[8:9], s[8:9]
	s_cbranch_execz .LBB9_17
; %bb.14:
	v_mov_b32_e32 v2, 29
	v_cmp_eq_u16_sdwa s[20:21], v3, v2 src0_sel:BYTE_0 src1_sel:DWORD
	s_mov_b64 s[10:11], -1
	s_mov_b64 s[16:17], s[14:15]
                                        ; implicit-def: $vgpr4_vgpr5
	s_and_saveexec_b64 s[18:19], s[20:21]
	s_cbranch_execz .LBB9_16
; %bb.15:
	flat_load_dwordx2 v[2:3], v[0:1]
	s_or_b64 s[16:17], s[14:15], exec
	s_xor_b64 s[10:11], exec, -1
	s_waitcnt vmcnt(0) lgkmcnt(0)
	v_cvt_f64_u32_e32 v[4:5], v3
	v_cvt_f64_u32_e32 v[2:3], v2
	v_ldexp_f64 v[4:5], v[4:5], 32
	v_add_f64 v[4:5], v[4:5], v[2:3]
.LBB9_16:
	s_or_b64 exec, exec, s[18:19]
	s_andn2_b64 s[14:15], s[14:15], exec
	s_and_b64 s[16:17], s[16:17], exec
	s_andn2_b64 s[12:13], s[12:13], exec
	s_and_b64 s[10:11], s[10:11], exec
	s_or_b64 s[14:15], s[14:15], s[16:17]
	s_or_b64 s[12:13], s[12:13], s[10:11]
.LBB9_17:
	s_or_b64 exec, exec, s[8:9]
	s_and_b64 s[10:11], s[14:15], exec
	s_and_b64 s[8:9], s[12:13], exec
                                        ; implicit-def: $vgpr3
.LBB9_18:
	s_andn2_saveexec_b64 s[4:5], s[4:5]
	s_cbranch_execz .LBB9_34
; %bb.19:
	v_mov_b32_e32 v2, 26
	v_cmp_gt_i16_sdwa s[12:13], v3, v2 src0_sel:BYTE_0 src1_sel:DWORD
                                        ; implicit-def: $vgpr4_vgpr5
	s_and_saveexec_b64 s[14:15], s[12:13]
	s_xor_b64 s[12:13], exec, s[14:15]
	s_cbranch_execz .LBB9_25
; %bb.20:
	v_mov_b32_e32 v2, 27
	v_cmp_gt_i16_sdwa s[14:15], v3, v2 src0_sel:BYTE_0 src1_sel:DWORD
                                        ; implicit-def: $vgpr4_vgpr5
	s_and_saveexec_b64 s[16:17], s[14:15]
	s_xor_b64 s[14:15], exec, s[16:17]
	s_cbranch_execz .LBB9_22
; %bb.21:
	flat_load_dword v2, v[0:1]
	s_waitcnt vmcnt(0) lgkmcnt(0)
	v_cvt_f64_u32_e32 v[4:5], v2
.LBB9_22:
	s_andn2_saveexec_b64 s[14:15], s[14:15]
	s_cbranch_execz .LBB9_24
; %bb.23:
	flat_load_ushort v2, v[0:1]
	s_waitcnt vmcnt(0) lgkmcnt(0)
	v_cvt_f64_u32_e32 v[4:5], v2
.LBB9_24:
	s_or_b64 exec, exec, s[14:15]
.LBB9_25:
	s_andn2_saveexec_b64 s[12:13], s[12:13]
	s_cbranch_execz .LBB9_33
; %bb.26:
	flat_load_ubyte v2, v[0:1]
	s_movk_i32 s14, 0x7f
                                        ; implicit-def: $sgpr16_sgpr17
	s_waitcnt vmcnt(0) lgkmcnt(0)
	v_cmp_lt_i16_e32 vcc, s14, v2
	s_mov_b64 s[14:15], 0
	s_and_saveexec_b64 s[18:19], vcc
	s_xor_b64 s[18:19], exec, s[18:19]
	s_cbranch_execz .LBB9_131
; %bb.27:
	s_movk_i32 s14, 0x80
	v_cmp_eq_u16_e32 vcc, s14, v2
	s_mov_b64 s[20:21], -1
                                        ; implicit-def: $sgpr16_sgpr17
	s_and_saveexec_b64 s[14:15], vcc
; %bb.28:
	s_mov_b32 s17, 0x7ff80000
	s_brev_b32 s16, 4
	s_xor_b64 s[20:21], exec, -1
; %bb.29:
	s_or_b64 exec, exec, s[14:15]
	s_and_b64 s[14:15], s[20:21], exec
	s_or_saveexec_b64 s[18:19], s[18:19]
	v_mov_b64_e32 v[4:5], s[16:17]
	s_xor_b64 exec, exec, s[18:19]
	s_cbranch_execnz .LBB9_132
.LBB9_30:
	s_or_b64 exec, exec, s[18:19]
	s_and_saveexec_b64 s[16:17], s[14:15]
	s_cbranch_execz .LBB9_32
.LBB9_31:
	v_lshlrev_b32_e32 v3, 24, v2
	v_and_b32_e32 v2, 0xffff, v2
	v_and_b32_e32 v4, 7, v2
	v_ffbh_u32_e32 v6, v4
	v_min_u32_e32 v6, 32, v6
	v_subrev_u32_e32 v7, 28, v6
	v_bfe_u32 v5, v2, 3, 4
	v_lshlrev_b32_e32 v2, v7, v2
	v_sub_u32_e32 v6, 29, v6
	v_and_b32_e32 v2, 7, v2
	v_cmp_eq_u32_e32 vcc, 0, v5
	v_and_b32_e32 v3, 0x80000000, v3
	s_nop 0
	v_cndmask_b32_e32 v5, v5, v6, vcc
	v_cndmask_b32_e32 v2, v4, v2, vcc
	v_mov_b32_e32 v4, 0x3b800000
	v_lshlrev_b32_e32 v2, 20, v2
	v_lshl_add_u32 v4, v5, 23, v4
	v_or3_b32 v2, v3, v4, v2
	v_cvt_f64_f32_e32 v[4:5], v2
.LBB9_32:
	s_or_b64 exec, exec, s[16:17]
.LBB9_33:
	s_or_b64 exec, exec, s[12:13]
	s_or_b64 s[10:11], s[10:11], exec
.LBB9_34:
	s_or_b64 exec, exec, s[4:5]
	s_and_b64 s[4:5], s[10:11], exec
	s_and_b64 s[8:9], s[8:9], exec
                                        ; implicit-def: $vgpr3
	s_andn2_saveexec_b64 s[6:7], s[6:7]
	s_cbranch_execnz .LBB9_97
.LBB9_35:
	s_or_b64 exec, exec, s[6:7]
	s_and_saveexec_b64 s[6:7], s[8:9]
	s_cbranch_execnz .LBB9_122
.LBB9_36:
	s_or_b64 exec, exec, s[6:7]
	s_and_saveexec_b64 s[6:7], s[2:3]
	s_xor_b64 s[2:3], exec, s[6:7]
	s_cbranch_execz .LBB9_38
.LBB9_37:
	flat_load_ubyte v0, v[0:1]
	v_mov_b32_e32 v1, 0x3ff00000
	v_mov_b32_e32 v4, 0
	s_or_b64 s[4:5], s[4:5], exec
	s_waitcnt vmcnt(0) lgkmcnt(0)
	v_cmp_ne_u16_e32 vcc, 0, v0
	s_nop 1
	v_cndmask_b32_e32 v5, 0, v1, vcc
.LBB9_38:
	s_or_b64 exec, exec, s[2:3]
	s_and_b64 s[4:5], s[4:5], exec
                                        ; implicit-def: $vgpr3
                                        ; implicit-def: $vgpr0_vgpr1
	s_andn2_saveexec_b64 s[0:1], s[0:1]
	s_cbranch_execnz .LBB9_54
.LBB9_39:
	s_or_b64 exec, exec, s[0:1]
                                        ; implicit-def: $vgpr0_vgpr1
	s_and_saveexec_b64 s[2:3], s[4:5]
	s_cbranch_execz .LBB9_95
.LBB9_40:
	s_mov_b32 s0, 0
	s_mov_b32 s1, 0x40140000
	s_waitcnt vmcnt(0) lgkmcnt(0)
	v_cmp_ge_f64_e32 vcc, s[0:1], v[4:5]
                                        ; implicit-def: $vgpr0_vgpr1
	s_and_saveexec_b64 s[0:1], vcc
	s_xor_b64 s[0:1], exec, s[0:1]
	s_cbranch_execz .LBB9_50
; %bb.41:
	v_mov_b32_e32 v0, 0
	v_cmp_neq_f64_e32 vcc, 0, v[4:5]
	v_mov_b32_e32 v1, 0xfff00000
	s_and_saveexec_b64 s[4:5], vcc
	s_cbranch_execz .LBB9_49
; %bb.42:
	v_mov_b32_e32 v0, 0
	v_cmp_ngt_f64_e32 vcc, 0, v[4:5]
	v_mov_b32_e32 v1, 0x7ff80000
	s_and_saveexec_b64 s[6:7], vcc
	s_cbranch_execz .LBB9_48
; %bb.43:
	s_mov_b32 s8, 0x88e368f1
	v_mul_f64 v[0:1], v[4:5], v[4:5]
	s_mov_b32 s9, 0x3ee4f8b5
	v_mul_f64 v[6:7], v[0:1], 0
	v_cmp_ngt_f64_e32 vcc, s[8:9], v[4:5]
                                        ; implicit-def: $vgpr2_vgpr3
	s_and_saveexec_b64 s[8:9], vcc
	s_xor_b64 s[8:9], exec, s[8:9]
	s_cbranch_execz .LBB9_45
; %bb.44:
	s_mov_b32 s10, 0xad1c8325
	s_mov_b32 s11, 0xc1f1dc53
	v_add_f64 v[2:3], v[6:7], s[10:11]
	v_mov_b32_e32 v8, 0xc772990d
	v_mov_b32_e32 v9, 0x427c7751
	s_mov_b32 s10, 0xa696b78c
	v_fmac_f64_e32 v[8:9], v[0:1], v[2:3]
	v_mov_b32_e32 v2, 0xe0d900f7
	v_mov_b32_e32 v3, 0xc2ec5614
	s_mov_b32 s11, 0x407f3902
	v_fmac_f64_e32 v[2:3], v[0:1], v[8:9]
	v_add_f64 v[8:9], v[6:7], s[10:11]
	v_mov_b32_e32 v10, 0x36a21a67
	v_mov_b32_e32 v11, 0x410536cb
	v_fmac_f64_e32 v[10:11], v[0:1], v[8:9]
	v_mov_b32_e32 v8, 0x2eac0634
	v_mov_b32_e32 v9, 0x41871934
	v_fmac_f64_e32 v[8:9], v[0:1], v[10:11]
	;; [unrolled: 3-line block ×6, first 2 shown]
	v_mov_b32_e32 v10, 0xc7b662cc
	v_mov_b32_e32 v11, 0x43b7be34
	s_mov_b32 s10, 0x80462bbb
	v_fmac_f64_e32 v[10:11], v[0:1], v[8:9]
	v_mov_b32_e32 v8, 0x69ff5fb4
	v_mov_b32_e32 v9, 0x43413ef8
	s_mov_b32 s11, 0xc01721fb
	v_fmac_f64_e32 v[8:9], v[0:1], v[2:3]
	v_add_f64 v[2:3], v[0:1], s[10:11]
	s_mov_b32 s10, 0xa621dd6f
	s_mov_b32 s11, 0xc03e78a4
	v_add_f64 v[12:13], v[0:1], s[10:11]
	v_mul_f64 v[2:3], v[2:3], v[12:13]
	v_mul_f64 v[2:3], v[2:3], v[8:9]
	v_div_scale_f64 v[8:9], s[10:11], v[10:11], v[10:11], v[2:3]
	v_rcp_f64_e32 v[12:13], v[8:9]
	s_nop 0
	v_fma_f64 v[14:15], -v[8:9], v[12:13], 1.0
	v_fmac_f64_e32 v[12:13], v[12:13], v[14:15]
	v_fma_f64 v[14:15], -v[8:9], v[12:13], 1.0
	v_fmac_f64_e32 v[12:13], v[12:13], v[14:15]
	v_div_scale_f64 v[14:15], vcc, v[2:3], v[10:11], v[2:3]
	v_mul_f64 v[16:17], v[14:15], v[12:13]
	v_fma_f64 v[8:9], -v[8:9], v[16:17], v[14:15]
	s_nop 1
	v_div_fmas_f64 v[8:9], v[8:9], v[12:13], v[16:17]
	v_div_fixup_f64 v[2:3], v[8:9], v[10:11], v[2:3]
.LBB9_45:
	s_andn2_saveexec_b64 s[8:9], s[8:9]
; %bb.46:
	s_mov_b32 s10, 0
	s_mov_b32 s11, 0xbfd00000
	v_fma_f64 v[2:3], v[0:1], s[10:11], 1.0
; %bb.47:
	s_or_b64 exec, exec, s[8:9]
	s_mov_b32 s8, 0xe896898f
	s_mov_b32 s9, 0x40ce7437
	v_add_f64 v[8:9], v[6:7], s[8:9]
	v_mov_b32_e32 v10, 0x32e48896
	v_mov_b32_e32 v11, 0xc16bf81f
	v_fmac_f64_e32 v[10:11], v[0:1], v[8:9]
	v_mov_b32_e32 v8, 0xf0284cdd
	v_mov_b32_e32 v9, 0x41f43f78
	v_fmac_f64_e32 v[8:9], v[0:1], v[10:11]
	;; [unrolled: 3-line block ×4, first 2 shown]
	v_mov_b32_e32 v10, 0xd1d8cc02
	v_mov_b32_e32 v11, 0xc328a121
	s_mov_b32 s8, 0x576dfcb6
	v_fmac_f64_e32 v[10:11], v[0:1], v[8:9]
	v_mov_b32_e32 v8, 0x660b4003
	v_mov_b32_e32 v9, 0x4363a94b
	s_mov_b32 s9, 0x40904522
	v_fmac_f64_e32 v[8:9], v[0:1], v[10:11]
	v_add_f64 v[6:7], v[6:7], s[8:9]
	v_mov_b32_e32 v10, 0xa907bc0c
	v_mov_b32_e32 v11, 0x41231b76
	v_fmac_f64_e32 v[10:11], v[0:1], v[6:7]
	v_mov_b32_e32 v6, 0x5164d101
	v_mov_b32_e32 v7, 0x41b00763
	v_fmac_f64_e32 v[6:7], v[0:1], v[10:11]
	;; [unrolled: 3-line block ×7, first 2 shown]
	v_div_scale_f64 v[0:1], s[8:9], v[6:7], v[6:7], v[10:11]
	v_rcp_f64_e32 v[8:9], v[0:1]
	s_mov_b32 s8, 0x55555555
	s_mov_b32 s9, 0x3fe55555
	v_fma_f64 v[12:13], -v[0:1], v[8:9], 1.0
	v_fmac_f64_e32 v[8:9], v[8:9], v[12:13]
	v_fma_f64 v[12:13], -v[0:1], v[8:9], 1.0
	v_fmac_f64_e32 v[8:9], v[8:9], v[12:13]
	v_div_scale_f64 v[12:13], vcc, v[10:11], v[6:7], v[10:11]
	v_mul_f64 v[14:15], v[12:13], v[8:9]
	v_fma_f64 v[0:1], -v[0:1], v[14:15], v[12:13]
	s_nop 1
	v_div_fmas_f64 v[0:1], v[0:1], v[8:9], v[14:15]
	v_frexp_exp_i32_f64_e32 v8, v[4:5]
	v_frexp_mant_f64_e32 v[4:5], v[4:5]
	v_div_fixup_f64 v[0:1], v[0:1], v[6:7], v[10:11]
	v_mov_b32_e32 v6, 0x3ff00000
	v_cmp_gt_f64_e32 vcc, s[8:9], v[4:5]
	s_mov_b32 s8, 0xbf559e2b
	s_mov_b32 s9, 0x3fc3ab76
	v_cndmask_b32_e64 v7, v6, 2.0, vcc
	v_mov_b32_e32 v6, 0
	v_mul_f64 v[4:5], v[4:5], v[6:7]
	v_add_f64 v[6:7], v[4:5], 1.0
	v_subbrev_co_u32_e32 v18, vcc, 0, v8, vcc
	v_rcp_f64_e32 v[8:9], v[6:7]
	v_add_f64 v[12:13], v[6:7], -1.0
	v_add_f64 v[10:11], v[4:5], -1.0
	v_add_f64 v[4:5], v[4:5], -v[12:13]
	v_fma_f64 v[12:13], -v[6:7], v[8:9], 1.0
	v_fmac_f64_e32 v[8:9], v[12:13], v[8:9]
	v_fma_f64 v[12:13], -v[6:7], v[8:9], 1.0
	v_fmac_f64_e32 v[8:9], v[12:13], v[8:9]
	v_mul_f64 v[12:13], v[10:11], v[8:9]
	v_mul_f64 v[14:15], v[6:7], v[12:13]
	v_fma_f64 v[6:7], v[12:13], v[6:7], -v[14:15]
	v_fmac_f64_e32 v[6:7], v[12:13], v[4:5]
	v_add_f64 v[4:5], v[14:15], v[6:7]
	v_add_f64 v[16:17], v[10:11], -v[4:5]
	v_add_f64 v[14:15], v[4:5], -v[14:15]
	;; [unrolled: 1-line block ×5, first 2 shown]
	v_add_f64 v[4:5], v[6:7], v[4:5]
	v_add_f64 v[4:5], v[16:17], v[4:5]
	v_mul_f64 v[4:5], v[8:9], v[4:5]
	v_add_f64 v[6:7], v[12:13], v[4:5]
	v_add_f64 v[8:9], v[6:7], -v[12:13]
	v_add_f64 v[4:5], v[4:5], -v[8:9]
	v_mul_f64 v[8:9], v[6:7], v[6:7]
	v_mov_b32_e32 v10, 0x6b47b09a
	v_mov_b32_e32 v11, 0x3fc38538
	v_fmac_f64_e32 v[10:11], s[8:9], v[8:9]
	v_mov_b32_e32 v12, 0xd7f4df2e
	v_mov_b32_e32 v13, 0x3fc7474d
	v_fmac_f64_e32 v[12:13], v[8:9], v[10:11]
	;; [unrolled: 3-line block ×6, first 2 shown]
	v_ldexp_f64 v[10:11], v[6:7], 1
	v_mul_f64 v[6:7], v[6:7], v[8:9]
	v_mul_f64 v[6:7], v[6:7], v[12:13]
	v_add_f64 v[8:9], v[10:11], v[6:7]
	v_add_f64 v[10:11], v[8:9], -v[10:11]
	v_ldexp_f64 v[4:5], v[4:5], 1
	v_add_f64 v[6:7], v[6:7], -v[10:11]
	v_add_f64 v[4:5], v[4:5], v[6:7]
	v_add_f64 v[6:7], v[8:9], v[4:5]
	v_add_f64 v[8:9], v[6:7], -v[8:9]
	s_mov_b32 s8, 0xfefa39ef
	v_add_f64 v[4:5], v[4:5], -v[8:9]
	v_cvt_f64_i32_e32 v[8:9], v18
	s_mov_b32 s9, 0x3fe62e42
	v_mul_f64 v[10:11], v[8:9], s[8:9]
	v_fma_f64 v[12:13], v[8:9], s[8:9], -v[10:11]
	s_mov_b32 s8, 0x3b39803f
	s_mov_b32 s9, 0x3c7abc9e
	v_fmac_f64_e32 v[12:13], s[8:9], v[8:9]
	v_add_f64 v[8:9], v[10:11], v[12:13]
	v_add_f64 v[10:11], v[8:9], -v[10:11]
	v_add_f64 v[10:11], v[12:13], -v[10:11]
	v_add_f64 v[12:13], v[8:9], v[6:7]
	v_add_f64 v[14:15], v[12:13], -v[8:9]
	v_add_f64 v[16:17], v[12:13], -v[14:15]
	;; [unrolled: 1-line block ×4, first 2 shown]
	v_add_f64 v[6:7], v[6:7], v[8:9]
	v_add_f64 v[8:9], v[10:11], v[4:5]
	v_add_f64 v[14:15], v[8:9], -v[10:11]
	v_add_f64 v[16:17], v[8:9], -v[14:15]
	v_add_f64 v[6:7], v[8:9], v[6:7]
	v_add_f64 v[10:11], v[10:11], -v[16:17]
	v_add_f64 v[4:5], v[4:5], -v[14:15]
	v_add_f64 v[8:9], v[12:13], v[6:7]
	v_add_f64 v[4:5], v[4:5], v[10:11]
	v_add_f64 v[10:11], v[8:9], -v[12:13]
	v_add_f64 v[6:7], v[6:7], -v[10:11]
	v_add_f64 v[4:5], v[4:5], v[6:7]
	s_mov_b32 s8, 0x6dc9c883
	v_add_f64 v[4:5], v[8:9], v[4:5]
	s_mov_b32 s9, 0x3fe45f30
	v_mul_f64 v[4:5], v[4:5], s[8:9]
	v_fmac_f64_e32 v[0:1], v[4:5], v[2:3]
.LBB9_48:
	s_or_b64 exec, exec, s[6:7]
.LBB9_49:
	s_or_b64 exec, exec, s[4:5]
                                        ; implicit-def: $vgpr4_vgpr5
.LBB9_50:
	s_andn2_saveexec_b64 s[4:5], s[0:1]
	s_cbranch_execz .LBB9_130
; %bb.51:
	s_mov_b32 s9, 0xbfe921fb
	s_mov_b32 s8, 0x54442d18
	;; [unrolled: 1-line block ×3, first 2 shown]
	v_add_f64 v[0:1], v[4:5], s[8:9]
	s_mov_b32 s1, 0x41d00000
	v_cmp_nlt_f64_e64 s[6:7], |v[0:1]|, s[0:1]
	v_trig_preop_f64 v[16:17], |v[0:1]|, 0
	v_trig_preop_f64 v[14:15], |v[0:1]|, 1
	;; [unrolled: 1-line block ×3, first 2 shown]
                                        ; implicit-def: $vgpr24
                                        ; implicit-def: $vgpr2_vgpr3
                                        ; implicit-def: $vgpr6_vgpr7
	s_and_saveexec_b64 s[0:1], s[6:7]
	s_xor_b64 s[10:11], exec, s[0:1]
	s_cbranch_execz .LBB9_123
; %bb.52:
	s_mov_b32 s0, 0
	s_mov_b32 s1, 0x7b000000
	s_movk_i32 s9, 0xff80
	v_and_b32_e32 v6, 0x7fffffff, v1
	v_ldexp_f64 v[2:3], |v[0:1]|, s9
	v_cmp_ge_f64_e64 vcc, |v[0:1]|, s[0:1]
	s_mov_b32 s0, 0
	s_mov_b32 s1, 0x7ff00000
	v_cndmask_b32_e32 v3, v6, v3, vcc
	v_cndmask_b32_e32 v2, v0, v2, vcc
	v_mul_f64 v[8:9], v[16:17], v[2:3]
	v_mul_f64 v[6:7], v[14:15], v[2:3]
	v_fma_f64 v[10:11], v[16:17], v[2:3], -v[8:9]
	v_add_f64 v[18:19], v[6:7], v[10:11]
	v_add_f64 v[20:21], v[8:9], v[18:19]
	v_ldexp_f64 v[22:23], v[20:21], -2
	v_fract_f64_e32 v[24:25], v[22:23]
	v_cmp_neq_f64_e64 vcc, |v[22:23]|, s[0:1]
	v_add_f64 v[8:9], v[20:21], -v[8:9]
	v_add_f64 v[8:9], v[18:19], -v[8:9]
	v_cndmask_b32_e32 v23, 0, v25, vcc
	v_cndmask_b32_e32 v22, 0, v24, vcc
	v_add_f64 v[24:25], v[18:19], -v[6:7]
	v_add_f64 v[10:11], v[10:11], -v[24:25]
	;; [unrolled: 1-line block ×4, first 2 shown]
	v_add_f64 v[10:11], v[10:11], v[24:25]
	v_fma_f64 v[6:7], v[14:15], v[2:3], -v[6:7]
	v_mul_f64 v[24:25], v[12:13], v[2:3]
	v_add_f64 v[28:29], v[24:25], v[6:7]
	v_add_f64 v[30:31], v[28:29], v[10:11]
	v_add_f64 v[20:21], v[30:31], -v[28:29]
	v_add_f64 v[10:11], v[10:11], -v[20:21]
	;; [unrolled: 1-line block ×4, first 2 shown]
	v_add_f64 v[10:11], v[10:11], v[20:21]
	v_add_f64 v[20:21], v[28:29], -v[24:25]
	v_add_f64 v[6:7], v[6:7], -v[20:21]
	;; [unrolled: 1-line block ×4, first 2 shown]
	v_add_f64 v[18:19], v[8:9], v[30:31]
	v_add_f64 v[6:7], v[6:7], v[20:21]
	v_add_f64 v[8:9], v[18:19], -v[8:9]
	v_add_f64 v[6:7], v[6:7], v[10:11]
	v_fma_f64 v[2:3], v[12:13], v[2:3], -v[24:25]
	v_add_f64 v[8:9], v[30:31], -v[8:9]
	v_add_f64 v[2:3], v[2:3], v[6:7]
	v_ldexp_f64 v[6:7], v[22:23], 2
	v_add_f64 v[2:3], v[8:9], v[2:3]
	v_add_f64 v[8:9], v[18:19], v[6:7]
	v_mov_b32_e32 v10, 0x40100000
	v_cmp_gt_f64_e32 vcc, 0, v[8:9]
	v_mov_b32_e32 v26, 0
	s_mov_b32 s9, 0x3ff921fb
	v_cndmask_b32_e32 v27, 0, v10, vcc
	v_add_f64 v[6:7], v[6:7], v[26:27]
	v_add_f64 v[8:9], v[18:19], v[6:7]
	v_cvt_i32_f64_e32 v10, v[8:9]
	v_cvt_f64_i32_e32 v[8:9], v10
	v_add_f64 v[6:7], v[6:7], -v[8:9]
	v_add_f64 v[8:9], v[18:19], v[6:7]
	v_add_f64 v[6:7], v[8:9], -v[6:7]
	v_add_f64 v[6:7], v[18:19], -v[6:7]
	v_add_f64 v[2:3], v[2:3], v[6:7]
	v_cmp_le_f64_e32 vcc, 0.5, v[8:9]
	v_mov_b32_e32 v6, 0x3ff00000
	s_nop 0
	v_cndmask_b32_e32 v27, 0, v6, vcc
	v_add_f64 v[6:7], v[8:9], -v[26:27]
	v_add_f64 v[8:9], v[6:7], v[2:3]
	v_addc_co_u32_e64 v24, s[0:1], 0, v10, vcc
	v_add_f64 v[6:7], v[8:9], -v[6:7]
	v_add_f64 v[2:3], v[2:3], -v[6:7]
	v_mul_f64 v[6:7], v[8:9], s[8:9]
	s_mov_b32 s0, 0x33145c07
	v_fma_f64 v[10:11], v[8:9], s[8:9], -v[6:7]
	s_mov_b32 s1, 0x3c91a626
	v_fmac_f64_e32 v[10:11], s[0:1], v[8:9]
	v_fmac_f64_e32 v[10:11], s[8:9], v[2:3]
	v_add_f64 v[2:3], v[6:7], v[10:11]
	v_add_f64 v[6:7], v[2:3], -v[6:7]
	v_add_f64 v[6:7], v[10:11], -v[6:7]
	s_andn2_saveexec_b64 s[0:1], s[10:11]
	s_cbranch_execz .LBB9_125
	s_branch .LBB9_124
.LBB9_53:
	s_andn2_saveexec_b64 s[0:1], s[0:1]
	s_cbranch_execz .LBB9_39
.LBB9_54:
	v_mov_b32_e32 v2, 4
	v_cmp_gt_i16_sdwa s[2:3], v3, v2 src0_sel:BYTE_0 src1_sel:DWORD
                                        ; implicit-def: $vgpr4_vgpr5
	s_and_saveexec_b64 s[6:7], s[2:3]
	s_xor_b64 s[2:3], exec, s[6:7]
	s_cbranch_execz .LBB9_76
; %bb.55:
	v_mov_b32_e32 v2, 7
	v_cmp_gt_i16_sdwa s[6:7], v3, v2 src0_sel:BYTE_0 src1_sel:DWORD
                                        ; implicit-def: $vgpr4_vgpr5
	s_and_saveexec_b64 s[8:9], s[6:7]
	s_xor_b64 s[6:7], exec, s[8:9]
	s_cbranch_execz .LBB9_65
; %bb.56:
	;; [unrolled: 7-line block ×4, first 2 shown]
	flat_load_dwordx2 v[4:5], v[0:1]
                                        ; implicit-def: $vgpr0_vgpr1
.LBB9_59:
	s_andn2_saveexec_b64 s[10:11], s[10:11]
	s_cbranch_execz .LBB9_61
; %bb.60:
	flat_load_dword v0, v[0:1]
	s_waitcnt vmcnt(0) lgkmcnt(0)
	v_cvt_f64_f32_e32 v[4:5], v0
.LBB9_61:
	s_or_b64 exec, exec, s[10:11]
                                        ; implicit-def: $vgpr0_vgpr1
.LBB9_62:
	s_andn2_saveexec_b64 s[8:9], s[8:9]
	s_cbranch_execz .LBB9_64
; %bb.63:
	flat_load_dword v0, v[0:1]
	s_waitcnt vmcnt(0) lgkmcnt(0)
	v_cvt_f32_f16_e32 v0, v0
	v_cvt_f64_f32_e32 v[4:5], v0
.LBB9_64:
	s_or_b64 exec, exec, s[8:9]
                                        ; implicit-def: $vgpr0_vgpr1
                                        ; implicit-def: $vgpr3
.LBB9_65:
	s_andn2_saveexec_b64 s[6:7], s[6:7]
	s_cbranch_execz .LBB9_75
; %bb.66:
	v_mov_b32_e32 v2, 5
	v_cmp_gt_i16_sdwa s[8:9], v3, v2 src0_sel:BYTE_0 src1_sel:DWORD
                                        ; implicit-def: $vgpr4_vgpr5
	s_and_saveexec_b64 s[10:11], s[8:9]
	s_xor_b64 s[8:9], exec, s[10:11]
	s_cbranch_execz .LBB9_72
; %bb.67:
	v_mov_b32_e32 v2, 6
	v_cmp_gt_i16_sdwa s[10:11], v3, v2 src0_sel:BYTE_0 src1_sel:DWORD
                                        ; implicit-def: $vgpr4_vgpr5
	s_and_saveexec_b64 s[12:13], s[10:11]
	s_xor_b64 s[10:11], exec, s[12:13]
	s_cbranch_execz .LBB9_69
; %bb.68:
	s_waitcnt vmcnt(0) lgkmcnt(0)
	flat_load_dwordx2 v[4:5], v[0:1]
                                        ; implicit-def: $vgpr0_vgpr1
.LBB9_69:
	s_andn2_saveexec_b64 s[10:11], s[10:11]
	s_cbranch_execz .LBB9_71
; %bb.70:
	flat_load_dword v0, v[0:1]
	s_waitcnt vmcnt(0) lgkmcnt(0)
	v_cvt_f64_f32_e32 v[4:5], v0
.LBB9_71:
	s_or_b64 exec, exec, s[10:11]
                                        ; implicit-def: $vgpr0_vgpr1
.LBB9_72:
	s_andn2_saveexec_b64 s[8:9], s[8:9]
	s_cbranch_execz .LBB9_74
; %bb.73:
	flat_load_ushort v0, v[0:1]
	s_waitcnt vmcnt(0) lgkmcnt(0)
	v_cvt_f32_f16_e32 v0, v0
	v_cvt_f64_f32_e32 v[4:5], v0
.LBB9_74:
	s_or_b64 exec, exec, s[8:9]
.LBB9_75:
	s_or_b64 exec, exec, s[6:7]
                                        ; implicit-def: $vgpr3
                                        ; implicit-def: $vgpr0_vgpr1
.LBB9_76:
	s_andn2_saveexec_b64 s[2:3], s[2:3]
	s_cbranch_execz .LBB9_94
; %bb.77:
	v_mov_b32_e32 v2, 1
	v_cmp_gt_i16_sdwa s[6:7], v3, v2 src0_sel:BYTE_0 src1_sel:DWORD
                                        ; implicit-def: $vgpr4_vgpr5
	s_and_saveexec_b64 s[8:9], s[6:7]
	s_xor_b64 s[6:7], exec, s[8:9]
	s_cbranch_execz .LBB9_87
; %bb.78:
	v_mov_b32_e32 v2, 2
	v_cmp_gt_i16_sdwa s[8:9], v3, v2 src0_sel:BYTE_0 src1_sel:DWORD
                                        ; implicit-def: $vgpr4_vgpr5
	s_and_saveexec_b64 s[10:11], s[8:9]
	s_xor_b64 s[8:9], exec, s[10:11]
	;; [unrolled: 7-line block ×3, first 2 shown]
	s_cbranch_execz .LBB9_81
; %bb.80:
	flat_load_dwordx2 v[0:1], v[0:1]
	s_waitcnt vmcnt(0) lgkmcnt(0)
	v_cvt_f64_i32_e32 v[2:3], v1
	v_ldexp_f64 v[2:3], v[2:3], 32
	v_cvt_f64_u32_e32 v[0:1], v0
	v_add_f64 v[4:5], v[2:3], v[0:1]
                                        ; implicit-def: $vgpr0_vgpr1
.LBB9_81:
	s_andn2_saveexec_b64 s[10:11], s[10:11]
	s_cbranch_execz .LBB9_83
; %bb.82:
	flat_load_dword v0, v[0:1]
	s_waitcnt vmcnt(0) lgkmcnt(0)
	v_cvt_f64_i32_e32 v[4:5], v0
.LBB9_83:
	s_or_b64 exec, exec, s[10:11]
                                        ; implicit-def: $vgpr0_vgpr1
.LBB9_84:
	s_andn2_saveexec_b64 s[8:9], s[8:9]
	s_cbranch_execz .LBB9_86
; %bb.85:
	flat_load_sshort v0, v[0:1]
	s_waitcnt vmcnt(0) lgkmcnt(0)
	v_cvt_f64_i32_e32 v[4:5], v0
.LBB9_86:
	s_or_b64 exec, exec, s[8:9]
                                        ; implicit-def: $vgpr0_vgpr1
                                        ; implicit-def: $vgpr3
.LBB9_87:
	s_andn2_saveexec_b64 s[6:7], s[6:7]
	s_cbranch_execz .LBB9_93
; %bb.88:
	v_mov_b32_e32 v2, 0
	v_cmp_gt_i16_sdwa s[8:9], v3, v2 src0_sel:BYTE_0 src1_sel:DWORD
                                        ; implicit-def: $vgpr4_vgpr5
	s_and_saveexec_b64 s[10:11], s[8:9]
	s_xor_b64 s[8:9], exec, s[10:11]
	s_cbranch_execz .LBB9_90
; %bb.89:
	flat_load_sbyte v0, v[0:1]
	s_waitcnt vmcnt(0) lgkmcnt(0)
	v_cvt_f64_i32_e32 v[4:5], v0
                                        ; implicit-def: $vgpr0_vgpr1
.LBB9_90:
	s_andn2_saveexec_b64 s[8:9], s[8:9]
	s_cbranch_execz .LBB9_92
; %bb.91:
	flat_load_ubyte v0, v[0:1]
	s_waitcnt vmcnt(0) lgkmcnt(0)
	v_cvt_f64_u32_e32 v[4:5], v0
.LBB9_92:
	s_or_b64 exec, exec, s[8:9]
.LBB9_93:
	s_or_b64 exec, exec, s[6:7]
.LBB9_94:
	s_or_b64 exec, exec, s[2:3]
	s_or_b64 s[4:5], s[4:5], exec
	s_or_b64 exec, exec, s[0:1]
                                        ; implicit-def: $vgpr0_vgpr1
	s_and_saveexec_b64 s[2:3], s[4:5]
	s_cbranch_execnz .LBB9_40
.LBB9_95:
	s_or_b64 exec, exec, s[2:3]
	s_waitcnt vmcnt(0) lgkmcnt(0)
	s_setpc_b64 s[30:31]
.LBB9_96:
	s_andn2_saveexec_b64 s[6:7], s[6:7]
	s_cbranch_execz .LBB9_35
.LBB9_97:
	v_mov_b32_e32 v2, 22
	v_cmp_gt_i16_sdwa s[2:3], v3, v2 src0_sel:BYTE_0 src1_sel:DWORD
	s_mov_b64 s[10:11], s[4:5]
                                        ; implicit-def: $vgpr4_vgpr5
	s_and_saveexec_b64 s[12:13], s[2:3]
	s_xor_b64 s[2:3], exec, s[12:13]
	s_cbranch_execz .LBB9_113
; %bb.98:
	v_mov_b32_e32 v2, 23
	v_cmp_gt_i16_sdwa s[10:11], v3, v2 src0_sel:BYTE_0 src1_sel:DWORD
                                        ; implicit-def: $vgpr4_vgpr5
	s_and_saveexec_b64 s[12:13], s[10:11]
	s_xor_b64 s[10:11], exec, s[12:13]
	s_cbranch_execz .LBB9_110
; %bb.99:
	v_mov_b32_e32 v2, 24
	v_cmp_gt_i16_sdwa s[12:13], v3, v2 src0_sel:BYTE_0 src1_sel:DWORD
                                        ; implicit-def: $vgpr4_vgpr5
	s_and_saveexec_b64 s[14:15], s[12:13]
	s_xor_b64 s[12:13], exec, s[14:15]
	s_cbranch_execz .LBB9_107
; %bb.100:
	flat_load_ubyte v2, v[0:1]
	s_movk_i32 s14, 0x7f
                                        ; implicit-def: $sgpr16_sgpr17
	s_waitcnt vmcnt(0) lgkmcnt(0)
	v_cmp_lt_i16_e32 vcc, s14, v2
	s_mov_b64 s[14:15], 0
	s_and_saveexec_b64 s[18:19], vcc
	s_xor_b64 s[18:19], exec, s[18:19]
	s_cbranch_execz .LBB9_133
; %bb.101:
	s_movk_i32 s14, 0x80
	v_cmp_eq_u16_e32 vcc, s14, v2
	s_mov_b64 s[20:21], -1
                                        ; implicit-def: $sgpr16_sgpr17
	s_and_saveexec_b64 s[14:15], vcc
; %bb.102:
	s_mov_b32 s17, 0x7ff80000
	s_brev_b32 s16, 4
	s_xor_b64 s[20:21], exec, -1
; %bb.103:
	s_or_b64 exec, exec, s[14:15]
	s_and_b64 s[14:15], s[20:21], exec
	s_or_saveexec_b64 s[18:19], s[18:19]
	v_mov_b64_e32 v[4:5], s[16:17]
	s_xor_b64 exec, exec, s[18:19]
	s_cbranch_execnz .LBB9_134
.LBB9_104:
	s_or_b64 exec, exec, s[18:19]
	s_and_saveexec_b64 s[16:17], s[14:15]
	s_cbranch_execz .LBB9_106
.LBB9_105:
	v_lshlrev_b32_e32 v3, 24, v2
	v_and_b32_e32 v2, 0xffff, v2
	v_and_b32_e32 v4, 3, v2
	v_ffbh_u32_e32 v6, v4
	v_min_u32_e32 v6, 32, v6
	v_subrev_u32_e32 v7, 29, v6
	v_bfe_u32 v5, v2, 2, 5
	v_lshlrev_b32_e32 v2, v7, v2
	v_sub_u32_e32 v6, 30, v6
	v_and_b32_e32 v2, 3, v2
	v_cmp_eq_u32_e32 vcc, 0, v5
	v_and_b32_e32 v3, 0x80000000, v3
	s_nop 0
	v_cndmask_b32_e32 v5, v5, v6, vcc
	v_cndmask_b32_e32 v2, v4, v2, vcc
	v_mov_b32_e32 v4, 0x37800000
	v_lshlrev_b32_e32 v2, 21, v2
	v_lshl_add_u32 v4, v5, 23, v4
	v_or3_b32 v2, v3, v4, v2
	v_cvt_f64_f32_e32 v[4:5], v2
.LBB9_106:
	s_or_b64 exec, exec, s[16:17]
.LBB9_107:
	s_andn2_saveexec_b64 s[12:13], s[12:13]
	s_cbranch_execz .LBB9_109
; %bb.108:
	flat_load_ubyte v2, v[0:1]
	s_mov_b32 s14, 0x7f800000
	s_waitcnt vmcnt(0) lgkmcnt(0)
	v_lshlrev_b32_e32 v2, 24, v2
	v_and_b32_e32 v3, 0x7f000000, v2
	v_ffbh_u32_e32 v4, v3
	v_min_u32_e32 v4, 32, v4
	v_sub_u32_e64 v4, v4, 4 clamp
	v_lshlrev_b32_e32 v6, v4, v3
	v_lshlrev_b32_e32 v4, 23, v4
	v_lshrrev_b32_e32 v6, 4, v6
	v_add_u32_e32 v5, 0x1000000, v3
	v_sub_u32_e32 v4, v6, v4
	v_ashrrev_i32_e32 v5, 8, v5
	v_add_u32_e32 v4, 0x3c000000, v4
	v_and_or_b32 v4, v5, s14, v4
	v_cmp_ne_u32_e32 vcc, 0, v3
	s_brev_b32 s14, 1
	s_nop 0
	v_cndmask_b32_e32 v3, 0, v4, vcc
	v_and_or_b32 v2, v2, s14, v3
	v_cvt_f64_f32_e32 v[4:5], v2
.LBB9_109:
	s_or_b64 exec, exec, s[12:13]
.LBB9_110:
	s_andn2_saveexec_b64 s[10:11], s[10:11]
	s_cbranch_execz .LBB9_112
; %bb.111:
	flat_load_ubyte v2, v[0:1]
	s_movk_i32 s12, 0x7f00
	s_brev_b32 s13, 16
	s_waitcnt vmcnt(0) lgkmcnt(0)
	v_lshlrev_b16_e32 v3, 8, v2
	v_lshlrev_b32_e32 v2, 25, v2
	v_lshrrev_b32_e32 v4, 4, v2
	v_and_or_b32 v5, v3, s12, 0.5
	v_or_b32_e32 v4, 0x70000000, v4
	v_add_f32_e32 v5, -0.5, v5
	v_mul_f32_e32 v4, 0x7800000, v4
	v_cmp_gt_u32_e32 vcc, s13, v2
	v_bfe_i32 v3, v3, 0, 16
	s_brev_b32 s12, 1
	v_cndmask_b32_e32 v2, v4, v5, vcc
	v_and_or_b32 v2, v3, s12, v2
	v_cvt_f64_f32_e32 v[4:5], v2
.LBB9_112:
	s_or_b64 exec, exec, s[10:11]
	s_or_b64 s[10:11], s[4:5], exec
                                        ; implicit-def: $vgpr3
.LBB9_113:
	s_or_saveexec_b64 s[2:3], s[2:3]
	s_mov_b64 s[14:15], 0
	s_mov_b64 s[12:13], s[8:9]
	s_xor_b64 exec, exec, s[2:3]
	s_cbranch_execz .LBB9_121
; %bb.114:
	v_mov_b32_e32 v2, 14
	v_cmp_gt_i16_sdwa s[16:17], v3, v2 src0_sel:BYTE_0 src1_sel:DWORD
	s_mov_b64 s[12:13], s[8:9]
	s_mov_b64 s[14:15], s[10:11]
                                        ; implicit-def: $vgpr4_vgpr5
	s_and_saveexec_b64 s[18:19], s[16:17]
	s_xor_b64 s[16:17], exec, s[18:19]
	s_cbranch_execz .LBB9_118
; %bb.115:
	v_mov_b32_e32 v2, 15
	v_cmp_eq_u16_sdwa s[20:21], v3, v2 src0_sel:BYTE_0 src1_sel:DWORD
	s_mov_b64 s[12:13], -1
	s_mov_b64 s[14:15], s[10:11]
                                        ; implicit-def: $vgpr4_vgpr5
	s_and_saveexec_b64 s[18:19], s[20:21]
	s_cbranch_execz .LBB9_117
; %bb.116:
	flat_load_ushort v2, v[0:1]
	s_or_b64 s[14:15], s[10:11], exec
	s_xor_b64 s[12:13], exec, -1
	s_waitcnt vmcnt(0) lgkmcnt(0)
	v_lshlrev_b32_e32 v2, 16, v2
	v_cvt_f64_f32_e32 v[4:5], v2
.LBB9_117:
	s_or_b64 exec, exec, s[18:19]
	s_andn2_b64 s[18:19], s[10:11], exec
	s_and_b64 s[14:15], s[14:15], exec
	s_or_b64 s[14:15], s[18:19], s[14:15]
	s_andn2_b64 s[18:19], s[8:9], exec
	s_and_b64 s[12:13], s[12:13], exec
	s_or_b64 s[12:13], s[18:19], s[12:13]
                                        ; implicit-def: $vgpr3
.LBB9_118:
	s_or_saveexec_b64 s[16:17], s[16:17]
	s_mov_b64 s[18:19], 0
	s_xor_b64 exec, exec, s[16:17]
; %bb.119:
	v_mov_b32_e32 v2, 11
	v_cmp_ne_u16_sdwa s[20:21], v3, v2 src0_sel:BYTE_0 src1_sel:DWORD
	s_andn2_b64 s[12:13], s[12:13], exec
	s_and_b64 s[20:21], s[20:21], exec
	s_mov_b64 s[18:19], exec
	s_or_b64 s[12:13], s[12:13], s[20:21]
                                        ; implicit-def: $vgpr4_vgpr5
; %bb.120:
	s_or_b64 exec, exec, s[16:17]
	s_andn2_b64 s[10:11], s[10:11], exec
	s_and_b64 s[14:15], s[14:15], exec
	s_andn2_b64 s[16:17], s[8:9], exec
	s_and_b64 s[12:13], s[12:13], exec
	s_or_b64 s[10:11], s[10:11], s[14:15]
	s_and_b64 s[14:15], s[18:19], exec
	s_or_b64 s[12:13], s[16:17], s[12:13]
.LBB9_121:
	s_or_b64 exec, exec, s[2:3]
	s_andn2_b64 s[2:3], s[4:5], exec
	s_and_b64 s[4:5], s[10:11], exec
	s_andn2_b64 s[8:9], s[8:9], exec
	s_and_b64 s[10:11], s[12:13], exec
	s_or_b64 s[4:5], s[2:3], s[4:5]
	s_and_b64 s[2:3], s[14:15], exec
	s_or_b64 s[8:9], s[8:9], s[10:11]
	s_or_b64 exec, exec, s[6:7]
	s_and_saveexec_b64 s[6:7], s[8:9]
	s_cbranch_execz .LBB9_36
.LBB9_122:
	s_trap 2
	; divergent unreachable
	s_andn2_b64 s[2:3], s[2:3], exec
                                        ; implicit-def: $vgpr4_vgpr5
	s_or_b64 exec, exec, s[6:7]
	s_and_saveexec_b64 s[6:7], s[2:3]
	s_xor_b64 s[2:3], exec, s[6:7]
	s_cbranch_execnz .LBB9_37
	s_branch .LBB9_38
.LBB9_123:
	s_andn2_saveexec_b64 s[0:1], s[10:11]
	s_cbranch_execz .LBB9_125
.LBB9_124:
	s_mov_b32 s8, 0x6dc9c883
	s_mov_b32 s9, 0x3fe45f30
	v_mul_f64 v[2:3], |v[0:1]|, s[8:9]
	s_mov_b32 s8, 0x54442d18
	v_rndne_f64_e32 v[8:9], v[2:3]
	s_mov_b32 s9, 0xbff921fb
	v_fma_f64 v[2:3], v[8:9], s[8:9], |v[0:1]|
	s_mov_b32 s9, 0xbc91a626
	s_mov_b32 s8, 0x33145c00
	v_mul_f64 v[10:11], v[8:9], s[8:9]
	v_add_f64 v[20:21], v[2:3], v[10:11]
	v_fma_f64 v[6:7], s[8:9], v[8:9], v[2:3]
	s_mov_b32 s9, 0x3c91a626
	v_add_f64 v[2:3], v[2:3], -v[20:21]
	v_fma_f64 v[18:19], s[8:9], v[8:9], v[10:11]
	v_add_f64 v[2:3], v[2:3], v[10:11]
	v_add_f64 v[10:11], v[20:21], -v[6:7]
	v_add_f64 v[2:3], v[10:11], v[2:3]
	s_mov_b32 s8, 0x252049c0
	v_add_f64 v[10:11], v[2:3], -v[18:19]
	s_mov_b32 s9, 0xb97b839a
	v_fmac_f64_e32 v[10:11], s[8:9], v[8:9]
	v_add_f64 v[2:3], v[6:7], v[10:11]
	v_add_f64 v[6:7], v[2:3], -v[6:7]
	v_add_f64 v[6:7], v[10:11], -v[6:7]
	v_cvt_i32_f64_e32 v24, v[8:9]
.LBB9_125:
	s_or_b64 exec, exec, s[0:1]
                                        ; implicit-def: $vgpr25
                                        ; implicit-def: $vgpr8_vgpr9
                                        ; implicit-def: $vgpr10_vgpr11
	s_and_saveexec_b64 s[0:1], s[6:7]
	s_xor_b64 s[6:7], exec, s[0:1]
	s_cbranch_execz .LBB9_127
; %bb.126:
	s_mov_b32 s0, 0
	s_mov_b32 s1, 0x7b000000
	s_movk_i32 s8, 0xff80
	v_and_b32_e32 v10, 0x7fffffff, v1
	v_ldexp_f64 v[8:9], |v[0:1]|, s8
	v_cmp_ge_f64_e64 vcc, |v[0:1]|, s[0:1]
	s_mov_b32 s0, 0
	s_mov_b32 s1, 0x7ff00000
	v_cndmask_b32_e32 v9, v10, v9, vcc
	v_cndmask_b32_e32 v8, v0, v8, vcc
	v_mul_f64 v[18:19], v[16:17], v[8:9]
	v_mul_f64 v[10:11], v[14:15], v[8:9]
	v_fma_f64 v[16:17], v[16:17], v[8:9], -v[18:19]
	v_add_f64 v[20:21], v[10:11], v[16:17]
	v_add_f64 v[22:23], v[18:19], v[20:21]
	v_ldexp_f64 v[26:27], v[22:23], -2
	v_fract_f64_e32 v[28:29], v[26:27]
	v_cmp_neq_f64_e64 vcc, |v[26:27]|, s[0:1]
	v_add_f64 v[18:19], v[22:23], -v[18:19]
	v_add_f64 v[18:19], v[20:21], -v[18:19]
	v_cndmask_b32_e32 v27, 0, v29, vcc
	v_cndmask_b32_e32 v26, 0, v28, vcc
	v_add_f64 v[28:29], v[20:21], -v[10:11]
	v_add_f64 v[16:17], v[16:17], -v[28:29]
	;; [unrolled: 1-line block ×4, first 2 shown]
	v_fma_f64 v[10:11], v[14:15], v[8:9], -v[10:11]
	v_mul_f64 v[14:15], v[12:13], v[8:9]
	v_add_f64 v[16:17], v[16:17], v[28:29]
	v_add_f64 v[28:29], v[14:15], v[10:11]
	;; [unrolled: 1-line block ×3, first 2 shown]
	v_add_f64 v[22:23], v[32:33], -v[28:29]
	v_add_f64 v[16:17], v[16:17], -v[22:23]
	;; [unrolled: 1-line block ×4, first 2 shown]
	v_add_f64 v[16:17], v[16:17], v[22:23]
	v_add_f64 v[22:23], v[28:29], -v[14:15]
	v_add_f64 v[10:11], v[10:11], -v[22:23]
	;; [unrolled: 1-line block ×4, first 2 shown]
	v_add_f64 v[10:11], v[10:11], v[22:23]
	v_add_f64 v[10:11], v[10:11], v[16:17]
	v_fma_f64 v[8:9], v[12:13], v[8:9], -v[14:15]
	v_add_f64 v[20:21], v[18:19], v[32:33]
	v_add_f64 v[8:9], v[8:9], v[10:11]
	v_ldexp_f64 v[10:11], v[26:27], 2
	v_add_f64 v[12:13], v[20:21], v[10:11]
	v_mov_b32_e32 v14, 0x40100000
	v_cmp_gt_f64_e32 vcc, 0, v[12:13]
	v_mov_b32_e32 v30, 0
	v_add_f64 v[18:19], v[20:21], -v[18:19]
	v_cndmask_b32_e32 v31, 0, v14, vcc
	v_add_f64 v[10:11], v[10:11], v[30:31]
	v_add_f64 v[12:13], v[20:21], v[10:11]
	v_cvt_i32_f64_e32 v14, v[12:13]
	v_cvt_f64_i32_e32 v[12:13], v14
	v_add_f64 v[10:11], v[10:11], -v[12:13]
	v_add_f64 v[12:13], v[20:21], v[10:11]
	v_add_f64 v[18:19], v[32:33], -v[18:19]
	v_add_f64 v[10:11], v[12:13], -v[10:11]
	v_add_f64 v[8:9], v[18:19], v[8:9]
	v_add_f64 v[10:11], v[20:21], -v[10:11]
	v_add_f64 v[8:9], v[8:9], v[10:11]
	v_cmp_le_f64_e32 vcc, 0.5, v[12:13]
	v_mov_b32_e32 v10, 0x3ff00000
	s_mov_b32 s8, 0x33145c07
	v_cndmask_b32_e32 v31, 0, v10, vcc
	v_addc_co_u32_e64 v25, s[0:1], 0, v14, vcc
	v_add_f64 v[10:11], v[12:13], -v[30:31]
	v_add_f64 v[12:13], v[10:11], v[8:9]
	s_mov_b32 s0, 0x54442d18
	v_add_f64 v[10:11], v[12:13], -v[10:11]
	s_mov_b32 s1, 0x3ff921fb
	v_add_f64 v[8:9], v[8:9], -v[10:11]
	v_mul_f64 v[10:11], v[12:13], s[0:1]
	v_fma_f64 v[14:15], v[12:13], s[0:1], -v[10:11]
	s_mov_b32 s9, 0x3c91a626
	v_fmac_f64_e32 v[14:15], s[8:9], v[12:13]
	v_fmac_f64_e32 v[14:15], s[0:1], v[8:9]
	v_add_f64 v[8:9], v[10:11], v[14:15]
	v_add_f64 v[10:11], v[8:9], -v[10:11]
	v_add_f64 v[10:11], v[14:15], -v[10:11]
	s_andn2_saveexec_b64 s[0:1], s[6:7]
	s_cbranch_execnz .LBB9_128
	s_branch .LBB9_129
.LBB9_127:
	s_andn2_saveexec_b64 s[0:1], s[6:7]
	s_cbranch_execz .LBB9_129
.LBB9_128:
	s_mov_b32 s6, 0x6dc9c883
	s_mov_b32 s7, 0x3fe45f30
	v_mul_f64 v[8:9], |v[0:1]|, s[6:7]
	s_mov_b32 s6, 0x54442d18
	v_rndne_f64_e32 v[12:13], v[8:9]
	s_mov_b32 s7, 0xbff921fb
	v_fma_f64 v[8:9], v[12:13], s[6:7], |v[0:1]|
	s_mov_b32 s7, 0xbc91a626
	s_mov_b32 s6, 0x33145c00
	v_mul_f64 v[14:15], v[12:13], s[6:7]
	v_add_f64 v[18:19], v[8:9], v[14:15]
	v_fma_f64 v[10:11], s[6:7], v[12:13], v[8:9]
	s_mov_b32 s7, 0x3c91a626
	v_add_f64 v[8:9], v[8:9], -v[18:19]
	v_fma_f64 v[16:17], s[6:7], v[12:13], v[14:15]
	v_add_f64 v[8:9], v[8:9], v[14:15]
	v_add_f64 v[14:15], v[18:19], -v[10:11]
	v_add_f64 v[8:9], v[14:15], v[8:9]
	s_mov_b32 s6, 0x252049c0
	v_add_f64 v[14:15], v[8:9], -v[16:17]
	s_mov_b32 s7, 0xb97b839a
	v_fmac_f64_e32 v[14:15], s[6:7], v[12:13]
	v_add_f64 v[8:9], v[10:11], v[14:15]
	v_add_f64 v[10:11], v[8:9], -v[10:11]
	v_add_f64 v[10:11], v[14:15], -v[10:11]
	v_cvt_i32_f64_e32 v25, v[12:13]
.LBB9_129:
	s_or_b64 exec, exec, s[0:1]
	s_mov_b32 s0, 0
	v_mul_f64 v[12:13], v[4:5], v[4:5]
	s_mov_b32 s1, 0x40390000
	v_div_scale_f64 v[14:15], s[6:7], v[12:13], v[12:13], s[0:1]
	v_rcp_f64_e32 v[16:17], v[14:15]
	v_mov_b32_e32 v22, 0x55b218cd
	v_mov_b32_e32 v23, 0xc049b48c
	s_mov_b32 s6, 0x46cc5e42
	v_fma_f64 v[18:19], -v[14:15], v[16:17], 1.0
	v_fmac_f64_e32 v[16:17], v[16:17], v[18:19]
	v_fma_f64 v[18:19], -v[14:15], v[16:17], 1.0
	v_fmac_f64_e32 v[16:17], v[16:17], v[18:19]
	v_div_scale_f64 v[18:19], vcc, s[0:1], v[12:13], s[0:1]
	v_mul_f64 v[20:21], v[18:19], v[16:17]
	v_fma_f64 v[14:15], -v[14:15], v[20:21], v[18:19]
	v_mov_b32_e32 v18, 0xab5454e3
	s_nop 0
	v_div_fmas_f64 v[14:15], v[14:15], v[16:17], v[20:21]
	v_div_fixup_f64 v[14:15], v[14:15], v[12:13], s[0:1]
	v_mov_b32_e32 v12, 0x983b6b27
	v_mov_b32_e32 v13, 0x3f4a1d30
	v_fmac_f64_e32 v[12:13], 0, v[14:15]
	v_mov_b32_e32 v16, 0xb35dd1cf
	v_mov_b32_e32 v17, 0x3fb534b0
	v_fmac_f64_e32 v[16:17], v[14:15], v[12:13]
	;; [unrolled: 3-line block ×7, first 2 shown]
	v_mov_b32_e32 v19, 0x3fb5ebc5
	v_fmac_f64_e32 v[18:19], v[14:15], v[12:13]
	v_mov_b32_e32 v12, 0xc9b3069f
	v_mov_b32_e32 v13, 0x3ff40e72
	v_fmac_f64_e32 v[12:13], v[14:15], v[18:19]
	v_mov_b32_e32 v18, 0xe68162bb
	;; [unrolled: 3-line block ×10, first 2 shown]
	v_mov_b32_e32 v21, 0xc062627a
	v_fmac_f64_e32 v[20:21], v[14:15], v[12:13]
	v_fmac_f64_e32 v[22:23], v[14:15], v[20:21]
	v_mov_b32_e32 v12, 0xd1b9a1dd
	v_mov_b32_e32 v13, 0xc0183358
	;; [unrolled: 1-line block ×4, first 2 shown]
	v_fmac_f64_e32 v[12:13], v[14:15], v[22:23]
	v_fmac_f64_e32 v[20:21], 0, v[14:15]
	v_mov_b32_e32 v22, 0xb1759c7f
	v_mov_b32_e32 v23, 0x408ac370
	v_fmac_f64_e32 v[22:23], v[14:15], v[20:21]
	v_mov_b32_e32 v20, 0xbd748cb5
	v_mov_b32_e32 v21, 0x40ae54cd
	;; [unrolled: 3-line block ×5, first 2 shown]
	v_fma_f64 v[18:19], v[14:15], v[18:19], 1.0
	v_fmac_f64_e32 v[22:23], v[14:15], v[20:21]
	v_fma_f64 v[20:21], v[14:15], v[16:17], 1.0
	v_div_scale_f64 v[26:27], s[0:1], v[18:19], v[18:19], v[20:21]
	v_rcp_f64_e32 v[28:29], v[26:27]
	v_mov_b32_e32 v16, 0x6280a54
	v_mov_b32_e32 v17, 0x406e402f
	v_fmac_f64_e32 v[16:17], v[14:15], v[22:23]
	v_fma_f64 v[14:15], -v[26:27], v[28:29], 1.0
	v_fmac_f64_e32 v[28:29], v[28:29], v[14:15]
	v_fma_f64 v[14:15], -v[26:27], v[28:29], 1.0
	v_fmac_f64_e32 v[28:29], v[28:29], v[14:15]
	v_div_scale_f64 v[14:15], vcc, v[20:21], v[18:19], v[20:21]
	v_mul_f64 v[22:23], v[14:15], v[28:29]
	v_fma_f64 v[14:15], -v[26:27], v[22:23], v[14:15]
	s_mov_b32 s0, 0x9037ab78
	s_nop 0
	v_div_fmas_f64 v[14:15], v[14:15], v[28:29], v[22:23]
	v_mul_f64 v[22:23], v[2:3], v[2:3]
	v_div_fixup_f64 v[14:15], v[14:15], v[18:19], v[20:21]
	v_mul_f64 v[18:19], v[22:23], 0.5
	v_add_f64 v[20:21], -v[18:19], 1.0
	v_add_f64 v[26:27], -v[20:21], 1.0
	s_mov_b32 s1, 0x3e21eeb6
	v_add_f64 v[26:27], v[26:27], -v[18:19]
	s_mov_b32 s7, 0xbda907db
	v_mov_b64_e32 v[18:19], s[0:1]
	s_mov_b32 s8, 0xa17f65f6
	v_fma_f64 v[30:31], s[6:7], v[22:23], v[18:19]
	s_mov_b32 s9, 0xbe927e4f
	s_mov_b32 s10, 0x19f4ec90
	v_fma_f64 v[30:31], v[22:23], v[30:31], s[8:9]
	s_mov_b32 s11, 0x3efa01a0
	;; [unrolled: 3-line block ×4, first 2 shown]
	v_mul_f64 v[28:29], v[22:23], v[22:23]
	v_fma_f64 v[30:31], v[22:23], v[30:31], s[14:15]
	v_fma_f64 v[26:27], v[2:3], -v[6:7], v[26:27]
	s_mov_b32 s0, 0xb42fdfa7
	v_fmac_f64_e32 v[26:27], v[28:29], v[30:31]
	s_mov_b32 s1, 0xbe5ae600
	s_mov_b32 s16, 0xf9a43bb8
	v_add_f64 v[26:27], v[20:21], v[26:27]
	s_mov_b32 s17, 0x3de5e0b2
	v_mov_b64_e32 v[20:21], s[0:1]
	s_mov_b32 s18, 0x796cde01
	v_fma_f64 v[28:29], s[16:17], v[22:23], v[20:21]
	s_mov_b32 s19, 0x3ec71de3
	s_mov_b32 s20, 0x19e83e5c
	v_fma_f64 v[28:29], v[22:23], v[28:29], s[18:19]
	s_mov_b32 s21, 0xbf2a01a0
	;; [unrolled: 3-line block ×3, first 2 shown]
	v_fma_f64 v[28:29], v[22:23], v[28:29], s[22:23]
	v_mul_f64 v[30:31], v[2:3], -v[22:23]
	v_mul_f64 v[32:33], v[6:7], 0.5
	v_fmac_f64_e32 v[32:33], v[30:31], v[28:29]
	v_fma_f64 v[6:7], v[22:23], v[32:33], -v[6:7]
	s_mov_b32 s25, 0xbfc55555
	s_mov_b32 s24, s14
	v_fmac_f64_e32 v[6:7], s[24:25], v[30:31]
	v_add_f64 v[2:3], v[2:3], -v[6:7]
	v_and_b32_e32 v6, 1, v24
	v_cmp_eq_u32_e32 vcc, 0, v6
	s_mov_b32 s26, 0
	s_mov_b32 s27, 0x40140000
	v_cndmask_b32_e32 v22, v26, v2, vcc
	v_cndmask_b32_e32 v2, v27, v3, vcc
	v_lshlrev_b32_e32 v3, 30, v24
	v_xor_b32_e32 v3, v3, v1
	v_and_b32_e32 v3, 0x80000000, v3
	v_xor_b32_e32 v23, v2, v3
	v_div_scale_f64 v[2:3], s[0:1], v[4:5], v[4:5], s[26:27]
	v_rcp_f64_e32 v[6:7], v[2:3]
	s_movk_i32 s28, 0x1f8
	v_cmp_class_f64_e64 s[0:1], v[0:1], s28
	v_mov_b32_e32 v24, 0x7ff80000
	s_nop 0
	v_cndmask_b32_e64 v0, 0, v22, s[0:1]
	v_cndmask_b32_e64 v1, v24, v23, s[0:1]
	v_fma_f64 v[22:23], -v[2:3], v[6:7], 1.0
	v_fmac_f64_e32 v[6:7], v[6:7], v[22:23]
	v_fma_f64 v[22:23], -v[2:3], v[6:7], 1.0
	v_fmac_f64_e32 v[6:7], v[6:7], v[22:23]
	v_div_scale_f64 v[22:23], vcc, s[26:27], v[4:5], s[26:27]
	v_mul_f64 v[26:27], v[22:23], v[6:7]
	v_fma_f64 v[2:3], -v[2:3], v[26:27], v[22:23]
	v_div_scale_f64 v[22:23], s[28:29], v[16:17], v[16:17], v[12:13]
	v_rcp_f64_e32 v[28:29], v[22:23]
	v_div_fmas_f64 v[2:3], v[2:3], v[6:7], v[26:27]
	v_div_fixup_f64 v[2:3], v[2:3], v[4:5], s[26:27]
	v_fma_f64 v[6:7], -v[22:23], v[28:29], 1.0
	v_fmac_f64_e32 v[28:29], v[28:29], v[6:7]
	v_fma_f64 v[6:7], -v[22:23], v[28:29], 1.0
	v_fmac_f64_e32 v[28:29], v[28:29], v[6:7]
	v_div_scale_f64 v[6:7], vcc, v[12:13], v[16:17], v[12:13]
	v_mul_f64 v[26:27], v[6:7], v[28:29]
	v_fma_f64 v[6:7], -v[22:23], v[26:27], v[6:7]
	s_nop 1
	v_div_fmas_f64 v[6:7], v[6:7], v[28:29], v[26:27]
	v_div_fixup_f64 v[6:7], v[6:7], v[16:17], v[12:13]
	v_mul_f64 v[2:3], v[2:3], v[6:7]
	v_mul_f64 v[6:7], v[8:9], v[8:9]
	v_mul_f64 v[12:13], v[6:7], 0.5
	v_fmac_f64_e32 v[18:19], s[6:7], v[6:7]
	v_add_f64 v[16:17], -v[12:13], 1.0
	v_fma_f64 v[18:19], v[6:7], v[18:19], s[8:9]
	v_add_f64 v[22:23], -v[16:17], 1.0
	v_fma_f64 v[18:19], v[6:7], v[18:19], s[10:11]
	v_add_f64 v[12:13], v[22:23], -v[12:13]
	v_fma_f64 v[18:19], v[6:7], v[18:19], s[12:13]
	v_mul_f64 v[22:23], v[6:7], v[6:7]
	v_fma_f64 v[18:19], v[6:7], v[18:19], s[14:15]
	v_fma_f64 v[12:13], v[8:9], -v[10:11], v[12:13]
	v_fmac_f64_e32 v[12:13], v[22:23], v[18:19]
	v_fmac_f64_e32 v[20:21], s[16:17], v[6:7]
	v_add_f64 v[12:13], v[16:17], v[12:13]
	v_fma_f64 v[16:17], v[6:7], v[20:21], s[18:19]
	v_fma_f64 v[16:17], v[6:7], v[16:17], s[20:21]
	;; [unrolled: 1-line block ×3, first 2 shown]
	v_mul_f64 v[18:19], v[8:9], -v[6:7]
	v_mul_f64 v[20:21], v[10:11], 0.5
	v_fmac_f64_e32 v[20:21], v[18:19], v[16:17]
	v_fma_f64 v[6:7], v[6:7], v[20:21], -v[10:11]
	v_fmac_f64_e32 v[6:7], s[24:25], v[18:19]
	v_add_f64 v[6:7], v[8:9], -v[6:7]
	v_and_b32_e32 v8, 1, v25
	v_xor_b32_e32 v7, 0x80000000, v7
	v_cmp_eq_u32_e32 vcc, 0, v8
	v_lshlrev_b32_e32 v8, 30, v25
	v_and_b32_e32 v8, 0x80000000, v8
	v_cndmask_b32_e32 v7, v7, v13, vcc
	v_cndmask_b32_e32 v6, v6, v12, vcc
	v_xor_b32_e32 v7, v7, v8
	v_cndmask_b32_e64 v6, 0, v6, s[0:1]
	v_cndmask_b32_e64 v7, v24, v7, s[0:1]
	s_mov_b32 s0, 0
	s_brev_b32 s1, 8
	v_mul_f64 v[2:3], v[2:3], v[6:7]
	v_cmp_gt_f64_e32 vcc, s[0:1], v[4:5]
	v_fmac_f64_e32 v[2:3], v[14:15], v[0:1]
	s_mov_b32 s0, 0x33d43651
	v_cndmask_b32_e64 v0, 0, 1, vcc
	v_lshlrev_b32_e32 v0, 8, v0
	v_ldexp_f64 v[0:1], v[4:5], v0
	v_rsq_f64_e32 v[4:5], v[0:1]
	s_mov_b32 s1, 0x3fe98845
	v_mul_f64 v[2:3], v[2:3], s[0:1]
	v_mul_f64 v[6:7], v[0:1], v[4:5]
	v_mul_f64 v[4:5], v[4:5], 0.5
	v_fma_f64 v[8:9], -v[4:5], v[6:7], 0.5
	v_fmac_f64_e32 v[6:7], v[6:7], v[8:9]
	v_fma_f64 v[10:11], -v[6:7], v[6:7], v[0:1]
	v_fmac_f64_e32 v[4:5], v[4:5], v[8:9]
	v_fmac_f64_e32 v[6:7], v[10:11], v[4:5]
	v_fma_f64 v[8:9], -v[6:7], v[6:7], v[0:1]
	v_fmac_f64_e32 v[6:7], v[8:9], v[4:5]
	v_mov_b32_e32 v4, 0xffffff80
	v_cndmask_b32_e32 v4, 0, v4, vcc
	v_ldexp_f64 v[4:5], v[6:7], v4
	v_mov_b32_e32 v6, 0x260
	v_cmp_class_f64_e32 vcc, v[0:1], v6
	s_nop 1
	v_cndmask_b32_e32 v1, v5, v1, vcc
	v_cndmask_b32_e32 v0, v4, v0, vcc
	v_div_scale_f64 v[4:5], s[0:1], v[0:1], v[0:1], v[2:3]
	v_rcp_f64_e32 v[6:7], v[4:5]
	s_nop 0
	v_fma_f64 v[8:9], -v[4:5], v[6:7], 1.0
	v_fmac_f64_e32 v[6:7], v[6:7], v[8:9]
	v_fma_f64 v[8:9], -v[4:5], v[6:7], 1.0
	v_fmac_f64_e32 v[6:7], v[6:7], v[8:9]
	v_div_scale_f64 v[8:9], vcc, v[2:3], v[0:1], v[2:3]
	v_mul_f64 v[10:11], v[8:9], v[6:7]
	v_fma_f64 v[4:5], -v[4:5], v[10:11], v[8:9]
	s_nop 1
	v_div_fmas_f64 v[4:5], v[4:5], v[6:7], v[10:11]
	v_div_fixup_f64 v[0:1], v[4:5], v[0:1], v[2:3]
.LBB9_130:
	s_or_b64 exec, exec, s[4:5]
	s_or_b64 exec, exec, s[2:3]
	s_setpc_b64 s[30:31]
.LBB9_131:
	s_or_saveexec_b64 s[18:19], s[18:19]
	v_mov_b64_e32 v[4:5], s[16:17]
	s_xor_b64 exec, exec, s[18:19]
	s_cbranch_execz .LBB9_30
.LBB9_132:
	v_cmp_ne_u16_e32 vcc, 0, v2
	s_andn2_b64 s[14:15], s[14:15], exec
	s_and_b64 s[16:17], vcc, exec
	v_mov_b64_e32 v[4:5], 0
	s_or_b64 s[14:15], s[14:15], s[16:17]
	s_or_b64 exec, exec, s[18:19]
	s_and_saveexec_b64 s[16:17], s[14:15]
	s_cbranch_execnz .LBB9_31
	s_branch .LBB9_32
.LBB9_133:
	s_or_saveexec_b64 s[18:19], s[18:19]
	v_mov_b64_e32 v[4:5], s[16:17]
	s_xor_b64 exec, exec, s[18:19]
	s_cbranch_execz .LBB9_104
.LBB9_134:
	v_cmp_ne_u16_e32 vcc, 0, v2
	s_andn2_b64 s[14:15], s[14:15], exec
	s_and_b64 s[16:17], vcc, exec
	v_mov_b64_e32 v[4:5], 0
	s_or_b64 s[14:15], s[14:15], s[16:17]
	s_or_b64 exec, exec, s[18:19]
	s_and_saveexec_b64 s[16:17], s[14:15]
	s_cbranch_execnz .LBB9_105
	s_branch .LBB9_106
.Lfunc_end9:
	.size	_ZN2at6native6invokeIZZZNS0_12_GLOBAL__N_121bessel_y0_kernel_cudaERNS_18TensorIteratorBaseEENKUlvE_clEvENKUlvE_clEvEUldE_i15function_traitsIS7_EEENT1_11result_typeERKT_PrKPcPKT0_PKN3c1010ScalarTypeEi, .Lfunc_end9-_ZN2at6native6invokeIZZZNS0_12_GLOBAL__N_121bessel_y0_kernel_cudaERNS_18TensorIteratorBaseEENKUlvE_clEvENKUlvE_clEvEUldE_i15function_traitsIS7_EEENT1_11result_typeERKT_PrKPcPKT0_PKN3c1010ScalarTypeEi
                                        ; -- End function
	.section	.AMDGPU.csdata,"",@progbits
; Function info:
; codeLenInByte = 7712
; NumSgprs: 38
; NumVgprs: 34
; NumAgprs: 0
; TotalNumVgprs: 34
; ScratchSize: 0
; MemoryBound: 1
	.section	.text._ZN2at6native32elementwise_kernel_manual_unrollILi128ELi4EZNS0_15gpu_kernel_implIZZZNS0_12_GLOBAL__N_121bessel_y0_kernel_cudaERNS_18TensorIteratorBaseEENKUlvE_clEvENKUlvE_clEvEUldE_EEvS5_RKT_EUlibE_EEviT1_,"axG",@progbits,_ZN2at6native32elementwise_kernel_manual_unrollILi128ELi4EZNS0_15gpu_kernel_implIZZZNS0_12_GLOBAL__N_121bessel_y0_kernel_cudaERNS_18TensorIteratorBaseEENKUlvE_clEvENKUlvE_clEvEUldE_EEvS5_RKT_EUlibE_EEviT1_,comdat
	.globl	_ZN2at6native32elementwise_kernel_manual_unrollILi128ELi4EZNS0_15gpu_kernel_implIZZZNS0_12_GLOBAL__N_121bessel_y0_kernel_cudaERNS_18TensorIteratorBaseEENKUlvE_clEvENKUlvE_clEvEUldE_EEvS5_RKT_EUlibE_EEviT1_ ; -- Begin function _ZN2at6native32elementwise_kernel_manual_unrollILi128ELi4EZNS0_15gpu_kernel_implIZZZNS0_12_GLOBAL__N_121bessel_y0_kernel_cudaERNS_18TensorIteratorBaseEENKUlvE_clEvENKUlvE_clEvEUldE_EEvS5_RKT_EUlibE_EEviT1_
	.p2align	8
	.type	_ZN2at6native32elementwise_kernel_manual_unrollILi128ELi4EZNS0_15gpu_kernel_implIZZZNS0_12_GLOBAL__N_121bessel_y0_kernel_cudaERNS_18TensorIteratorBaseEENKUlvE_clEvENKUlvE_clEvEUldE_EEvS5_RKT_EUlibE_EEviT1_,@function
_ZN2at6native32elementwise_kernel_manual_unrollILi128ELi4EZNS0_15gpu_kernel_implIZZZNS0_12_GLOBAL__N_121bessel_y0_kernel_cudaERNS_18TensorIteratorBaseEENKUlvE_clEvENKUlvE_clEvEUldE_EEvS5_RKT_EUlibE_EEviT1_: ; @_ZN2at6native32elementwise_kernel_manual_unrollILi128ELi4EZNS0_15gpu_kernel_implIZZZNS0_12_GLOBAL__N_121bessel_y0_kernel_cudaERNS_18TensorIteratorBaseEENKUlvE_clEvENKUlvE_clEvEUldE_EEvS5_RKT_EUlibE_EEviT1_
; %bb.0:
	v_mov_b32_e32 v1, 0
	global_load_ushort v43, v1, s[0:1] offset:33
	s_load_dwordx4 s[36:39], s[0:1], 0x8
	s_load_dwordx2 s[34:35], s[0:1], 0x18
	s_load_dword s33, s[0:1], 0x0
	v_lshl_or_b32 v40, s2, 9, v0
	v_or_b32_e32 v42, 0x180, v40
	s_mov_b64 s[40:41], 0
	s_mov_b64 s[44:45], 0
	s_waitcnt lgkmcnt(0)
	v_cmp_le_i32_e32 vcc, s33, v42
	s_mov_b32 s32, 0
	s_waitcnt vmcnt(0)
	v_lshrrev_b16_e32 v41, 8, v43
	s_and_saveexec_b64 s[0:1], vcc
	s_xor_b64 s[42:43], exec, s[0:1]
	s_cbranch_execz .LBB10_512
; %bb.1:
	v_cmp_gt_i32_e32 vcc, s33, v40
	s_mov_b64 s[0:1], -1
	s_mov_b64 s[50:51], 0
	s_and_saveexec_b64 s[46:47], vcc
                                        ; implicit-def: $vgpr2_vgpr3
	s_cbranch_execz .LBB10_124
; %bb.2:
	v_mov_b32_e32 v0, s38
	v_mov_b32_e32 v1, s39
	;; [unrolled: 1-line block ×5, first 2 shown]
	s_getpc_b64 s[0:1]
	s_add_u32 s0, s0, _ZN2at6native6invokeIZZZNS0_12_GLOBAL__N_121bessel_y0_kernel_cudaERNS_18TensorIteratorBaseEENKUlvE_clEvENKUlvE_clEvEUldE_i15function_traitsIS7_EEENT1_11result_typeERKT_PrKPcPKT0_PKN3c1010ScalarTypeEi@rel32@lo+4
	s_addc_u32 s1, s1, _ZN2at6native6invokeIZZZNS0_12_GLOBAL__N_121bessel_y0_kernel_cudaERNS_18TensorIteratorBaseEENKUlvE_clEvENKUlvE_clEvEUldE_i15function_traitsIS7_EEENT1_11result_typeERKT_PrKPcPKT0_PKN3c1010ScalarTypeEi@rel32@hi+12
	s_swappc_b64 s[30:31], s[0:1]
	v_mul_lo_u32 v2, v40, s34
	v_ashrrev_i32_e32 v3, 31, v2
	v_lshl_add_u64 v[4:5], s[36:37], 0, v[2:3]
	v_mov_b32_e32 v2, 11
	v_cmp_lt_i16_sdwa s[0:1], v43, v2 src0_sel:BYTE_0 src1_sel:DWORD
	s_and_b64 vcc, exec, s[0:1]
	s_cbranch_vccnz .LBB10_9
; %bb.3:
	v_mov_b32_e32 v2, 25
	v_cmp_gt_i16_sdwa s[0:1], v43, v2 src0_sel:BYTE_0 src1_sel:DWORD
	s_and_b64 vcc, exec, s[0:1]
	s_cbranch_vccz .LBB10_12
; %bb.4:
	v_mov_b32_e32 v2, 28
	v_cmp_gt_i16_sdwa s[0:1], v43, v2 src0_sel:BYTE_0 src1_sel:DWORD
	s_and_b64 vcc, exec, s[0:1]
	s_cbranch_vccz .LBB10_13
	;; [unrolled: 5-line block ×4, first 2 shown]
; %bb.7:
	v_mov_b32_e32 v2, 46
	v_cmp_eq_u16_sdwa s[2:3], v43, v2 src0_sel:BYTE_0 src1_sel:DWORD
	s_mov_b64 s[4:5], 0
	s_mov_b64 s[0:1], -1
	s_and_b64 vcc, exec, s[2:3]
	s_mov_b64 s[2:3], 0
	s_cbranch_vccz .LBB10_16
; %bb.8:
	v_cvt_f32_f64_e32 v2, v[0:1]
	v_bfe_u32 v3, v2, 16, 1
	s_movk_i32 s0, 0x7fff
	v_add3_u32 v3, v2, v3, s0
	v_lshrrev_b32_e32 v3, 16, v3
	v_mov_b32_e32 v6, 0x7fc0
	v_cmp_o_f32_e32 vcc, v2, v2
	s_mov_b64 s[2:3], -1
	s_mov_b64 s[0:1], 0
	v_cndmask_b32_e32 v2, v6, v3, vcc
	global_store_dword v[4:5], v2, off
	s_branch .LBB10_16
.LBB10_9:
	s_mov_b64 s[0:1], 0
	s_mov_b64 s[2:3], 0
	s_cbranch_execnz .LBB10_84
.LBB10_10:
	s_andn2_b64 vcc, exec, s[2:3]
	s_cbranch_vccnz .LBB10_122
.LBB10_11:
	v_add_u32_e32 v40, 0x80, v40
	s_mov_b64 s[2:3], -1
	s_branch .LBB10_123
.LBB10_12:
	s_mov_b64 s[0:1], 0
	s_mov_b64 s[2:3], 0
	s_cbranch_execnz .LBB10_43
	s_branch .LBB10_83
.LBB10_13:
	s_mov_b64 s[4:5], -1
	s_mov_b64 s[0:1], 0
	s_mov_b64 s[2:3], 0
	s_branch .LBB10_26
.LBB10_14:
	s_mov_b64 s[4:5], -1
	s_mov_b64 s[0:1], 0
	s_mov_b64 s[2:3], 0
	s_branch .LBB10_22
.LBB10_15:
	s_mov_b64 s[4:5], -1
	s_mov_b64 s[0:1], 0
	s_mov_b64 s[2:3], 0
.LBB10_16:
	s_and_b64 vcc, exec, s[4:5]
	s_cbranch_vccz .LBB10_21
; %bb.17:
	v_mov_b32_e32 v2, 44
	v_cmp_eq_u16_sdwa s[4:5], v43, v2 src0_sel:BYTE_0 src1_sel:DWORD
	s_mov_b64 s[0:1], -1
	s_and_b64 vcc, exec, s[4:5]
	s_cbranch_vccz .LBB10_21
; %bb.18:
	v_cvt_f32_f64_e32 v2, v[0:1]
	v_bfe_u32 v3, v2, 23, 8
	s_movk_i32 s0, 0xff
	v_cmp_ne_u32_e32 vcc, s0, v3
	v_mov_b32_e32 v6, 0xff
	s_and_saveexec_b64 s[2:3], vcc
; %bb.19:
	s_mov_b32 s0, 0x3fffff
	v_lshrrev_b32_e32 v6, 23, v2
	v_and_b32_e32 v7, 0x400000, v2
	v_and_or_b32 v2, v2, s0, v3
	v_cmp_ne_u32_e32 vcc, 0, v7
	v_cmp_ne_u32_e64 s[0:1], 0, v2
	s_and_b64 s[0:1], vcc, s[0:1]
	s_nop 0
	v_cndmask_b32_e64 v2, 0, 1, s[0:1]
	v_add_u32_e32 v6, v6, v2
; %bb.20:
	s_or_b64 exec, exec, s[2:3]
	s_mov_b64 s[2:3], -1
	s_mov_b64 s[0:1], 0
	global_store_byte v[4:5], v6, off
.LBB10_21:
	s_mov_b64 s[4:5], 0
.LBB10_22:
	s_and_b64 vcc, exec, s[4:5]
	s_cbranch_vccz .LBB10_25
; %bb.23:
	v_mov_b32_e32 v2, 29
	v_cmp_eq_u16_sdwa s[4:5], v43, v2 src0_sel:BYTE_0 src1_sel:DWORD
	s_mov_b64 s[0:1], -1
	s_and_b64 vcc, exec, s[4:5]
	s_cbranch_vccz .LBB10_25
; %bb.24:
	v_trunc_f64_e32 v[2:3], v[0:1]
	s_movk_i32 s0, 0xffe0
	v_ldexp_f64 v[6:7], v[2:3], s0
	v_floor_f64_e32 v[6:7], v[6:7]
	v_fmac_f64_e32 v[2:3], 0xc1f00000, v[6:7]
	v_cvt_u32_f64_e32 v9, v[6:7]
	v_cvt_u32_f64_e32 v8, v[2:3]
	global_store_dwordx2 v[4:5], v[8:9], off
	s_mov_b64 s[2:3], -1
	s_mov_b64 s[0:1], 0
.LBB10_25:
	s_mov_b64 s[4:5], 0
.LBB10_26:
	s_and_b64 vcc, exec, s[4:5]
	s_cbranch_vccz .LBB10_42
; %bb.27:
	v_mov_b32_e32 v2, 27
	v_cmp_lt_i16_sdwa s[4:5], v43, v2 src0_sel:BYTE_0 src1_sel:DWORD
	s_mov_b64 s[2:3], -1
	s_and_b64 vcc, exec, s[4:5]
	s_cbranch_vccnz .LBB10_33
; %bb.28:
	v_cmp_gt_i16_sdwa s[4:5], v43, v2 src0_sel:BYTE_0 src1_sel:DWORD
	s_and_b64 vcc, exec, s[4:5]
	v_cvt_u32_f64_e32 v2, v[0:1]
	s_cbranch_vccz .LBB10_30
; %bb.29:
	s_mov_b64 s[2:3], 0
	global_store_dword v[4:5], v2, off
.LBB10_30:
	s_andn2_b64 vcc, exec, s[2:3]
	s_cbranch_vccnz .LBB10_32
; %bb.31:
	global_store_short v[4:5], v2, off
.LBB10_32:
	s_mov_b64 s[2:3], 0
.LBB10_33:
	s_andn2_b64 vcc, exec, s[2:3]
	s_cbranch_vccnz .LBB10_41
; %bb.34:
	v_cvt_f32_f64_e32 v2, v[0:1]
	v_and_b32_e32 v3, 0x7fffffff, v2
	s_mov_b32 s2, 0x43800000
	v_cmp_gt_u32_e32 vcc, s2, v3
	v_mov_b32_e32 v6, 0x80
	s_and_saveexec_b64 s[2:3], vcc
	s_cbranch_execz .LBB10_40
; %bb.35:
	s_mov_b32 s4, 0x3bffffff
	v_cmp_lt_u32_e32 vcc, s4, v3
	s_mov_b64 s[4:5], 0
                                        ; implicit-def: $vgpr3
	s_and_saveexec_b64 s[6:7], vcc
	s_xor_b64 s[6:7], exec, s[6:7]
	s_cbranch_execz .LBB10_141
; %bb.36:
	v_bfe_u32 v3, v2, 20, 1
	s_mov_b32 s8, 0x487ffff
	v_add3_u32 v3, v2, v3, s8
	s_mov_b64 s[4:5], exec
	v_lshrrev_b32_e32 v3, 20, v3
	s_or_saveexec_b64 s[6:7], s[6:7]
                                        ; implicit-def: $sgpr8
	s_xor_b64 exec, exec, s[6:7]
	s_cbranch_execnz .LBB10_142
.LBB10_37:
	s_or_b64 exec, exec, s[6:7]
	v_mov_b32_e32 v6, s8
	s_and_saveexec_b64 s[6:7], s[4:5]
.LBB10_38:
	v_lshrrev_b32_e32 v2, 24, v2
	s_movk_i32 s4, 0x80
	v_and_or_b32 v6, v2, s4, v3
.LBB10_39:
	s_or_b64 exec, exec, s[6:7]
.LBB10_40:
	s_or_b64 exec, exec, s[2:3]
	global_store_byte v[4:5], v6, off
.LBB10_41:
	s_mov_b64 s[2:3], -1
.LBB10_42:
	s_branch .LBB10_83
.LBB10_43:
	v_mov_b32_e32 v2, 22
	v_cmp_gt_i16_sdwa s[6:7], v43, v2 src0_sel:BYTE_0 src1_sel:DWORD
	s_mov_b64 s[4:5], -1
	s_and_b64 vcc, exec, s[6:7]
	s_cbranch_vccz .LBB10_75
; %bb.44:
	v_mov_b32_e32 v2, 24
	v_cmp_lt_i16_sdwa s[4:5], v43, v2 src0_sel:BYTE_0 src1_sel:DWORD
	s_mov_b64 s[2:3], -1
	s_and_b64 vcc, exec, s[4:5]
	s_cbranch_vccnz .LBB10_64
; %bb.45:
	v_cmp_gt_i16_sdwa s[4:5], v43, v2 src0_sel:BYTE_0 src1_sel:DWORD
	s_and_b64 vcc, exec, s[4:5]
	s_cbranch_vccz .LBB10_53
; %bb.46:
	v_cvt_f32_f64_e32 v2, v[0:1]
	v_and_b32_e32 v3, 0x7fffffff, v2
	s_mov_b32 s2, 0x47800000
	v_cmp_gt_u32_e32 vcc, s2, v3
	v_mov_b32_e32 v6, 0x80
	s_and_saveexec_b64 s[2:3], vcc
	s_cbranch_execz .LBB10_52
; %bb.47:
	s_mov_b32 s4, 0x37ffffff
	v_cmp_lt_u32_e32 vcc, s4, v3
	s_mov_b64 s[4:5], 0
                                        ; implicit-def: $vgpr3
	s_and_saveexec_b64 s[6:7], vcc
	s_xor_b64 s[6:7], exec, s[6:7]
	s_cbranch_execz .LBB10_144
; %bb.48:
	v_bfe_u32 v3, v2, 21, 1
	s_mov_b32 s8, 0x88fffff
	v_add3_u32 v3, v2, v3, s8
	s_mov_b64 s[4:5], exec
	v_lshrrev_b32_e32 v3, 21, v3
	s_or_saveexec_b64 s[6:7], s[6:7]
                                        ; implicit-def: $sgpr8
	s_xor_b64 exec, exec, s[6:7]
	s_cbranch_execnz .LBB10_145
.LBB10_49:
	s_or_b64 exec, exec, s[6:7]
	v_mov_b32_e32 v6, s8
	s_and_saveexec_b64 s[6:7], s[4:5]
.LBB10_50:
	v_lshrrev_b32_e32 v2, 24, v2
	s_movk_i32 s4, 0x80
	v_and_or_b32 v6, v2, s4, v3
.LBB10_51:
	s_or_b64 exec, exec, s[6:7]
.LBB10_52:
	s_or_b64 exec, exec, s[2:3]
	s_mov_b64 s[2:3], 0
	global_store_byte v[4:5], v6, off
.LBB10_53:
	s_and_b64 vcc, exec, s[2:3]
	s_cbranch_vccz .LBB10_63
; %bb.54:
	v_cvt_f32_f64_e32 v2, v[0:1]
	v_and_b32_e32 v6, 0x7fffffff, v2
	s_mov_b32 s2, 0x43f00000
	v_cmp_gt_u32_e32 vcc, s2, v6
                                        ; implicit-def: $vgpr3
	s_and_saveexec_b64 s[2:3], vcc
	s_xor_b64 s[2:3], exec, s[2:3]
	s_cbranch_execz .LBB10_60
; %bb.55:
	s_mov_b32 s4, 0x3c7fffff
	v_cmp_lt_u32_e32 vcc, s4, v6
                                        ; implicit-def: $vgpr3
	s_and_saveexec_b64 s[4:5], vcc
	s_xor_b64 s[4:5], exec, s[4:5]
; %bb.56:
	v_bfe_u32 v3, v2, 20, 1
	s_mov_b32 s6, 0x407ffff
	v_add3_u32 v3, v2, v3, s6
	v_lshrrev_b32_e32 v6, 20, v3
	v_and_b32_e32 v3, 0xff00000, v3
	s_mov_b32 s6, 0x7f00000
	v_mov_b32_e32 v7, 0x7e
	v_cmp_ne_u32_e32 vcc, s6, v3
	s_nop 1
	v_cndmask_b32_e32 v3, v7, v6, vcc
; %bb.57:
	s_andn2_saveexec_b64 s[4:5], s[4:5]
; %bb.58:
	s_mov_b32 s6, 0x46800000
	v_add_f32_e64 v3, |v2|, s6
; %bb.59:
	s_or_b64 exec, exec, s[4:5]
                                        ; implicit-def: $vgpr6
.LBB10_60:
	s_andn2_saveexec_b64 s[2:3], s[2:3]
; %bb.61:
	s_mov_b32 s4, 0x7f800000
	v_mov_b32_e32 v3, 0x7e
	v_mov_b32_e32 v7, 0x7f
	v_cmp_lt_u32_e32 vcc, s4, v6
	s_nop 1
	v_cndmask_b32_e32 v3, v3, v7, vcc
; %bb.62:
	s_or_b64 exec, exec, s[2:3]
	v_lshrrev_b32_e32 v2, 24, v2
	s_movk_i32 s2, 0x80
	v_and_or_b32 v2, v2, s2, v3
	global_store_byte v[4:5], v2, off
.LBB10_63:
	s_mov_b64 s[2:3], 0
.LBB10_64:
	s_andn2_b64 vcc, exec, s[2:3]
	s_cbranch_vccnz .LBB10_74
; %bb.65:
	v_cvt_f32_f64_e32 v2, v[0:1]
	v_and_b32_e32 v6, 0x7fffffff, v2
	s_mov_b32 s2, 0x47800000
	v_cmp_gt_u32_e32 vcc, s2, v6
                                        ; implicit-def: $vgpr3
	s_and_saveexec_b64 s[2:3], vcc
	s_xor_b64 s[2:3], exec, s[2:3]
	s_cbranch_execz .LBB10_71
; %bb.66:
	s_mov_b32 s4, 0x387fffff
	v_cmp_lt_u32_e32 vcc, s4, v6
                                        ; implicit-def: $vgpr3
	s_and_saveexec_b64 s[4:5], vcc
	s_xor_b64 s[4:5], exec, s[4:5]
; %bb.67:
	v_bfe_u32 v3, v2, 21, 1
	s_mov_b32 s6, 0x80fffff
	v_add3_u32 v3, v2, v3, s6
	v_lshrrev_b32_e32 v3, 21, v3
; %bb.68:
	s_andn2_saveexec_b64 s[4:5], s[4:5]
; %bb.69:
	s_mov_b32 s6, 0x43000000
	v_add_f32_e64 v3, |v2|, s6
; %bb.70:
	s_or_b64 exec, exec, s[4:5]
                                        ; implicit-def: $vgpr6
.LBB10_71:
	s_andn2_saveexec_b64 s[2:3], s[2:3]
; %bb.72:
	s_mov_b32 s4, 0x7f800000
	v_mov_b32_e32 v3, 0x7c
	v_mov_b32_e32 v7, 0x7f
	v_cmp_lt_u32_e32 vcc, s4, v6
	s_nop 1
	v_cndmask_b32_e32 v3, v3, v7, vcc
; %bb.73:
	s_or_b64 exec, exec, s[2:3]
	v_lshrrev_b32_e32 v2, 24, v2
	s_movk_i32 s2, 0x80
	v_and_or_b32 v2, v2, s2, v3
	global_store_byte v[4:5], v2, off
.LBB10_74:
	s_mov_b64 s[4:5], 0
	s_mov_b64 s[2:3], -1
.LBB10_75:
	s_andn2_b64 vcc, exec, s[4:5]
	s_cbranch_vccnz .LBB10_83
; %bb.76:
	v_mov_b32_e32 v2, 14
	v_cmp_gt_i16_sdwa s[6:7], v43, v2 src0_sel:BYTE_0 src1_sel:DWORD
	s_mov_b64 s[4:5], -1
	s_and_b64 vcc, exec, s[6:7]
	s_cbranch_vccz .LBB10_80
; %bb.77:
	v_mov_b32_e32 v2, 15
	v_cmp_eq_u16_sdwa s[4:5], v43, v2 src0_sel:BYTE_0 src1_sel:DWORD
	s_mov_b64 s[0:1], -1
	s_and_b64 vcc, exec, s[4:5]
	s_cbranch_vccz .LBB10_79
; %bb.78:
	v_cvt_f32_f64_e32 v2, v[0:1]
	v_bfe_u32 v3, v2, 16, 1
	s_movk_i32 s0, 0x7fff
	v_add3_u32 v3, v2, v3, s0
	v_lshrrev_b32_e32 v3, 16, v3
	v_mov_b32_e32 v6, 0x7fc0
	v_cmp_o_f32_e32 vcc, v2, v2
	s_mov_b64 s[2:3], -1
	s_mov_b64 s[0:1], 0
	v_cndmask_b32_e32 v2, v6, v3, vcc
	global_store_short v[4:5], v2, off
.LBB10_79:
	s_mov_b64 s[4:5], 0
.LBB10_80:
	s_and_b64 vcc, exec, s[4:5]
	s_cbranch_vccz .LBB10_83
; %bb.81:
	v_mov_b32_e32 v2, 11
	v_cmp_eq_u16_sdwa s[4:5], v43, v2 src0_sel:BYTE_0 src1_sel:DWORD
	s_mov_b64 s[0:1], -1
	s_and_b64 vcc, exec, s[4:5]
	s_cbranch_vccz .LBB10_83
; %bb.82:
	v_cmp_neq_f64_e32 vcc, 0, v[0:1]
	s_mov_b64 s[0:1], 0
	s_mov_b64 s[2:3], -1
	v_cndmask_b32_e64 v2, 0, 1, vcc
	global_store_byte v[4:5], v2, off
.LBB10_83:
	s_branch .LBB10_10
.LBB10_84:
	v_mov_b32_e32 v2, 5
	v_cmp_lt_i16_sdwa s[4:5], v43, v2 src0_sel:BYTE_0 src1_sel:DWORD
	s_mov_b64 s[2:3], -1
	s_and_b64 vcc, exec, s[4:5]
	s_cbranch_vccnz .LBB10_105
; %bb.85:
	v_mov_b32_e32 v2, 8
	v_cmp_lt_i16_sdwa s[4:5], v43, v2 src0_sel:BYTE_0 src1_sel:DWORD
	s_and_b64 vcc, exec, s[4:5]
	s_cbranch_vccnz .LBB10_95
; %bb.86:
	v_mov_b32_e32 v2, 9
	v_cmp_lt_i16_sdwa s[4:5], v43, v2 src0_sel:BYTE_0 src1_sel:DWORD
	s_and_b64 vcc, exec, s[4:5]
	s_cbranch_vccnz .LBB10_92
; %bb.87:
	v_cmp_gt_i16_sdwa s[4:5], v43, v2 src0_sel:BYTE_0 src1_sel:DWORD
	s_and_b64 vcc, exec, s[4:5]
	s_cbranch_vccz .LBB10_89
; %bb.88:
	v_mov_b32_e32 v2, 0
	v_mov_b32_e32 v3, v2
	global_store_dwordx4 v[4:5], v[0:3], off
	s_mov_b64 s[2:3], 0
.LBB10_89:
	s_andn2_b64 vcc, exec, s[2:3]
	s_cbranch_vccnz .LBB10_91
; %bb.90:
	v_cvt_f32_f64_e32 v2, v[0:1]
	v_mov_b32_e32 v3, 0
	global_store_dwordx2 v[4:5], v[2:3], off
.LBB10_91:
	s_mov_b64 s[2:3], 0
.LBB10_92:
	s_andn2_b64 vcc, exec, s[2:3]
	s_cbranch_vccnz .LBB10_94
; %bb.93:
	v_cvt_f32_f64_e32 v2, v[0:1]
	v_cvt_f16_f32_e32 v2, v2
	global_store_dword v[4:5], v2, off
.LBB10_94:
	s_mov_b64 s[2:3], 0
.LBB10_95:
	s_andn2_b64 vcc, exec, s[2:3]
	s_cbranch_vccnz .LBB10_104
; %bb.96:
	v_mov_b32_e32 v2, 6
	v_cmp_lt_i16_sdwa s[4:5], v43, v2 src0_sel:BYTE_0 src1_sel:DWORD
	s_mov_b64 s[2:3], -1
	s_and_b64 vcc, exec, s[4:5]
	s_cbranch_vccnz .LBB10_102
; %bb.97:
	v_cmp_gt_i16_sdwa s[4:5], v43, v2 src0_sel:BYTE_0 src1_sel:DWORD
	s_and_b64 vcc, exec, s[4:5]
	s_cbranch_vccz .LBB10_99
; %bb.98:
	global_store_dwordx2 v[4:5], v[0:1], off
	s_mov_b64 s[2:3], 0
.LBB10_99:
	s_andn2_b64 vcc, exec, s[2:3]
	s_cbranch_vccnz .LBB10_101
; %bb.100:
	v_cvt_f32_f64_e32 v2, v[0:1]
	global_store_dword v[4:5], v2, off
.LBB10_101:
	s_mov_b64 s[2:3], 0
.LBB10_102:
	s_andn2_b64 vcc, exec, s[2:3]
	s_cbranch_vccnz .LBB10_104
; %bb.103:
	v_cvt_f32_f64_e32 v2, v[0:1]
	v_cvt_f16_f32_e32 v2, v2
	global_store_short v[4:5], v2, off
.LBB10_104:
	s_mov_b64 s[2:3], 0
.LBB10_105:
	s_andn2_b64 vcc, exec, s[2:3]
	s_cbranch_vccnz .LBB10_121
; %bb.106:
	v_mov_b32_e32 v2, 2
	v_cmp_lt_i16_sdwa s[4:5], v43, v2 src0_sel:BYTE_0 src1_sel:DWORD
	s_mov_b64 s[2:3], -1
	s_and_b64 vcc, exec, s[4:5]
	s_cbranch_vccnz .LBB10_116
; %bb.107:
	v_mov_b32_e32 v2, 3
	v_cmp_lt_i16_sdwa s[4:5], v43, v2 src0_sel:BYTE_0 src1_sel:DWORD
	s_and_b64 vcc, exec, s[4:5]
	s_cbranch_vccnz .LBB10_113
; %bb.108:
	v_cmp_gt_i16_sdwa s[4:5], v43, v2 src0_sel:BYTE_0 src1_sel:DWORD
	s_and_b64 vcc, exec, s[4:5]
	s_cbranch_vccz .LBB10_110
; %bb.109:
	v_trunc_f64_e32 v[2:3], v[0:1]
	s_movk_i32 s2, 0xffe0
	v_ldexp_f64 v[6:7], v[2:3], s2
	v_floor_f64_e32 v[6:7], v[6:7]
	v_fmac_f64_e32 v[2:3], 0xc1f00000, v[6:7]
	v_cvt_i32_f64_e32 v9, v[6:7]
	v_cvt_u32_f64_e32 v8, v[2:3]
	global_store_dwordx2 v[4:5], v[8:9], off
	s_mov_b64 s[2:3], 0
.LBB10_110:
	s_andn2_b64 vcc, exec, s[2:3]
	s_cbranch_vccnz .LBB10_112
; %bb.111:
	v_cvt_i32_f64_e32 v2, v[0:1]
	global_store_dword v[4:5], v2, off
.LBB10_112:
	s_mov_b64 s[2:3], 0
.LBB10_113:
	s_andn2_b64 vcc, exec, s[2:3]
	s_cbranch_vccnz .LBB10_115
; %bb.114:
	v_cvt_i32_f64_e32 v2, v[0:1]
	global_store_short v[4:5], v2, off
.LBB10_115:
	s_mov_b64 s[2:3], 0
.LBB10_116:
	s_andn2_b64 vcc, exec, s[2:3]
	s_cbranch_vccnz .LBB10_121
; %bb.117:
	v_mov_b32_e32 v2, 0
	v_cmp_gt_i16_sdwa s[4:5], v43, v2 src0_sel:BYTE_0 src1_sel:DWORD
	s_mov_b64 s[2:3], -1
	s_and_b64 vcc, exec, s[4:5]
	s_cbranch_vccz .LBB10_119
; %bb.118:
	v_cvt_i32_f64_e32 v2, v[0:1]
	global_store_byte v[4:5], v2, off
	s_mov_b64 s[2:3], 0
.LBB10_119:
	s_andn2_b64 vcc, exec, s[2:3]
	s_cbranch_vccnz .LBB10_121
; %bb.120:
	v_trunc_f64_e32 v[0:1], v[0:1]
	s_movk_i32 s2, 0xffe0
	v_ldexp_f64 v[2:3], v[0:1], s2
	v_floor_f64_e32 v[2:3], v[2:3]
	v_fmac_f64_e32 v[0:1], 0xc1f00000, v[2:3]
	v_cvt_u32_f64_e32 v0, v[0:1]
	global_store_byte v[4:5], v0, off
.LBB10_121:
	s_branch .LBB10_11
.LBB10_122:
	s_mov_b64 s[2:3], 0
                                        ; implicit-def: $vgpr40
.LBB10_123:
	s_and_b64 s[44:45], s[0:1], exec
	s_orn2_b64 s[0:1], s[2:3], exec
.LBB10_124:
	s_or_b64 exec, exec, s[46:47]
	s_mov_b64 s[2:3], 0
                                        ; implicit-def: $vgpr6
                                        ; implicit-def: $vgpr4_vgpr5
                                        ; implicit-def: $vgpr0_vgpr1
	s_and_saveexec_b64 s[46:47], s[0:1]
	s_cbranch_execz .LBB10_133
; %bb.125:
	v_cmp_gt_i32_e32 vcc, s33, v40
	s_mov_b64 s[4:5], -1
	s_mov_b64 s[48:49], s[44:45]
	s_and_saveexec_b64 s[50:51], vcc
	s_cbranch_execz .LBB10_256
; %bb.126:
	v_mov_b32_e32 v0, s38
	v_mov_b32_e32 v1, s39
	;; [unrolled: 1-line block ×5, first 2 shown]
	s_getpc_b64 s[0:1]
	s_add_u32 s0, s0, _ZN2at6native6invokeIZZZNS0_12_GLOBAL__N_121bessel_y0_kernel_cudaERNS_18TensorIteratorBaseEENKUlvE_clEvENKUlvE_clEvEUldE_i15function_traitsIS7_EEENT1_11result_typeERKT_PrKPcPKT0_PKN3c1010ScalarTypeEi@rel32@lo+4
	s_addc_u32 s1, s1, _ZN2at6native6invokeIZZZNS0_12_GLOBAL__N_121bessel_y0_kernel_cudaERNS_18TensorIteratorBaseEENKUlvE_clEvENKUlvE_clEvEUldE_i15function_traitsIS7_EEENT1_11result_typeERKT_PrKPcPKT0_PKN3c1010ScalarTypeEi@rel32@hi+12
	s_swappc_b64 s[30:31], s[0:1]
	v_mul_lo_u32 v2, v40, s34
	v_ashrrev_i32_e32 v3, 31, v2
	v_lshl_add_u64 v[4:5], s[36:37], 0, v[2:3]
	v_mov_b32_e32 v2, 11
	v_cmp_lt_i16_sdwa s[0:1], v43, v2 src0_sel:BYTE_0 src1_sel:DWORD
	s_and_b64 vcc, exec, s[0:1]
	s_cbranch_vccnz .LBB10_136
; %bb.127:
	v_mov_b32_e32 v2, 25
	v_cmp_gt_i16_sdwa s[0:1], v43, v2 src0_sel:BYTE_0 src1_sel:DWORD
	s_and_b64 vcc, exec, s[0:1]
	s_cbranch_vccz .LBB10_139
; %bb.128:
	v_mov_b32_e32 v2, 28
	v_cmp_gt_i16_sdwa s[0:1], v43, v2 src0_sel:BYTE_0 src1_sel:DWORD
	s_and_b64 vcc, exec, s[0:1]
	s_cbranch_vccz .LBB10_140
	;; [unrolled: 5-line block ×4, first 2 shown]
; %bb.131:
	v_mov_b32_e32 v2, 46
	v_cmp_eq_u16_sdwa s[2:3], v43, v2 src0_sel:BYTE_0 src1_sel:DWORD
	s_mov_b64 s[4:5], 0
	s_mov_b64 s[0:1], -1
	s_and_b64 vcc, exec, s[2:3]
	s_mov_b64 s[2:3], 0
	s_cbranch_vccz .LBB10_147
; %bb.132:
	v_cvt_f32_f64_e32 v2, v[0:1]
	v_bfe_u32 v3, v2, 16, 1
	s_movk_i32 s0, 0x7fff
	v_add3_u32 v3, v2, v3, s0
	v_lshrrev_b32_e32 v3, 16, v3
	v_mov_b32_e32 v6, 0x7fc0
	v_cmp_o_f32_e32 vcc, v2, v2
	s_mov_b64 s[2:3], -1
	s_mov_b64 s[0:1], 0
	v_cndmask_b32_e32 v2, v6, v3, vcc
	global_store_dword v[4:5], v2, off
	s_branch .LBB10_147
.LBB10_133:
	s_or_b64 exec, exec, s[46:47]
	s_mov_b64 s[0:1], 0
	s_and_saveexec_b64 s[4:5], s[44:45]
	s_cbranch_execnz .LBB10_472
.LBB10_134:
	s_or_b64 exec, exec, s[4:5]
	s_and_saveexec_b64 s[4:5], s[50:51]
	s_xor_b64 s[4:5], exec, s[4:5]
	s_cbranch_execz .LBB10_473
.LBB10_135:
	v_cmp_neq_f64_e32 vcc, 0, v[0:1]
	s_nop 1
	v_cndmask_b32_e64 v2, 0, 1, vcc
	global_store_byte v[4:5], v2, off
	s_or_b64 exec, exec, s[4:5]
	s_and_saveexec_b64 s[4:5], s[2:3]
	s_xor_b64 s[2:3], exec, s[4:5]
	s_cbranch_execz .LBB10_511
	s_branch .LBB10_474
.LBB10_136:
	s_mov_b64 s[2:3], 0
	s_mov_b64 s[0:1], s[44:45]
	s_cbranch_execnz .LBB10_216
.LBB10_137:
	s_andn2_b64 vcc, exec, s[2:3]
	s_cbranch_vccnz .LBB10_254
.LBB10_138:
	v_add_u32_e32 v40, 0x80, v40
	s_mov_b64 s[2:3], -1
	s_branch .LBB10_255
.LBB10_139:
	s_mov_b64 s[4:5], -1
	s_mov_b64 s[2:3], 0
	s_mov_b64 s[0:1], s[44:45]
	s_branch .LBB10_174
.LBB10_140:
	s_mov_b64 s[4:5], -1
	s_mov_b64 s[2:3], 0
	s_mov_b64 s[0:1], s[44:45]
	s_branch .LBB10_157
.LBB10_141:
	s_or_saveexec_b64 s[6:7], s[6:7]
                                        ; implicit-def: $sgpr8
	s_xor_b64 exec, exec, s[6:7]
	s_cbranch_execz .LBB10_37
.LBB10_142:
	s_mov_b32 s8, 0x46000000
	v_add_f32_e64 v3, |v2|, s8
	v_and_b32_e32 v3, 0xff, v3
	v_cmp_ne_u32_e32 vcc, 0, v3
	s_andn2_b64 s[4:5], s[4:5], exec
	s_and_b64 s[10:11], vcc, exec
	s_mov_b32 s8, 0
	s_or_b64 s[4:5], s[4:5], s[10:11]
	s_or_b64 exec, exec, s[6:7]
	v_mov_b32_e32 v6, s8
	s_and_saveexec_b64 s[6:7], s[4:5]
	s_cbranch_execnz .LBB10_38
	s_branch .LBB10_39
.LBB10_143:
	s_mov_b64 s[4:5], -1
	s_mov_b64 s[2:3], 0
	s_mov_b64 s[0:1], s[44:45]
	s_branch .LBB10_153
.LBB10_144:
	s_or_saveexec_b64 s[6:7], s[6:7]
                                        ; implicit-def: $sgpr8
	s_xor_b64 exec, exec, s[6:7]
	s_cbranch_execz .LBB10_49
.LBB10_145:
	s_mov_b32 s8, 0x42800000
	v_add_f32_e64 v3, |v2|, s8
	v_and_b32_e32 v3, 0xff, v3
	v_cmp_ne_u32_e32 vcc, 0, v3
	s_andn2_b64 s[4:5], s[4:5], exec
	s_and_b64 s[10:11], vcc, exec
	s_mov_b32 s8, 0
	s_or_b64 s[4:5], s[4:5], s[10:11]
	s_or_b64 exec, exec, s[6:7]
	v_mov_b32_e32 v6, s8
	s_and_saveexec_b64 s[6:7], s[4:5]
	s_cbranch_execnz .LBB10_50
	s_branch .LBB10_51
.LBB10_146:
	s_mov_b64 s[4:5], -1
	s_mov_b64 s[2:3], 0
	s_mov_b64 s[0:1], s[44:45]
.LBB10_147:
	s_and_b64 vcc, exec, s[4:5]
	s_cbranch_vccz .LBB10_152
; %bb.148:
	v_mov_b32_e32 v2, 44
	v_cmp_eq_u16_sdwa s[4:5], v43, v2 src0_sel:BYTE_0 src1_sel:DWORD
	s_mov_b64 s[0:1], -1
	s_and_b64 vcc, exec, s[4:5]
	s_cbranch_vccz .LBB10_152
; %bb.149:
	v_cvt_f32_f64_e32 v2, v[0:1]
	v_bfe_u32 v3, v2, 23, 8
	s_movk_i32 s0, 0xff
	v_cmp_ne_u32_e32 vcc, s0, v3
	v_mov_b32_e32 v6, 0xff
	s_and_saveexec_b64 s[2:3], vcc
; %bb.150:
	s_mov_b32 s0, 0x3fffff
	v_lshrrev_b32_e32 v6, 23, v2
	v_and_b32_e32 v7, 0x400000, v2
	v_and_or_b32 v2, v2, s0, v3
	v_cmp_ne_u32_e32 vcc, 0, v7
	v_cmp_ne_u32_e64 s[0:1], 0, v2
	s_and_b64 s[0:1], vcc, s[0:1]
	s_nop 0
	v_cndmask_b32_e64 v2, 0, 1, s[0:1]
	v_add_u32_e32 v6, v6, v2
; %bb.151:
	s_or_b64 exec, exec, s[2:3]
	s_mov_b64 s[2:3], -1
	s_mov_b64 s[0:1], 0
	global_store_byte v[4:5], v6, off
.LBB10_152:
	s_mov_b64 s[4:5], 0
.LBB10_153:
	s_and_b64 vcc, exec, s[4:5]
	s_cbranch_vccz .LBB10_156
; %bb.154:
	v_mov_b32_e32 v2, 29
	v_cmp_eq_u16_sdwa s[4:5], v43, v2 src0_sel:BYTE_0 src1_sel:DWORD
	s_mov_b64 s[0:1], -1
	s_and_b64 vcc, exec, s[4:5]
	s_cbranch_vccz .LBB10_156
; %bb.155:
	v_trunc_f64_e32 v[2:3], v[0:1]
	s_movk_i32 s0, 0xffe0
	v_ldexp_f64 v[6:7], v[2:3], s0
	v_floor_f64_e32 v[6:7], v[6:7]
	v_fmac_f64_e32 v[2:3], 0xc1f00000, v[6:7]
	v_cvt_u32_f64_e32 v9, v[6:7]
	v_cvt_u32_f64_e32 v8, v[2:3]
	global_store_dwordx2 v[4:5], v[8:9], off
	s_mov_b64 s[2:3], -1
	s_mov_b64 s[0:1], 0
.LBB10_156:
	s_mov_b64 s[4:5], 0
.LBB10_157:
	s_and_b64 vcc, exec, s[4:5]
	s_cbranch_vccz .LBB10_173
; %bb.158:
	v_mov_b32_e32 v2, 27
	v_cmp_lt_i16_sdwa s[4:5], v43, v2 src0_sel:BYTE_0 src1_sel:DWORD
	s_mov_b64 s[2:3], -1
	s_and_b64 vcc, exec, s[4:5]
	s_cbranch_vccnz .LBB10_164
; %bb.159:
	v_cmp_gt_i16_sdwa s[4:5], v43, v2 src0_sel:BYTE_0 src1_sel:DWORD
	s_and_b64 vcc, exec, s[4:5]
	v_cvt_u32_f64_e32 v2, v[0:1]
	s_cbranch_vccz .LBB10_161
; %bb.160:
	s_mov_b64 s[2:3], 0
	global_store_dword v[4:5], v2, off
.LBB10_161:
	s_andn2_b64 vcc, exec, s[2:3]
	s_cbranch_vccnz .LBB10_163
; %bb.162:
	global_store_short v[4:5], v2, off
.LBB10_163:
	s_mov_b64 s[2:3], 0
.LBB10_164:
	s_andn2_b64 vcc, exec, s[2:3]
	s_cbranch_vccnz .LBB10_172
; %bb.165:
	v_cvt_f32_f64_e32 v2, v[0:1]
	v_and_b32_e32 v3, 0x7fffffff, v2
	s_mov_b32 s2, 0x43800000
	v_cmp_gt_u32_e32 vcc, s2, v3
	v_mov_b32_e32 v6, 0x80
	s_and_saveexec_b64 s[2:3], vcc
	s_cbranch_execz .LBB10_171
; %bb.166:
	s_mov_b32 s4, 0x3bffffff
	v_cmp_lt_u32_e32 vcc, s4, v3
	s_mov_b64 s[4:5], 0
                                        ; implicit-def: $vgpr3
	s_and_saveexec_b64 s[6:7], vcc
	s_xor_b64 s[6:7], exec, s[6:7]
	s_cbranch_execz .LBB10_268
; %bb.167:
	v_bfe_u32 v3, v2, 20, 1
	s_mov_b32 s8, 0x487ffff
	v_add3_u32 v3, v2, v3, s8
	s_mov_b64 s[4:5], exec
	v_lshrrev_b32_e32 v3, 20, v3
	s_or_saveexec_b64 s[6:7], s[6:7]
                                        ; implicit-def: $sgpr8
	s_xor_b64 exec, exec, s[6:7]
	s_cbranch_execnz .LBB10_269
.LBB10_168:
	s_or_b64 exec, exec, s[6:7]
	v_mov_b32_e32 v6, s8
	s_and_saveexec_b64 s[6:7], s[4:5]
.LBB10_169:
	v_lshrrev_b32_e32 v2, 24, v2
	s_movk_i32 s4, 0x80
	v_and_or_b32 v6, v2, s4, v3
.LBB10_170:
	s_or_b64 exec, exec, s[6:7]
.LBB10_171:
	s_or_b64 exec, exec, s[2:3]
	global_store_byte v[4:5], v6, off
.LBB10_172:
	s_mov_b64 s[2:3], -1
.LBB10_173:
	s_mov_b64 s[4:5], 0
.LBB10_174:
	s_and_b64 vcc, exec, s[4:5]
	s_cbranch_vccz .LBB10_215
; %bb.175:
	v_mov_b32_e32 v2, 22
	v_cmp_gt_i16_sdwa s[6:7], v43, v2 src0_sel:BYTE_0 src1_sel:DWORD
	s_mov_b64 s[4:5], -1
	s_and_b64 vcc, exec, s[6:7]
	s_cbranch_vccz .LBB10_207
; %bb.176:
	v_mov_b32_e32 v2, 24
	v_cmp_lt_i16_sdwa s[4:5], v43, v2 src0_sel:BYTE_0 src1_sel:DWORD
	s_mov_b64 s[2:3], -1
	s_and_b64 vcc, exec, s[4:5]
	s_cbranch_vccnz .LBB10_196
; %bb.177:
	v_cmp_gt_i16_sdwa s[4:5], v43, v2 src0_sel:BYTE_0 src1_sel:DWORD
	s_and_b64 vcc, exec, s[4:5]
	s_cbranch_vccz .LBB10_185
; %bb.178:
	v_cvt_f32_f64_e32 v2, v[0:1]
	v_and_b32_e32 v3, 0x7fffffff, v2
	s_mov_b32 s2, 0x47800000
	v_cmp_gt_u32_e32 vcc, s2, v3
	v_mov_b32_e32 v6, 0x80
	s_and_saveexec_b64 s[2:3], vcc
	s_cbranch_execz .LBB10_184
; %bb.179:
	s_mov_b32 s4, 0x37ffffff
	v_cmp_lt_u32_e32 vcc, s4, v3
	s_mov_b64 s[4:5], 0
                                        ; implicit-def: $vgpr3
	s_and_saveexec_b64 s[6:7], vcc
	s_xor_b64 s[6:7], exec, s[6:7]
	s_cbranch_execz .LBB10_271
; %bb.180:
	v_bfe_u32 v3, v2, 21, 1
	s_mov_b32 s8, 0x88fffff
	v_add3_u32 v3, v2, v3, s8
	s_mov_b64 s[4:5], exec
	v_lshrrev_b32_e32 v3, 21, v3
	s_or_saveexec_b64 s[6:7], s[6:7]
                                        ; implicit-def: $sgpr8
	s_xor_b64 exec, exec, s[6:7]
	s_cbranch_execnz .LBB10_272
.LBB10_181:
	s_or_b64 exec, exec, s[6:7]
	v_mov_b32_e32 v6, s8
	s_and_saveexec_b64 s[6:7], s[4:5]
.LBB10_182:
	v_lshrrev_b32_e32 v2, 24, v2
	s_movk_i32 s4, 0x80
	v_and_or_b32 v6, v2, s4, v3
.LBB10_183:
	s_or_b64 exec, exec, s[6:7]
.LBB10_184:
	s_or_b64 exec, exec, s[2:3]
	s_mov_b64 s[2:3], 0
	global_store_byte v[4:5], v6, off
.LBB10_185:
	s_and_b64 vcc, exec, s[2:3]
	s_cbranch_vccz .LBB10_195
; %bb.186:
	v_cvt_f32_f64_e32 v2, v[0:1]
	v_and_b32_e32 v6, 0x7fffffff, v2
	s_mov_b32 s2, 0x43f00000
	v_cmp_gt_u32_e32 vcc, s2, v6
                                        ; implicit-def: $vgpr3
	s_and_saveexec_b64 s[2:3], vcc
	s_xor_b64 s[2:3], exec, s[2:3]
	s_cbranch_execz .LBB10_192
; %bb.187:
	s_mov_b32 s4, 0x3c7fffff
	v_cmp_lt_u32_e32 vcc, s4, v6
                                        ; implicit-def: $vgpr3
	s_and_saveexec_b64 s[4:5], vcc
	s_xor_b64 s[4:5], exec, s[4:5]
; %bb.188:
	v_bfe_u32 v3, v2, 20, 1
	s_mov_b32 s6, 0x407ffff
	v_add3_u32 v3, v2, v3, s6
	v_lshrrev_b32_e32 v6, 20, v3
	v_and_b32_e32 v3, 0xff00000, v3
	s_mov_b32 s6, 0x7f00000
	v_mov_b32_e32 v7, 0x7e
	v_cmp_ne_u32_e32 vcc, s6, v3
	s_nop 1
	v_cndmask_b32_e32 v3, v7, v6, vcc
; %bb.189:
	s_andn2_saveexec_b64 s[4:5], s[4:5]
; %bb.190:
	s_mov_b32 s6, 0x46800000
	v_add_f32_e64 v3, |v2|, s6
; %bb.191:
	s_or_b64 exec, exec, s[4:5]
                                        ; implicit-def: $vgpr6
.LBB10_192:
	s_andn2_saveexec_b64 s[2:3], s[2:3]
; %bb.193:
	s_mov_b32 s4, 0x7f800000
	v_mov_b32_e32 v3, 0x7e
	v_mov_b32_e32 v7, 0x7f
	v_cmp_lt_u32_e32 vcc, s4, v6
	s_nop 1
	v_cndmask_b32_e32 v3, v3, v7, vcc
; %bb.194:
	s_or_b64 exec, exec, s[2:3]
	v_lshrrev_b32_e32 v2, 24, v2
	s_movk_i32 s2, 0x80
	v_and_or_b32 v2, v2, s2, v3
	global_store_byte v[4:5], v2, off
.LBB10_195:
	s_mov_b64 s[2:3], 0
.LBB10_196:
	s_andn2_b64 vcc, exec, s[2:3]
	s_cbranch_vccnz .LBB10_206
; %bb.197:
	v_cvt_f32_f64_e32 v2, v[0:1]
	v_and_b32_e32 v6, 0x7fffffff, v2
	s_mov_b32 s2, 0x47800000
	v_cmp_gt_u32_e32 vcc, s2, v6
                                        ; implicit-def: $vgpr3
	s_and_saveexec_b64 s[2:3], vcc
	s_xor_b64 s[2:3], exec, s[2:3]
	s_cbranch_execz .LBB10_203
; %bb.198:
	s_mov_b32 s4, 0x387fffff
	v_cmp_lt_u32_e32 vcc, s4, v6
                                        ; implicit-def: $vgpr3
	s_and_saveexec_b64 s[4:5], vcc
	s_xor_b64 s[4:5], exec, s[4:5]
; %bb.199:
	v_bfe_u32 v3, v2, 21, 1
	s_mov_b32 s6, 0x80fffff
	v_add3_u32 v3, v2, v3, s6
	v_lshrrev_b32_e32 v3, 21, v3
; %bb.200:
	s_andn2_saveexec_b64 s[4:5], s[4:5]
; %bb.201:
	s_mov_b32 s6, 0x43000000
	v_add_f32_e64 v3, |v2|, s6
; %bb.202:
	s_or_b64 exec, exec, s[4:5]
                                        ; implicit-def: $vgpr6
.LBB10_203:
	s_andn2_saveexec_b64 s[2:3], s[2:3]
; %bb.204:
	s_mov_b32 s4, 0x7f800000
	v_mov_b32_e32 v3, 0x7c
	v_mov_b32_e32 v7, 0x7f
	v_cmp_lt_u32_e32 vcc, s4, v6
	s_nop 1
	v_cndmask_b32_e32 v3, v3, v7, vcc
; %bb.205:
	s_or_b64 exec, exec, s[2:3]
	v_lshrrev_b32_e32 v2, 24, v2
	s_movk_i32 s2, 0x80
	v_and_or_b32 v2, v2, s2, v3
	global_store_byte v[4:5], v2, off
.LBB10_206:
	s_mov_b64 s[4:5], 0
	s_mov_b64 s[2:3], -1
.LBB10_207:
	s_andn2_b64 vcc, exec, s[4:5]
	s_cbranch_vccnz .LBB10_215
; %bb.208:
	v_mov_b32_e32 v2, 14
	v_cmp_gt_i16_sdwa s[6:7], v43, v2 src0_sel:BYTE_0 src1_sel:DWORD
	s_mov_b64 s[4:5], -1
	s_and_b64 vcc, exec, s[6:7]
	s_cbranch_vccz .LBB10_212
; %bb.209:
	v_mov_b32_e32 v2, 15
	v_cmp_eq_u16_sdwa s[4:5], v43, v2 src0_sel:BYTE_0 src1_sel:DWORD
	s_mov_b64 s[0:1], -1
	s_and_b64 vcc, exec, s[4:5]
	s_cbranch_vccz .LBB10_211
; %bb.210:
	v_cvt_f32_f64_e32 v2, v[0:1]
	v_bfe_u32 v3, v2, 16, 1
	s_movk_i32 s0, 0x7fff
	v_add3_u32 v3, v2, v3, s0
	v_lshrrev_b32_e32 v3, 16, v3
	v_mov_b32_e32 v6, 0x7fc0
	v_cmp_o_f32_e32 vcc, v2, v2
	s_mov_b64 s[2:3], -1
	s_mov_b64 s[0:1], 0
	v_cndmask_b32_e32 v2, v6, v3, vcc
	global_store_short v[4:5], v2, off
.LBB10_211:
	s_mov_b64 s[4:5], 0
.LBB10_212:
	s_and_b64 vcc, exec, s[4:5]
	s_cbranch_vccz .LBB10_215
; %bb.213:
	v_mov_b32_e32 v2, 11
	v_cmp_eq_u16_sdwa s[4:5], v43, v2 src0_sel:BYTE_0 src1_sel:DWORD
	s_mov_b64 s[0:1], -1
	s_and_b64 vcc, exec, s[4:5]
	s_cbranch_vccz .LBB10_215
; %bb.214:
	v_cmp_neq_f64_e32 vcc, 0, v[0:1]
	s_mov_b64 s[0:1], 0
	s_mov_b64 s[2:3], -1
	v_cndmask_b32_e64 v2, 0, 1, vcc
	global_store_byte v[4:5], v2, off
.LBB10_215:
	s_branch .LBB10_137
.LBB10_216:
	v_mov_b32_e32 v2, 5
	v_cmp_lt_i16_sdwa s[4:5], v43, v2 src0_sel:BYTE_0 src1_sel:DWORD
	s_mov_b64 s[2:3], -1
	s_and_b64 vcc, exec, s[4:5]
	s_cbranch_vccnz .LBB10_237
; %bb.217:
	v_mov_b32_e32 v2, 8
	v_cmp_lt_i16_sdwa s[4:5], v43, v2 src0_sel:BYTE_0 src1_sel:DWORD
	s_and_b64 vcc, exec, s[4:5]
	s_cbranch_vccnz .LBB10_227
; %bb.218:
	v_mov_b32_e32 v2, 9
	v_cmp_lt_i16_sdwa s[4:5], v43, v2 src0_sel:BYTE_0 src1_sel:DWORD
	s_and_b64 vcc, exec, s[4:5]
	s_cbranch_vccnz .LBB10_224
; %bb.219:
	v_cmp_gt_i16_sdwa s[4:5], v43, v2 src0_sel:BYTE_0 src1_sel:DWORD
	s_and_b64 vcc, exec, s[4:5]
	s_cbranch_vccz .LBB10_221
; %bb.220:
	v_mov_b32_e32 v2, 0
	v_mov_b32_e32 v3, v2
	s_mov_b64 s[2:3], 0
	global_store_dwordx4 v[4:5], v[0:3], off
.LBB10_221:
	s_andn2_b64 vcc, exec, s[2:3]
	s_cbranch_vccnz .LBB10_223
; %bb.222:
	v_cvt_f32_f64_e32 v2, v[0:1]
	v_mov_b32_e32 v3, 0
	global_store_dwordx2 v[4:5], v[2:3], off
.LBB10_223:
	s_mov_b64 s[2:3], 0
.LBB10_224:
	s_andn2_b64 vcc, exec, s[2:3]
	s_cbranch_vccnz .LBB10_226
; %bb.225:
	v_cvt_f32_f64_e32 v2, v[0:1]
	v_cvt_f16_f32_e32 v2, v2
	global_store_dword v[4:5], v2, off
.LBB10_226:
	s_mov_b64 s[2:3], 0
.LBB10_227:
	s_andn2_b64 vcc, exec, s[2:3]
	s_cbranch_vccnz .LBB10_236
; %bb.228:
	v_mov_b32_e32 v2, 6
	v_cmp_lt_i16_sdwa s[4:5], v43, v2 src0_sel:BYTE_0 src1_sel:DWORD
	s_mov_b64 s[2:3], -1
	s_and_b64 vcc, exec, s[4:5]
	s_cbranch_vccnz .LBB10_234
; %bb.229:
	v_cmp_gt_i16_sdwa s[4:5], v43, v2 src0_sel:BYTE_0 src1_sel:DWORD
	s_and_b64 vcc, exec, s[4:5]
	s_cbranch_vccz .LBB10_231
; %bb.230:
	s_mov_b64 s[2:3], 0
	global_store_dwordx2 v[4:5], v[0:1], off
.LBB10_231:
	s_andn2_b64 vcc, exec, s[2:3]
	s_cbranch_vccnz .LBB10_233
; %bb.232:
	v_cvt_f32_f64_e32 v2, v[0:1]
	global_store_dword v[4:5], v2, off
.LBB10_233:
	s_mov_b64 s[2:3], 0
.LBB10_234:
	s_andn2_b64 vcc, exec, s[2:3]
	s_cbranch_vccnz .LBB10_236
; %bb.235:
	v_cvt_f32_f64_e32 v2, v[0:1]
	v_cvt_f16_f32_e32 v2, v2
	global_store_short v[4:5], v2, off
.LBB10_236:
	s_mov_b64 s[2:3], 0
.LBB10_237:
	s_andn2_b64 vcc, exec, s[2:3]
	s_cbranch_vccnz .LBB10_253
; %bb.238:
	v_mov_b32_e32 v2, 2
	v_cmp_lt_i16_sdwa s[4:5], v43, v2 src0_sel:BYTE_0 src1_sel:DWORD
	s_mov_b64 s[2:3], -1
	s_and_b64 vcc, exec, s[4:5]
	s_cbranch_vccnz .LBB10_248
; %bb.239:
	v_mov_b32_e32 v2, 3
	v_cmp_lt_i16_sdwa s[4:5], v43, v2 src0_sel:BYTE_0 src1_sel:DWORD
	s_and_b64 vcc, exec, s[4:5]
	s_cbranch_vccnz .LBB10_245
; %bb.240:
	v_cmp_gt_i16_sdwa s[4:5], v43, v2 src0_sel:BYTE_0 src1_sel:DWORD
	s_and_b64 vcc, exec, s[4:5]
	s_cbranch_vccz .LBB10_242
; %bb.241:
	v_trunc_f64_e32 v[2:3], v[0:1]
	s_movk_i32 s2, 0xffe0
	v_ldexp_f64 v[6:7], v[2:3], s2
	v_floor_f64_e32 v[6:7], v[6:7]
	v_fmac_f64_e32 v[2:3], 0xc1f00000, v[6:7]
	v_cvt_i32_f64_e32 v9, v[6:7]
	v_cvt_u32_f64_e32 v8, v[2:3]
	s_mov_b64 s[2:3], 0
	global_store_dwordx2 v[4:5], v[8:9], off
.LBB10_242:
	s_andn2_b64 vcc, exec, s[2:3]
	s_cbranch_vccnz .LBB10_244
; %bb.243:
	v_cvt_i32_f64_e32 v2, v[0:1]
	global_store_dword v[4:5], v2, off
.LBB10_244:
	s_mov_b64 s[2:3], 0
.LBB10_245:
	s_andn2_b64 vcc, exec, s[2:3]
	s_cbranch_vccnz .LBB10_247
; %bb.246:
	v_cvt_i32_f64_e32 v2, v[0:1]
	global_store_short v[4:5], v2, off
.LBB10_247:
	s_mov_b64 s[2:3], 0
.LBB10_248:
	s_andn2_b64 vcc, exec, s[2:3]
	s_cbranch_vccnz .LBB10_253
; %bb.249:
	v_mov_b32_e32 v2, 0
	v_cmp_gt_i16_sdwa s[4:5], v43, v2 src0_sel:BYTE_0 src1_sel:DWORD
	s_mov_b64 s[2:3], -1
	s_and_b64 vcc, exec, s[4:5]
	s_cbranch_vccz .LBB10_251
; %bb.250:
	v_cvt_i32_f64_e32 v2, v[0:1]
	s_mov_b64 s[2:3], 0
	global_store_byte v[4:5], v2, off
.LBB10_251:
	s_andn2_b64 vcc, exec, s[2:3]
	s_cbranch_vccnz .LBB10_253
; %bb.252:
	v_trunc_f64_e32 v[0:1], v[0:1]
	s_movk_i32 s2, 0xffe0
	v_ldexp_f64 v[2:3], v[0:1], s2
	v_floor_f64_e32 v[2:3], v[2:3]
	v_fmac_f64_e32 v[0:1], 0xc1f00000, v[2:3]
	v_cvt_u32_f64_e32 v0, v[0:1]
	global_store_byte v[4:5], v0, off
.LBB10_253:
	s_branch .LBB10_138
.LBB10_254:
	s_mov_b64 s[2:3], 0
                                        ; implicit-def: $vgpr40
.LBB10_255:
	s_andn2_b64 s[4:5], s[44:45], exec
	s_and_b64 s[0:1], s[0:1], exec
	s_or_b64 s[48:49], s[4:5], s[0:1]
	s_orn2_b64 s[4:5], s[2:3], exec
.LBB10_256:
	s_or_b64 exec, exec, s[50:51]
	s_mov_b64 s[0:1], 0
	s_mov_b64 s[2:3], 0
                                        ; implicit-def: $vgpr6
                                        ; implicit-def: $vgpr4_vgpr5
                                        ; implicit-def: $vgpr0_vgpr1
	s_and_saveexec_b64 s[50:51], s[4:5]
	s_cbranch_execz .LBB10_471
; %bb.257:
	v_cmp_gt_i32_e32 vcc, s33, v40
	s_mov_b64 s[2:3], -1
	s_mov_b64 s[54:55], s[48:49]
	s_and_saveexec_b64 s[52:53], vcc
	s_cbranch_execz .LBB10_386
; %bb.258:
	v_mov_b32_e32 v0, s38
	v_mov_b32_e32 v1, s39
	;; [unrolled: 1-line block ×5, first 2 shown]
	s_getpc_b64 s[0:1]
	s_add_u32 s0, s0, _ZN2at6native6invokeIZZZNS0_12_GLOBAL__N_121bessel_y0_kernel_cudaERNS_18TensorIteratorBaseEENKUlvE_clEvENKUlvE_clEvEUldE_i15function_traitsIS7_EEENT1_11result_typeERKT_PrKPcPKT0_PKN3c1010ScalarTypeEi@rel32@lo+4
	s_addc_u32 s1, s1, _ZN2at6native6invokeIZZZNS0_12_GLOBAL__N_121bessel_y0_kernel_cudaERNS_18TensorIteratorBaseEENKUlvE_clEvENKUlvE_clEvEUldE_i15function_traitsIS7_EEENT1_11result_typeERKT_PrKPcPKT0_PKN3c1010ScalarTypeEi@rel32@hi+12
	s_swappc_b64 s[30:31], s[0:1]
	v_mul_lo_u32 v2, v40, s34
	v_ashrrev_i32_e32 v3, 31, v2
	v_lshl_add_u64 v[4:5], s[36:37], 0, v[2:3]
	v_mov_b32_e32 v2, 11
	v_cmp_lt_i16_sdwa s[0:1], v43, v2 src0_sel:BYTE_0 src1_sel:DWORD
	s_and_b64 vcc, exec, s[0:1]
	s_cbranch_vccnz .LBB10_265
; %bb.259:
	v_mov_b32_e32 v2, 25
	v_cmp_gt_i16_sdwa s[0:1], v43, v2 src0_sel:BYTE_0 src1_sel:DWORD
	s_and_b64 vcc, exec, s[0:1]
	s_cbranch_vccz .LBB10_266
; %bb.260:
	v_mov_b32_e32 v2, 28
	v_cmp_gt_i16_sdwa s[0:1], v43, v2 src0_sel:BYTE_0 src1_sel:DWORD
	s_and_b64 vcc, exec, s[0:1]
	s_cbranch_vccz .LBB10_267
	;; [unrolled: 5-line block ×4, first 2 shown]
; %bb.263:
	v_mov_b32_e32 v2, 46
	v_cmp_eq_u16_sdwa s[2:3], v43, v2 src0_sel:BYTE_0 src1_sel:DWORD
	s_mov_b64 s[4:5], 0
	s_mov_b64 s[0:1], -1
	s_and_b64 vcc, exec, s[2:3]
	s_mov_b64 s[2:3], 0
	s_cbranch_vccz .LBB10_274
; %bb.264:
	v_cvt_f32_f64_e32 v2, v[0:1]
	v_bfe_u32 v3, v2, 16, 1
	s_movk_i32 s0, 0x7fff
	v_add3_u32 v3, v2, v3, s0
	v_lshrrev_b32_e32 v3, 16, v3
	v_mov_b32_e32 v6, 0x7fc0
	v_cmp_o_f32_e32 vcc, v2, v2
	s_mov_b64 s[2:3], -1
	s_mov_b64 s[0:1], 0
	v_cndmask_b32_e32 v2, v6, v3, vcc
	global_store_dword v[4:5], v2, off
	s_branch .LBB10_274
.LBB10_265:
	s_mov_b64 s[4:5], -1
	s_mov_b64 s[2:3], 0
	s_mov_b64 s[0:1], s[48:49]
	s_branch .LBB10_343
.LBB10_266:
	s_mov_b64 s[4:5], -1
	s_mov_b64 s[2:3], 0
	s_mov_b64 s[0:1], s[48:49]
	s_branch .LBB10_301
.LBB10_267:
	s_mov_b64 s[4:5], -1
	s_mov_b64 s[2:3], 0
	s_mov_b64 s[0:1], s[48:49]
	s_branch .LBB10_284
.LBB10_268:
	s_or_saveexec_b64 s[6:7], s[6:7]
                                        ; implicit-def: $sgpr8
	s_xor_b64 exec, exec, s[6:7]
	s_cbranch_execz .LBB10_168
.LBB10_269:
	s_mov_b32 s8, 0x46000000
	v_add_f32_e64 v3, |v2|, s8
	v_and_b32_e32 v3, 0xff, v3
	v_cmp_ne_u32_e32 vcc, 0, v3
	s_andn2_b64 s[4:5], s[4:5], exec
	s_and_b64 s[10:11], vcc, exec
	s_mov_b32 s8, 0
	s_or_b64 s[4:5], s[4:5], s[10:11]
	s_or_b64 exec, exec, s[6:7]
	v_mov_b32_e32 v6, s8
	s_and_saveexec_b64 s[6:7], s[4:5]
	s_cbranch_execnz .LBB10_169
	s_branch .LBB10_170
.LBB10_270:
	s_mov_b64 s[4:5], -1
	s_mov_b64 s[2:3], 0
	s_mov_b64 s[0:1], s[48:49]
	s_branch .LBB10_280
.LBB10_271:
	s_or_saveexec_b64 s[6:7], s[6:7]
                                        ; implicit-def: $sgpr8
	s_xor_b64 exec, exec, s[6:7]
	s_cbranch_execz .LBB10_181
.LBB10_272:
	s_mov_b32 s8, 0x42800000
	v_add_f32_e64 v3, |v2|, s8
	v_and_b32_e32 v3, 0xff, v3
	v_cmp_ne_u32_e32 vcc, 0, v3
	s_andn2_b64 s[4:5], s[4:5], exec
	s_and_b64 s[10:11], vcc, exec
	s_mov_b32 s8, 0
	s_or_b64 s[4:5], s[4:5], s[10:11]
	s_or_b64 exec, exec, s[6:7]
	v_mov_b32_e32 v6, s8
	s_and_saveexec_b64 s[6:7], s[4:5]
	s_cbranch_execnz .LBB10_182
	s_branch .LBB10_183
.LBB10_273:
	s_mov_b64 s[4:5], -1
	s_mov_b64 s[2:3], 0
	s_mov_b64 s[0:1], s[48:49]
.LBB10_274:
	s_and_b64 vcc, exec, s[4:5]
	s_cbranch_vccz .LBB10_279
; %bb.275:
	v_mov_b32_e32 v2, 44
	v_cmp_eq_u16_sdwa s[4:5], v43, v2 src0_sel:BYTE_0 src1_sel:DWORD
	s_mov_b64 s[0:1], -1
	s_and_b64 vcc, exec, s[4:5]
	s_cbranch_vccz .LBB10_279
; %bb.276:
	v_cvt_f32_f64_e32 v2, v[0:1]
	v_bfe_u32 v3, v2, 23, 8
	s_movk_i32 s0, 0xff
	v_cmp_ne_u32_e32 vcc, s0, v3
	v_mov_b32_e32 v6, 0xff
	s_and_saveexec_b64 s[2:3], vcc
; %bb.277:
	s_mov_b32 s0, 0x3fffff
	v_lshrrev_b32_e32 v6, 23, v2
	v_and_b32_e32 v7, 0x400000, v2
	v_and_or_b32 v2, v2, s0, v3
	v_cmp_ne_u32_e32 vcc, 0, v7
	v_cmp_ne_u32_e64 s[0:1], 0, v2
	s_and_b64 s[0:1], vcc, s[0:1]
	s_nop 0
	v_cndmask_b32_e64 v2, 0, 1, s[0:1]
	v_add_u32_e32 v6, v6, v2
; %bb.278:
	s_or_b64 exec, exec, s[2:3]
	s_mov_b64 s[2:3], -1
	s_mov_b64 s[0:1], 0
	global_store_byte v[4:5], v6, off
.LBB10_279:
	s_mov_b64 s[4:5], 0
.LBB10_280:
	s_and_b64 vcc, exec, s[4:5]
	s_cbranch_vccz .LBB10_283
; %bb.281:
	v_mov_b32_e32 v2, 29
	v_cmp_eq_u16_sdwa s[4:5], v43, v2 src0_sel:BYTE_0 src1_sel:DWORD
	s_mov_b64 s[0:1], -1
	s_and_b64 vcc, exec, s[4:5]
	s_cbranch_vccz .LBB10_283
; %bb.282:
	v_trunc_f64_e32 v[2:3], v[0:1]
	s_movk_i32 s0, 0xffe0
	v_ldexp_f64 v[6:7], v[2:3], s0
	v_floor_f64_e32 v[6:7], v[6:7]
	v_fmac_f64_e32 v[2:3], 0xc1f00000, v[6:7]
	v_cvt_u32_f64_e32 v9, v[6:7]
	v_cvt_u32_f64_e32 v8, v[2:3]
	global_store_dwordx2 v[4:5], v[8:9], off
	s_mov_b64 s[2:3], -1
	s_mov_b64 s[0:1], 0
.LBB10_283:
	s_mov_b64 s[4:5], 0
.LBB10_284:
	s_and_b64 vcc, exec, s[4:5]
	s_cbranch_vccz .LBB10_300
; %bb.285:
	v_mov_b32_e32 v2, 27
	v_cmp_lt_i16_sdwa s[4:5], v43, v2 src0_sel:BYTE_0 src1_sel:DWORD
	s_mov_b64 s[2:3], -1
	s_and_b64 vcc, exec, s[4:5]
	s_cbranch_vccnz .LBB10_291
; %bb.286:
	v_cmp_gt_i16_sdwa s[4:5], v43, v2 src0_sel:BYTE_0 src1_sel:DWORD
	s_and_b64 vcc, exec, s[4:5]
	v_cvt_u32_f64_e32 v2, v[0:1]
	s_cbranch_vccz .LBB10_288
; %bb.287:
	s_mov_b64 s[2:3], 0
	global_store_dword v[4:5], v2, off
.LBB10_288:
	s_andn2_b64 vcc, exec, s[2:3]
	s_cbranch_vccnz .LBB10_290
; %bb.289:
	global_store_short v[4:5], v2, off
.LBB10_290:
	s_mov_b64 s[2:3], 0
.LBB10_291:
	s_andn2_b64 vcc, exec, s[2:3]
	s_cbranch_vccnz .LBB10_299
; %bb.292:
	v_cvt_f32_f64_e32 v2, v[0:1]
	v_and_b32_e32 v3, 0x7fffffff, v2
	s_mov_b32 s2, 0x43800000
	v_cmp_gt_u32_e32 vcc, s2, v3
	v_mov_b32_e32 v6, 0x80
	s_and_saveexec_b64 s[2:3], vcc
	s_cbranch_execz .LBB10_298
; %bb.293:
	s_mov_b32 s4, 0x3bffffff
	v_cmp_lt_u32_e32 vcc, s4, v3
	s_mov_b64 s[4:5], 0
                                        ; implicit-def: $vgpr3
	s_and_saveexec_b64 s[6:7], vcc
	s_xor_b64 s[6:7], exec, s[6:7]
	s_cbranch_execz .LBB10_396
; %bb.294:
	v_bfe_u32 v3, v2, 20, 1
	s_mov_b32 s8, 0x487ffff
	v_add3_u32 v3, v2, v3, s8
	s_mov_b64 s[4:5], exec
	v_lshrrev_b32_e32 v3, 20, v3
	s_or_saveexec_b64 s[6:7], s[6:7]
                                        ; implicit-def: $sgpr8
	s_xor_b64 exec, exec, s[6:7]
	s_cbranch_execnz .LBB10_397
.LBB10_295:
	s_or_b64 exec, exec, s[6:7]
	v_mov_b32_e32 v6, s8
	s_and_saveexec_b64 s[6:7], s[4:5]
.LBB10_296:
	v_lshrrev_b32_e32 v2, 24, v2
	s_movk_i32 s4, 0x80
	v_and_or_b32 v6, v2, s4, v3
.LBB10_297:
	s_or_b64 exec, exec, s[6:7]
.LBB10_298:
	s_or_b64 exec, exec, s[2:3]
	global_store_byte v[4:5], v6, off
.LBB10_299:
	s_mov_b64 s[2:3], -1
.LBB10_300:
	s_mov_b64 s[4:5], 0
.LBB10_301:
	s_and_b64 vcc, exec, s[4:5]
	s_cbranch_vccz .LBB10_342
; %bb.302:
	v_mov_b32_e32 v2, 22
	v_cmp_gt_i16_sdwa s[6:7], v43, v2 src0_sel:BYTE_0 src1_sel:DWORD
	s_mov_b64 s[4:5], -1
	s_and_b64 vcc, exec, s[6:7]
	s_cbranch_vccz .LBB10_334
; %bb.303:
	v_mov_b32_e32 v2, 24
	v_cmp_lt_i16_sdwa s[4:5], v43, v2 src0_sel:BYTE_0 src1_sel:DWORD
	s_mov_b64 s[2:3], -1
	s_and_b64 vcc, exec, s[4:5]
	s_cbranch_vccnz .LBB10_323
; %bb.304:
	v_cmp_gt_i16_sdwa s[4:5], v43, v2 src0_sel:BYTE_0 src1_sel:DWORD
	s_and_b64 vcc, exec, s[4:5]
	s_cbranch_vccz .LBB10_312
; %bb.305:
	v_cvt_f32_f64_e32 v2, v[0:1]
	v_and_b32_e32 v3, 0x7fffffff, v2
	s_mov_b32 s2, 0x47800000
	v_cmp_gt_u32_e32 vcc, s2, v3
	v_mov_b32_e32 v6, 0x80
	s_and_saveexec_b64 s[2:3], vcc
	s_cbranch_execz .LBB10_311
; %bb.306:
	s_mov_b32 s4, 0x37ffffff
	v_cmp_lt_u32_e32 vcc, s4, v3
	s_mov_b64 s[4:5], 0
                                        ; implicit-def: $vgpr3
	s_and_saveexec_b64 s[6:7], vcc
	s_xor_b64 s[6:7], exec, s[6:7]
	s_cbranch_execz .LBB10_398
; %bb.307:
	v_bfe_u32 v3, v2, 21, 1
	s_mov_b32 s8, 0x88fffff
	v_add3_u32 v3, v2, v3, s8
	s_mov_b64 s[4:5], exec
	v_lshrrev_b32_e32 v3, 21, v3
	s_or_saveexec_b64 s[6:7], s[6:7]
                                        ; implicit-def: $sgpr8
	s_xor_b64 exec, exec, s[6:7]
	s_cbranch_execnz .LBB10_399
.LBB10_308:
	s_or_b64 exec, exec, s[6:7]
	v_mov_b32_e32 v6, s8
	s_and_saveexec_b64 s[6:7], s[4:5]
.LBB10_309:
	v_lshrrev_b32_e32 v2, 24, v2
	s_movk_i32 s4, 0x80
	v_and_or_b32 v6, v2, s4, v3
.LBB10_310:
	s_or_b64 exec, exec, s[6:7]
.LBB10_311:
	s_or_b64 exec, exec, s[2:3]
	s_mov_b64 s[2:3], 0
	global_store_byte v[4:5], v6, off
.LBB10_312:
	s_and_b64 vcc, exec, s[2:3]
	s_cbranch_vccz .LBB10_322
; %bb.313:
	v_cvt_f32_f64_e32 v2, v[0:1]
	v_and_b32_e32 v6, 0x7fffffff, v2
	s_mov_b32 s2, 0x43f00000
	v_cmp_gt_u32_e32 vcc, s2, v6
                                        ; implicit-def: $vgpr3
	s_and_saveexec_b64 s[2:3], vcc
	s_xor_b64 s[2:3], exec, s[2:3]
	s_cbranch_execz .LBB10_319
; %bb.314:
	s_mov_b32 s4, 0x3c7fffff
	v_cmp_lt_u32_e32 vcc, s4, v6
                                        ; implicit-def: $vgpr3
	s_and_saveexec_b64 s[4:5], vcc
	s_xor_b64 s[4:5], exec, s[4:5]
; %bb.315:
	v_bfe_u32 v3, v2, 20, 1
	s_mov_b32 s6, 0x407ffff
	v_add3_u32 v3, v2, v3, s6
	v_lshrrev_b32_e32 v6, 20, v3
	v_and_b32_e32 v3, 0xff00000, v3
	s_mov_b32 s6, 0x7f00000
	v_mov_b32_e32 v7, 0x7e
	v_cmp_ne_u32_e32 vcc, s6, v3
	s_nop 1
	v_cndmask_b32_e32 v3, v7, v6, vcc
; %bb.316:
	s_andn2_saveexec_b64 s[4:5], s[4:5]
; %bb.317:
	s_mov_b32 s6, 0x46800000
	v_add_f32_e64 v3, |v2|, s6
; %bb.318:
	s_or_b64 exec, exec, s[4:5]
                                        ; implicit-def: $vgpr6
.LBB10_319:
	s_andn2_saveexec_b64 s[2:3], s[2:3]
; %bb.320:
	s_mov_b32 s4, 0x7f800000
	v_mov_b32_e32 v3, 0x7e
	v_mov_b32_e32 v7, 0x7f
	v_cmp_lt_u32_e32 vcc, s4, v6
	s_nop 1
	v_cndmask_b32_e32 v3, v3, v7, vcc
; %bb.321:
	s_or_b64 exec, exec, s[2:3]
	v_lshrrev_b32_e32 v2, 24, v2
	s_movk_i32 s2, 0x80
	v_and_or_b32 v2, v2, s2, v3
	global_store_byte v[4:5], v2, off
.LBB10_322:
	s_mov_b64 s[2:3], 0
.LBB10_323:
	s_andn2_b64 vcc, exec, s[2:3]
	s_cbranch_vccnz .LBB10_333
; %bb.324:
	v_cvt_f32_f64_e32 v2, v[0:1]
	v_and_b32_e32 v6, 0x7fffffff, v2
	s_mov_b32 s2, 0x47800000
	v_cmp_gt_u32_e32 vcc, s2, v6
                                        ; implicit-def: $vgpr3
	s_and_saveexec_b64 s[2:3], vcc
	s_xor_b64 s[2:3], exec, s[2:3]
	s_cbranch_execz .LBB10_330
; %bb.325:
	s_mov_b32 s4, 0x387fffff
	v_cmp_lt_u32_e32 vcc, s4, v6
                                        ; implicit-def: $vgpr3
	s_and_saveexec_b64 s[4:5], vcc
	s_xor_b64 s[4:5], exec, s[4:5]
; %bb.326:
	v_bfe_u32 v3, v2, 21, 1
	s_mov_b32 s6, 0x80fffff
	v_add3_u32 v3, v2, v3, s6
	v_lshrrev_b32_e32 v3, 21, v3
; %bb.327:
	s_andn2_saveexec_b64 s[4:5], s[4:5]
; %bb.328:
	s_mov_b32 s6, 0x43000000
	v_add_f32_e64 v3, |v2|, s6
; %bb.329:
	s_or_b64 exec, exec, s[4:5]
                                        ; implicit-def: $vgpr6
.LBB10_330:
	s_andn2_saveexec_b64 s[2:3], s[2:3]
; %bb.331:
	s_mov_b32 s4, 0x7f800000
	v_mov_b32_e32 v3, 0x7c
	v_mov_b32_e32 v7, 0x7f
	v_cmp_lt_u32_e32 vcc, s4, v6
	s_nop 1
	v_cndmask_b32_e32 v3, v3, v7, vcc
; %bb.332:
	s_or_b64 exec, exec, s[2:3]
	v_lshrrev_b32_e32 v2, 24, v2
	s_movk_i32 s2, 0x80
	v_and_or_b32 v2, v2, s2, v3
	global_store_byte v[4:5], v2, off
.LBB10_333:
	s_mov_b64 s[4:5], 0
	s_mov_b64 s[2:3], -1
.LBB10_334:
	s_andn2_b64 vcc, exec, s[4:5]
	s_cbranch_vccnz .LBB10_342
; %bb.335:
	v_mov_b32_e32 v2, 14
	v_cmp_gt_i16_sdwa s[6:7], v43, v2 src0_sel:BYTE_0 src1_sel:DWORD
	s_mov_b64 s[4:5], -1
	s_and_b64 vcc, exec, s[6:7]
	s_cbranch_vccz .LBB10_339
; %bb.336:
	v_mov_b32_e32 v2, 15
	v_cmp_eq_u16_sdwa s[4:5], v43, v2 src0_sel:BYTE_0 src1_sel:DWORD
	s_mov_b64 s[0:1], -1
	s_and_b64 vcc, exec, s[4:5]
	s_cbranch_vccz .LBB10_338
; %bb.337:
	v_cvt_f32_f64_e32 v2, v[0:1]
	v_bfe_u32 v3, v2, 16, 1
	s_movk_i32 s0, 0x7fff
	v_add3_u32 v3, v2, v3, s0
	v_lshrrev_b32_e32 v3, 16, v3
	v_mov_b32_e32 v6, 0x7fc0
	v_cmp_o_f32_e32 vcc, v2, v2
	s_mov_b64 s[2:3], -1
	s_mov_b64 s[0:1], 0
	v_cndmask_b32_e32 v2, v6, v3, vcc
	global_store_short v[4:5], v2, off
.LBB10_338:
	s_mov_b64 s[4:5], 0
.LBB10_339:
	s_and_b64 vcc, exec, s[4:5]
	s_cbranch_vccz .LBB10_342
; %bb.340:
	v_mov_b32_e32 v2, 11
	v_cmp_eq_u16_sdwa s[4:5], v43, v2 src0_sel:BYTE_0 src1_sel:DWORD
	s_mov_b64 s[0:1], -1
	s_and_b64 vcc, exec, s[4:5]
	s_cbranch_vccz .LBB10_342
; %bb.341:
	v_cmp_neq_f64_e32 vcc, 0, v[0:1]
	s_mov_b64 s[0:1], 0
	s_mov_b64 s[2:3], -1
	v_cndmask_b32_e64 v2, 0, 1, vcc
	global_store_byte v[4:5], v2, off
.LBB10_342:
	s_mov_b64 s[4:5], 0
.LBB10_343:
	s_and_b64 vcc, exec, s[4:5]
	s_cbranch_vccz .LBB10_382
; %bb.344:
	v_mov_b32_e32 v2, 5
	v_cmp_lt_i16_sdwa s[4:5], v43, v2 src0_sel:BYTE_0 src1_sel:DWORD
	s_mov_b64 s[2:3], -1
	s_and_b64 vcc, exec, s[4:5]
	s_cbranch_vccnz .LBB10_365
; %bb.345:
	v_mov_b32_e32 v2, 8
	v_cmp_lt_i16_sdwa s[4:5], v43, v2 src0_sel:BYTE_0 src1_sel:DWORD
	s_and_b64 vcc, exec, s[4:5]
	s_cbranch_vccnz .LBB10_355
; %bb.346:
	v_mov_b32_e32 v2, 9
	v_cmp_lt_i16_sdwa s[4:5], v43, v2 src0_sel:BYTE_0 src1_sel:DWORD
	s_and_b64 vcc, exec, s[4:5]
	s_cbranch_vccnz .LBB10_352
; %bb.347:
	v_cmp_gt_i16_sdwa s[4:5], v43, v2 src0_sel:BYTE_0 src1_sel:DWORD
	s_and_b64 vcc, exec, s[4:5]
	s_cbranch_vccz .LBB10_349
; %bb.348:
	v_mov_b32_e32 v2, 0
	v_mov_b32_e32 v3, v2
	s_mov_b64 s[2:3], 0
	global_store_dwordx4 v[4:5], v[0:3], off
.LBB10_349:
	s_andn2_b64 vcc, exec, s[2:3]
	s_cbranch_vccnz .LBB10_351
; %bb.350:
	v_cvt_f32_f64_e32 v2, v[0:1]
	v_mov_b32_e32 v3, 0
	global_store_dwordx2 v[4:5], v[2:3], off
.LBB10_351:
	s_mov_b64 s[2:3], 0
.LBB10_352:
	s_andn2_b64 vcc, exec, s[2:3]
	s_cbranch_vccnz .LBB10_354
; %bb.353:
	v_cvt_f32_f64_e32 v2, v[0:1]
	v_cvt_f16_f32_e32 v2, v2
	global_store_dword v[4:5], v2, off
.LBB10_354:
	s_mov_b64 s[2:3], 0
.LBB10_355:
	s_andn2_b64 vcc, exec, s[2:3]
	s_cbranch_vccnz .LBB10_364
; %bb.356:
	v_mov_b32_e32 v2, 6
	v_cmp_lt_i16_sdwa s[4:5], v43, v2 src0_sel:BYTE_0 src1_sel:DWORD
	s_mov_b64 s[2:3], -1
	s_and_b64 vcc, exec, s[4:5]
	s_cbranch_vccnz .LBB10_362
; %bb.357:
	v_cmp_gt_i16_sdwa s[4:5], v43, v2 src0_sel:BYTE_0 src1_sel:DWORD
	s_and_b64 vcc, exec, s[4:5]
	s_cbranch_vccz .LBB10_359
; %bb.358:
	s_mov_b64 s[2:3], 0
	global_store_dwordx2 v[4:5], v[0:1], off
.LBB10_359:
	s_andn2_b64 vcc, exec, s[2:3]
	s_cbranch_vccnz .LBB10_361
; %bb.360:
	v_cvt_f32_f64_e32 v2, v[0:1]
	global_store_dword v[4:5], v2, off
.LBB10_361:
	s_mov_b64 s[2:3], 0
.LBB10_362:
	s_andn2_b64 vcc, exec, s[2:3]
	s_cbranch_vccnz .LBB10_364
; %bb.363:
	v_cvt_f32_f64_e32 v2, v[0:1]
	v_cvt_f16_f32_e32 v2, v2
	global_store_short v[4:5], v2, off
.LBB10_364:
	s_mov_b64 s[2:3], 0
.LBB10_365:
	s_andn2_b64 vcc, exec, s[2:3]
	s_cbranch_vccnz .LBB10_381
; %bb.366:
	v_mov_b32_e32 v2, 2
	v_cmp_lt_i16_sdwa s[4:5], v43, v2 src0_sel:BYTE_0 src1_sel:DWORD
	s_mov_b64 s[2:3], -1
	s_and_b64 vcc, exec, s[4:5]
	s_cbranch_vccnz .LBB10_376
; %bb.367:
	v_mov_b32_e32 v2, 3
	v_cmp_lt_i16_sdwa s[4:5], v43, v2 src0_sel:BYTE_0 src1_sel:DWORD
	s_and_b64 vcc, exec, s[4:5]
	s_cbranch_vccnz .LBB10_373
; %bb.368:
	v_cmp_gt_i16_sdwa s[4:5], v43, v2 src0_sel:BYTE_0 src1_sel:DWORD
	s_and_b64 vcc, exec, s[4:5]
	s_cbranch_vccz .LBB10_370
; %bb.369:
	v_trunc_f64_e32 v[2:3], v[0:1]
	s_movk_i32 s2, 0xffe0
	v_ldexp_f64 v[6:7], v[2:3], s2
	v_floor_f64_e32 v[6:7], v[6:7]
	v_fmac_f64_e32 v[2:3], 0xc1f00000, v[6:7]
	v_cvt_i32_f64_e32 v9, v[6:7]
	v_cvt_u32_f64_e32 v8, v[2:3]
	s_mov_b64 s[2:3], 0
	global_store_dwordx2 v[4:5], v[8:9], off
.LBB10_370:
	s_andn2_b64 vcc, exec, s[2:3]
	s_cbranch_vccnz .LBB10_372
; %bb.371:
	v_cvt_i32_f64_e32 v2, v[0:1]
	global_store_dword v[4:5], v2, off
.LBB10_372:
	s_mov_b64 s[2:3], 0
.LBB10_373:
	s_andn2_b64 vcc, exec, s[2:3]
	s_cbranch_vccnz .LBB10_375
; %bb.374:
	v_cvt_i32_f64_e32 v2, v[0:1]
	global_store_short v[4:5], v2, off
.LBB10_375:
	s_mov_b64 s[2:3], 0
.LBB10_376:
	s_andn2_b64 vcc, exec, s[2:3]
	s_cbranch_vccnz .LBB10_381
; %bb.377:
	v_mov_b32_e32 v2, 0
	v_cmp_gt_i16_sdwa s[4:5], v43, v2 src0_sel:BYTE_0 src1_sel:DWORD
	s_mov_b64 s[2:3], -1
	s_and_b64 vcc, exec, s[4:5]
	s_cbranch_vccz .LBB10_379
; %bb.378:
	v_cvt_i32_f64_e32 v2, v[0:1]
	s_mov_b64 s[2:3], 0
	global_store_byte v[4:5], v2, off
.LBB10_379:
	s_andn2_b64 vcc, exec, s[2:3]
	s_cbranch_vccnz .LBB10_381
; %bb.380:
	v_trunc_f64_e32 v[0:1], v[0:1]
	s_movk_i32 s2, 0xffe0
	v_ldexp_f64 v[2:3], v[0:1], s2
	v_floor_f64_e32 v[2:3], v[2:3]
	v_fmac_f64_e32 v[0:1], 0xc1f00000, v[2:3]
	v_cvt_u32_f64_e32 v0, v[0:1]
	global_store_byte v[4:5], v0, off
.LBB10_381:
	s_mov_b64 s[2:3], -1
.LBB10_382:
	s_andn2_b64 vcc, exec, s[2:3]
	s_cbranch_vccnz .LBB10_384
; %bb.383:
	v_add_u32_e32 v40, 0x80, v40
	s_mov_b64 s[2:3], -1
	s_branch .LBB10_385
.LBB10_384:
	s_mov_b64 s[2:3], 0
                                        ; implicit-def: $vgpr40
.LBB10_385:
	s_andn2_b64 s[4:5], s[48:49], exec
	s_and_b64 s[0:1], s[0:1], exec
	s_or_b64 s[54:55], s[4:5], s[0:1]
	s_orn2_b64 s[2:3], s[2:3], exec
.LBB10_386:
	s_or_b64 exec, exec, s[52:53]
	s_mov_b64 s[0:1], 0
	s_mov_b64 s[6:7], 0
                                        ; implicit-def: $vgpr6
                                        ; implicit-def: $vgpr4_vgpr5
                                        ; implicit-def: $vgpr0_vgpr1
	s_and_saveexec_b64 s[52:53], s[2:3]
	s_cbranch_execz .LBB10_470
; %bb.387:
	v_cmp_gt_i32_e32 vcc, s33, v40
	s_mov_b64 s[2:3], 0
	s_mov_b64 s[4:5], s[54:55]
                                        ; implicit-def: $vgpr6
                                        ; implicit-def: $vgpr4_vgpr5
                                        ; implicit-def: $vgpr0_vgpr1
	s_and_saveexec_b64 s[56:57], vcc
	s_cbranch_execz .LBB10_469
; %bb.388:
	v_mov_b32_e32 v0, s38
	v_mov_b32_e32 v1, s39
	;; [unrolled: 1-line block ×5, first 2 shown]
	s_getpc_b64 s[0:1]
	s_add_u32 s0, s0, _ZN2at6native6invokeIZZZNS0_12_GLOBAL__N_121bessel_y0_kernel_cudaERNS_18TensorIteratorBaseEENKUlvE_clEvENKUlvE_clEvEUldE_i15function_traitsIS7_EEENT1_11result_typeERKT_PrKPcPKT0_PKN3c1010ScalarTypeEi@rel32@lo+4
	s_addc_u32 s1, s1, _ZN2at6native6invokeIZZZNS0_12_GLOBAL__N_121bessel_y0_kernel_cudaERNS_18TensorIteratorBaseEENKUlvE_clEvENKUlvE_clEvEUldE_i15function_traitsIS7_EEENT1_11result_typeERKT_PrKPcPKT0_PKN3c1010ScalarTypeEi@rel32@hi+12
	s_swappc_b64 s[30:31], s[0:1]
	v_mul_lo_u32 v2, v40, s34
	v_and_b32_e32 v6, 0xff, v43
	v_ashrrev_i32_e32 v3, 31, v2
	v_cmp_gt_i16_e32 vcc, 11, v6
	v_lshl_add_u64 v[4:5], s[36:37], 0, v[2:3]
	s_cbranch_vccnz .LBB10_395
; %bb.389:
	v_cmp_lt_i16_e32 vcc, 25, v6
	s_mov_b64 s[4:5], -1
	s_mov_b64 s[0:1], s[54:55]
	s_cbranch_vccz .LBB10_427
; %bb.390:
	v_cmp_lt_i16_e32 vcc, 28, v6
	s_mov_b64 s[2:3], -1
	s_mov_b64 s[0:1], s[54:55]
	s_cbranch_vccz .LBB10_411
; %bb.391:
	v_cmp_lt_i16_e32 vcc, 43, v6
	s_mov_b64 s[0:1], s[54:55]
	s_cbranch_vccz .LBB10_407
; %bb.392:
	v_cmp_lt_i16_e32 vcc, 45, v6
	s_mov_b64 s[0:1], s[54:55]
	s_cbranch_vccz .LBB10_401
; %bb.393:
	v_cmp_eq_u16_e32 vcc, 46, v6
	s_mov_b64 s[0:1], -1
	s_cbranch_vccz .LBB10_400
; %bb.394:
	v_cvt_f32_f64_e32 v2, v[0:1]
	v_bfe_u32 v3, v2, 16, 1
	s_movk_i32 s0, 0x7fff
	v_add3_u32 v3, v2, v3, s0
	v_lshrrev_b32_e32 v3, 16, v3
	v_mov_b32_e32 v7, 0x7fc0
	v_cmp_o_f32_e32 vcc, v2, v2
	s_mov_b64 s[0:1], 0
	s_mov_b64 s[2:3], 0
	v_cndmask_b32_e32 v2, v7, v3, vcc
	global_store_dword v[4:5], v2, off
	s_branch .LBB10_401
.LBB10_395:
	s_mov_b64 s[4:5], 0
	s_mov_b64 s[2:3], -1
	s_mov_b64 s[0:1], s[54:55]
	s_branch .LBB10_468
.LBB10_396:
	s_or_saveexec_b64 s[6:7], s[6:7]
                                        ; implicit-def: $sgpr8
	s_xor_b64 exec, exec, s[6:7]
	s_cbranch_execz .LBB10_295
.LBB10_397:
	s_mov_b32 s8, 0x46000000
	v_add_f32_e64 v3, |v2|, s8
	v_and_b32_e32 v3, 0xff, v3
	v_cmp_ne_u32_e32 vcc, 0, v3
	s_andn2_b64 s[4:5], s[4:5], exec
	s_and_b64 s[10:11], vcc, exec
	s_mov_b32 s8, 0
	s_or_b64 s[4:5], s[4:5], s[10:11]
	s_or_b64 exec, exec, s[6:7]
	v_mov_b32_e32 v6, s8
	s_and_saveexec_b64 s[6:7], s[4:5]
	s_cbranch_execnz .LBB10_296
	s_branch .LBB10_297
.LBB10_398:
	s_or_saveexec_b64 s[6:7], s[6:7]
                                        ; implicit-def: $sgpr8
	s_xor_b64 exec, exec, s[6:7]
	s_cbranch_execz .LBB10_308
.LBB10_399:
	s_mov_b32 s8, 0x42800000
	v_add_f32_e64 v3, |v2|, s8
	v_and_b32_e32 v3, 0xff, v3
	v_cmp_ne_u32_e32 vcc, 0, v3
	s_andn2_b64 s[4:5], s[4:5], exec
	s_and_b64 s[10:11], vcc, exec
	s_mov_b32 s8, 0
	s_or_b64 s[4:5], s[4:5], s[10:11]
	s_or_b64 exec, exec, s[6:7]
	v_mov_b32_e32 v6, s8
	s_and_saveexec_b64 s[6:7], s[4:5]
	s_cbranch_execnz .LBB10_309
	s_branch .LBB10_310
.LBB10_400:
	s_mov_b64 s[2:3], 0
.LBB10_401:
	s_and_b64 vcc, exec, s[2:3]
	s_cbranch_vccz .LBB10_406
; %bb.402:
	v_cmp_eq_u16_e32 vcc, 44, v6
	s_mov_b64 s[0:1], -1
	s_cbranch_vccz .LBB10_406
; %bb.403:
	v_cvt_f32_f64_e32 v2, v[0:1]
	v_bfe_u32 v3, v2, 23, 8
	s_movk_i32 s0, 0xff
	v_cmp_ne_u32_e32 vcc, s0, v3
	v_mov_b32_e32 v7, 0xff
	s_and_saveexec_b64 s[2:3], vcc
; %bb.404:
	s_mov_b32 s0, 0x3fffff
	v_lshrrev_b32_e32 v7, 23, v2
	v_and_b32_e32 v8, 0x400000, v2
	v_and_or_b32 v2, v2, s0, v3
	v_cmp_ne_u32_e32 vcc, 0, v8
	v_cmp_ne_u32_e64 s[0:1], 0, v2
	s_and_b64 s[0:1], vcc, s[0:1]
	s_nop 0
	v_cndmask_b32_e64 v2, 0, 1, s[0:1]
	v_add_u32_e32 v7, v7, v2
; %bb.405:
	s_or_b64 exec, exec, s[2:3]
	s_mov_b64 s[0:1], 0
	global_store_byte v[4:5], v7, off
.LBB10_406:
	s_mov_b64 s[2:3], 0
.LBB10_407:
	s_and_b64 vcc, exec, s[2:3]
	s_cbranch_vccz .LBB10_410
; %bb.408:
	v_cmp_eq_u16_e32 vcc, 29, v6
	s_mov_b64 s[0:1], -1
	s_cbranch_vccz .LBB10_410
; %bb.409:
	v_trunc_f64_e32 v[2:3], v[0:1]
	s_movk_i32 s0, 0xffe0
	v_ldexp_f64 v[8:9], v[2:3], s0
	v_floor_f64_e32 v[8:9], v[8:9]
	v_fmac_f64_e32 v[2:3], 0xc1f00000, v[8:9]
	v_cvt_u32_f64_e32 v11, v[8:9]
	v_cvt_u32_f64_e32 v10, v[2:3]
	global_store_dwordx2 v[4:5], v[10:11], off
	s_mov_b64 s[0:1], 0
.LBB10_410:
	s_mov_b64 s[2:3], 0
.LBB10_411:
	s_and_b64 vcc, exec, s[2:3]
	s_cbranch_vccz .LBB10_426
; %bb.412:
	v_cmp_gt_i16_e32 vcc, 27, v6
	s_mov_b64 s[2:3], -1
	s_cbranch_vccnz .LBB10_418
; %bb.413:
	v_cmp_lt_i16_e32 vcc, 27, v6
	v_cvt_u32_f64_e32 v2, v[0:1]
	s_cbranch_vccz .LBB10_415
; %bb.414:
	s_mov_b64 s[2:3], 0
	global_store_dword v[4:5], v2, off
.LBB10_415:
	s_andn2_b64 vcc, exec, s[2:3]
	s_cbranch_vccnz .LBB10_417
; %bb.416:
	global_store_short v[4:5], v2, off
.LBB10_417:
	s_mov_b64 s[2:3], 0
.LBB10_418:
	s_andn2_b64 vcc, exec, s[2:3]
	s_cbranch_vccnz .LBB10_426
; %bb.419:
	v_cvt_f32_f64_e32 v2, v[0:1]
	v_and_b32_e32 v3, 0x7fffffff, v2
	s_mov_b32 s2, 0x43800000
	v_cmp_gt_u32_e32 vcc, s2, v3
	v_mov_b32_e32 v7, 0x80
	s_and_saveexec_b64 s[2:3], vcc
	s_cbranch_execz .LBB10_425
; %bb.420:
	s_mov_b32 s4, 0x3bffffff
	v_cmp_lt_u32_e32 vcc, s4, v3
	s_mov_b64 s[4:5], 0
                                        ; implicit-def: $vgpr3
	s_and_saveexec_b64 s[6:7], vcc
	s_xor_b64 s[6:7], exec, s[6:7]
	s_cbranch_execz .LBB10_1014
; %bb.421:
	v_bfe_u32 v3, v2, 20, 1
	s_mov_b32 s8, 0x487ffff
	v_add3_u32 v3, v2, v3, s8
	s_mov_b64 s[4:5], exec
	v_lshrrev_b32_e32 v3, 20, v3
	s_or_saveexec_b64 s[6:7], s[6:7]
                                        ; implicit-def: $sgpr8
	s_xor_b64 exec, exec, s[6:7]
	s_cbranch_execnz .LBB10_1015
.LBB10_422:
	s_or_b64 exec, exec, s[6:7]
	v_mov_b32_e32 v7, s8
	s_and_saveexec_b64 s[6:7], s[4:5]
.LBB10_423:
	v_lshrrev_b32_e32 v2, 24, v2
	s_movk_i32 s4, 0x80
	v_and_or_b32 v7, v2, s4, v3
.LBB10_424:
	s_or_b64 exec, exec, s[6:7]
.LBB10_425:
	s_or_b64 exec, exec, s[2:3]
	global_store_byte v[4:5], v7, off
.LBB10_426:
	s_mov_b64 s[4:5], 0
.LBB10_427:
	s_mov_b64 s[2:3], 0
	s_and_b64 vcc, exec, s[4:5]
	s_cbranch_vccz .LBB10_467
; %bb.428:
	v_cmp_lt_i16_e32 vcc, 22, v6
	s_mov_b64 s[4:5], -1
	s_cbranch_vccz .LBB10_460
; %bb.429:
	v_cmp_gt_i16_e32 vcc, 24, v6
	s_cbranch_vccnz .LBB10_449
; %bb.430:
	v_cmp_lt_i16_e32 vcc, 24, v6
	s_cbranch_vccz .LBB10_438
; %bb.431:
	v_cvt_f32_f64_e32 v2, v[0:1]
	v_and_b32_e32 v3, 0x7fffffff, v2
	s_mov_b32 s4, 0x47800000
	v_cmp_gt_u32_e32 vcc, s4, v3
	v_mov_b32_e32 v7, 0x80
	s_and_saveexec_b64 s[4:5], vcc
	s_cbranch_execz .LBB10_437
; %bb.432:
	s_mov_b32 s6, 0x37ffffff
	v_cmp_lt_u32_e32 vcc, s6, v3
	s_mov_b64 s[6:7], 0
                                        ; implicit-def: $vgpr3
	s_and_saveexec_b64 s[8:9], vcc
	s_xor_b64 s[8:9], exec, s[8:9]
	s_cbranch_execz .LBB10_1018
; %bb.433:
	v_bfe_u32 v3, v2, 21, 1
	s_mov_b32 s10, 0x88fffff
	v_add3_u32 v3, v2, v3, s10
	s_mov_b64 s[6:7], exec
	v_lshrrev_b32_e32 v3, 21, v3
	s_or_saveexec_b64 s[8:9], s[8:9]
                                        ; implicit-def: $sgpr10
	s_xor_b64 exec, exec, s[8:9]
	s_cbranch_execnz .LBB10_1019
.LBB10_434:
	s_or_b64 exec, exec, s[8:9]
	v_mov_b32_e32 v7, s10
	s_and_saveexec_b64 s[8:9], s[6:7]
.LBB10_435:
	v_lshrrev_b32_e32 v2, 24, v2
	s_movk_i32 s6, 0x80
	v_and_or_b32 v7, v2, s6, v3
.LBB10_436:
	s_or_b64 exec, exec, s[8:9]
.LBB10_437:
	s_or_b64 exec, exec, s[4:5]
	s_mov_b64 s[4:5], 0
	global_store_byte v[4:5], v7, off
.LBB10_438:
	s_and_b64 vcc, exec, s[4:5]
	s_cbranch_vccz .LBB10_448
; %bb.439:
	v_cvt_f32_f64_e32 v2, v[0:1]
	v_and_b32_e32 v7, 0x7fffffff, v2
	s_mov_b32 s4, 0x43f00000
	v_cmp_gt_u32_e32 vcc, s4, v7
                                        ; implicit-def: $vgpr3
	s_and_saveexec_b64 s[4:5], vcc
	s_xor_b64 s[4:5], exec, s[4:5]
	s_cbranch_execz .LBB10_445
; %bb.440:
	s_mov_b32 s6, 0x3c7fffff
	v_cmp_lt_u32_e32 vcc, s6, v7
                                        ; implicit-def: $vgpr3
	s_and_saveexec_b64 s[6:7], vcc
	s_xor_b64 s[6:7], exec, s[6:7]
; %bb.441:
	v_bfe_u32 v3, v2, 20, 1
	s_mov_b32 s8, 0x407ffff
	v_add3_u32 v3, v2, v3, s8
	v_lshrrev_b32_e32 v7, 20, v3
	v_and_b32_e32 v3, 0xff00000, v3
	s_mov_b32 s8, 0x7f00000
	v_mov_b32_e32 v8, 0x7e
	v_cmp_ne_u32_e32 vcc, s8, v3
	s_nop 1
	v_cndmask_b32_e32 v3, v8, v7, vcc
; %bb.442:
	s_andn2_saveexec_b64 s[6:7], s[6:7]
; %bb.443:
	s_mov_b32 s8, 0x46800000
	v_add_f32_e64 v3, |v2|, s8
; %bb.444:
	s_or_b64 exec, exec, s[6:7]
                                        ; implicit-def: $vgpr7
.LBB10_445:
	s_andn2_saveexec_b64 s[4:5], s[4:5]
; %bb.446:
	s_mov_b32 s6, 0x7f800000
	v_mov_b32_e32 v3, 0x7e
	v_mov_b32_e32 v8, 0x7f
	v_cmp_lt_u32_e32 vcc, s6, v7
	s_nop 1
	v_cndmask_b32_e32 v3, v3, v8, vcc
; %bb.447:
	s_or_b64 exec, exec, s[4:5]
	v_lshrrev_b32_e32 v2, 24, v2
	s_movk_i32 s4, 0x80
	v_and_or_b32 v2, v2, s4, v3
	global_store_byte v[4:5], v2, off
.LBB10_448:
	s_mov_b64 s[4:5], 0
.LBB10_449:
	s_andn2_b64 vcc, exec, s[4:5]
	s_cbranch_vccnz .LBB10_459
; %bb.450:
	v_cvt_f32_f64_e32 v2, v[0:1]
	v_and_b32_e32 v7, 0x7fffffff, v2
	s_mov_b32 s4, 0x47800000
	v_cmp_gt_u32_e32 vcc, s4, v7
                                        ; implicit-def: $vgpr3
	s_and_saveexec_b64 s[4:5], vcc
	s_xor_b64 s[4:5], exec, s[4:5]
	s_cbranch_execz .LBB10_456
; %bb.451:
	s_mov_b32 s6, 0x387fffff
	v_cmp_lt_u32_e32 vcc, s6, v7
                                        ; implicit-def: $vgpr3
	s_and_saveexec_b64 s[6:7], vcc
	s_xor_b64 s[6:7], exec, s[6:7]
; %bb.452:
	v_bfe_u32 v3, v2, 21, 1
	s_mov_b32 s8, 0x80fffff
	v_add3_u32 v3, v2, v3, s8
	v_lshrrev_b32_e32 v3, 21, v3
; %bb.453:
	s_andn2_saveexec_b64 s[6:7], s[6:7]
; %bb.454:
	s_mov_b32 s8, 0x43000000
	v_add_f32_e64 v3, |v2|, s8
; %bb.455:
	s_or_b64 exec, exec, s[6:7]
                                        ; implicit-def: $vgpr7
.LBB10_456:
	s_andn2_saveexec_b64 s[4:5], s[4:5]
; %bb.457:
	s_mov_b32 s6, 0x7f800000
	v_mov_b32_e32 v3, 0x7c
	v_mov_b32_e32 v8, 0x7f
	v_cmp_lt_u32_e32 vcc, s6, v7
	s_nop 1
	v_cndmask_b32_e32 v3, v3, v8, vcc
; %bb.458:
	s_or_b64 exec, exec, s[4:5]
	v_lshrrev_b32_e32 v2, 24, v2
	s_movk_i32 s4, 0x80
	v_and_or_b32 v2, v2, s4, v3
	global_store_byte v[4:5], v2, off
.LBB10_459:
	s_mov_b64 s[4:5], 0
.LBB10_460:
	s_andn2_b64 vcc, exec, s[4:5]
	s_mov_b64 s[4:5], 0
	s_cbranch_vccnz .LBB10_468
; %bb.461:
	v_cmp_lt_i16_e32 vcc, 14, v6
	s_mov_b64 s[6:7], -1
	s_cbranch_vccz .LBB10_465
; %bb.462:
	v_cmp_eq_u16_e32 vcc, 15, v6
	s_mov_b64 s[0:1], -1
	s_cbranch_vccz .LBB10_464
; %bb.463:
	v_cvt_f32_f64_e32 v2, v[0:1]
	v_bfe_u32 v3, v2, 16, 1
	s_movk_i32 s0, 0x7fff
	v_add3_u32 v3, v2, v3, s0
	v_lshrrev_b32_e32 v3, 16, v3
	v_mov_b32_e32 v7, 0x7fc0
	v_cmp_o_f32_e32 vcc, v2, v2
	s_mov_b64 s[0:1], 0
	s_nop 0
	v_cndmask_b32_e32 v2, v7, v3, vcc
	global_store_short v[4:5], v2, off
.LBB10_464:
	s_mov_b64 s[6:7], 0
.LBB10_465:
	s_and_b64 vcc, exec, s[6:7]
	s_cbranch_vccz .LBB10_468
; %bb.466:
	v_cmp_ne_u16_e32 vcc, 11, v6
	s_andn2_b64 s[0:1], s[0:1], exec
	s_and_b64 s[6:7], vcc, exec
	s_mov_b64 s[4:5], -1
	s_or_b64 s[0:1], s[0:1], s[6:7]
	s_branch .LBB10_468
.LBB10_467:
	s_mov_b64 s[4:5], 0
.LBB10_468:
	s_and_b64 s[6:7], s[2:3], exec
	s_and_b64 s[2:3], s[4:5], exec
	s_andn2_b64 s[4:5], s[54:55], exec
	s_and_b64 s[0:1], s[0:1], exec
	s_or_b64 s[4:5], s[4:5], s[0:1]
.LBB10_469:
	s_or_b64 exec, exec, s[56:57]
	s_and_b64 s[0:1], s[2:3], exec
	s_andn2_b64 s[2:3], s[54:55], exec
	s_and_b64 s[4:5], s[4:5], exec
	s_and_b64 s[6:7], s[6:7], exec
	s_or_b64 s[54:55], s[2:3], s[4:5]
.LBB10_470:
	s_or_b64 exec, exec, s[52:53]
	s_and_b64 s[2:3], s[6:7], exec
	s_andn2_b64 s[4:5], s[48:49], exec
	s_and_b64 s[6:7], s[54:55], exec
	s_and_b64 s[0:1], s[0:1], exec
	s_or_b64 s[48:49], s[4:5], s[6:7]
.LBB10_471:
	s_or_b64 exec, exec, s[50:51]
	s_and_b64 s[50:51], s[0:1], exec
	s_andn2_b64 s[0:1], s[44:45], exec
	s_and_b64 s[4:5], s[48:49], exec
	s_and_b64 s[2:3], s[2:3], exec
	s_or_b64 s[44:45], s[0:1], s[4:5]
	s_or_b64 exec, exec, s[46:47]
	s_mov_b64 s[0:1], 0
	s_and_saveexec_b64 s[4:5], s[44:45]
	s_cbranch_execz .LBB10_134
.LBB10_472:
	s_mov_b64 s[0:1], exec
	s_andn2_b64 s[50:51], s[50:51], exec
	s_trap 2
	s_or_b64 exec, exec, s[4:5]
	s_and_saveexec_b64 s[4:5], s[50:51]
	s_xor_b64 s[4:5], exec, s[4:5]
	s_cbranch_execnz .LBB10_135
.LBB10_473:
	s_or_b64 exec, exec, s[4:5]
	s_and_saveexec_b64 s[4:5], s[2:3]
	s_xor_b64 s[2:3], exec, s[4:5]
	s_cbranch_execz .LBB10_511
.LBB10_474:
	v_cmp_gt_i16_e32 vcc, 5, v6
	s_mov_b64 s[4:5], -1
	s_cbranch_vccnz .LBB10_495
; %bb.475:
	v_cmp_gt_i16_e32 vcc, 8, v6
	s_cbranch_vccnz .LBB10_485
; %bb.476:
	v_cmp_gt_i16_e32 vcc, 9, v6
	s_cbranch_vccnz .LBB10_482
; %bb.477:
	v_cmp_lt_i16_e32 vcc, 9, v6
	s_cbranch_vccz .LBB10_479
; %bb.478:
	v_mov_b32_e32 v2, 0
	v_mov_b32_e32 v3, v2
	s_mov_b64 s[4:5], 0
	global_store_dwordx4 v[4:5], v[0:3], off
.LBB10_479:
	s_andn2_b64 vcc, exec, s[4:5]
	s_cbranch_vccnz .LBB10_481
; %bb.480:
	v_cvt_f32_f64_e32 v2, v[0:1]
	v_mov_b32_e32 v3, 0
	global_store_dwordx2 v[4:5], v[2:3], off
.LBB10_481:
	s_mov_b64 s[4:5], 0
.LBB10_482:
	s_andn2_b64 vcc, exec, s[4:5]
	s_cbranch_vccnz .LBB10_484
; %bb.483:
	v_cvt_f32_f64_e32 v2, v[0:1]
	v_cvt_f16_f32_e32 v2, v2
	global_store_dword v[4:5], v2, off
.LBB10_484:
	s_mov_b64 s[4:5], 0
.LBB10_485:
	s_andn2_b64 vcc, exec, s[4:5]
	s_cbranch_vccnz .LBB10_494
; %bb.486:
	v_cmp_gt_i16_e32 vcc, 6, v6
	s_mov_b64 s[4:5], -1
	s_cbranch_vccnz .LBB10_492
; %bb.487:
	v_cmp_lt_i16_e32 vcc, 6, v6
	s_cbranch_vccz .LBB10_489
; %bb.488:
	s_mov_b64 s[4:5], 0
	global_store_dwordx2 v[4:5], v[0:1], off
.LBB10_489:
	s_andn2_b64 vcc, exec, s[4:5]
	s_cbranch_vccnz .LBB10_491
; %bb.490:
	v_cvt_f32_f64_e32 v2, v[0:1]
	global_store_dword v[4:5], v2, off
.LBB10_491:
	s_mov_b64 s[4:5], 0
.LBB10_492:
	s_andn2_b64 vcc, exec, s[4:5]
	s_cbranch_vccnz .LBB10_494
; %bb.493:
	v_cvt_f32_f64_e32 v2, v[0:1]
	v_cvt_f16_f32_e32 v2, v2
	global_store_short v[4:5], v2, off
.LBB10_494:
	s_mov_b64 s[4:5], 0
.LBB10_495:
	s_andn2_b64 vcc, exec, s[4:5]
	s_cbranch_vccnz .LBB10_511
; %bb.496:
	v_cmp_gt_i16_e32 vcc, 2, v6
	s_mov_b64 s[4:5], -1
	s_cbranch_vccnz .LBB10_506
; %bb.497:
	v_cmp_gt_i16_e32 vcc, 3, v6
	s_cbranch_vccnz .LBB10_503
; %bb.498:
	v_cmp_lt_i16_e32 vcc, 3, v6
	s_cbranch_vccz .LBB10_500
; %bb.499:
	v_trunc_f64_e32 v[2:3], v[0:1]
	s_movk_i32 s4, 0xffe0
	v_ldexp_f64 v[8:9], v[2:3], s4
	v_floor_f64_e32 v[8:9], v[8:9]
	v_fmac_f64_e32 v[2:3], 0xc1f00000, v[8:9]
	v_cvt_i32_f64_e32 v11, v[8:9]
	v_cvt_u32_f64_e32 v10, v[2:3]
	s_mov_b64 s[4:5], 0
	global_store_dwordx2 v[4:5], v[10:11], off
.LBB10_500:
	s_andn2_b64 vcc, exec, s[4:5]
	s_cbranch_vccnz .LBB10_502
; %bb.501:
	v_cvt_i32_f64_e32 v2, v[0:1]
	global_store_dword v[4:5], v2, off
.LBB10_502:
	s_mov_b64 s[4:5], 0
.LBB10_503:
	s_andn2_b64 vcc, exec, s[4:5]
	s_cbranch_vccnz .LBB10_505
; %bb.504:
	v_cvt_i32_f64_e32 v2, v[0:1]
	global_store_short v[4:5], v2, off
.LBB10_505:
	s_mov_b64 s[4:5], 0
.LBB10_506:
	s_andn2_b64 vcc, exec, s[4:5]
	s_cbranch_vccnz .LBB10_511
; %bb.507:
	v_cmp_lt_i16_e32 vcc, 0, v6
	s_mov_b64 s[4:5], -1
	s_cbranch_vccz .LBB10_509
; %bb.508:
	v_cvt_i32_f64_e32 v2, v[0:1]
	s_mov_b64 s[4:5], 0
	global_store_byte v[4:5], v2, off
.LBB10_509:
	s_andn2_b64 vcc, exec, s[4:5]
	s_cbranch_vccnz .LBB10_511
; %bb.510:
	v_trunc_f64_e32 v[0:1], v[0:1]
	s_movk_i32 s4, 0xffe0
	v_ldexp_f64 v[2:3], v[0:1], s4
	v_floor_f64_e32 v[2:3], v[2:3]
	v_fmac_f64_e32 v[0:1], 0xc1f00000, v[2:3]
	v_cvt_u32_f64_e32 v0, v[0:1]
	global_store_byte v[4:5], v0, off
.LBB10_511:
	s_or_b64 exec, exec, s[2:3]
	s_and_b64 s[44:45], s[0:1], exec
                                        ; implicit-def: $vgpr43
                                        ; implicit-def: $vgpr40
                                        ; implicit-def: $vgpr41
                                        ; implicit-def: $vgpr42
.LBB10_512:
	s_or_saveexec_b64 s[42:43], s[42:43]
	s_mov_b64 s[0:1], 0
                                        ; implicit-def: $vgpr6
                                        ; implicit-def: $vgpr4_vgpr5
                                        ; implicit-def: $vgpr0_vgpr1
	s_xor_b64 exec, exec, s[42:43]
	s_cbranch_execz .LBB10_963
; %bb.513:
	v_mov_b32_e32 v0, s38
	v_mov_b32_e32 v1, s39
	;; [unrolled: 1-line block ×5, first 2 shown]
	v_add_u32_e32 v34, 0x80, v40
	v_add_u32_e32 v35, 0x100, v40
	s_getpc_b64 s[40:41]
	s_add_u32 s40, s40, _ZN2at6native6invokeIZZZNS0_12_GLOBAL__N_121bessel_y0_kernel_cudaERNS_18TensorIteratorBaseEENKUlvE_clEvENKUlvE_clEvEUldE_i15function_traitsIS7_EEENT1_11result_typeERKT_PrKPcPKT0_PKN3c1010ScalarTypeEi@rel32@lo+4
	s_addc_u32 s41, s41, _ZN2at6native6invokeIZZZNS0_12_GLOBAL__N_121bessel_y0_kernel_cudaERNS_18TensorIteratorBaseEENKUlvE_clEvENKUlvE_clEvEUldE_i15function_traitsIS7_EEENT1_11result_typeERKT_PrKPcPKT0_PKN3c1010ScalarTypeEi@rel32@hi+12
	s_swappc_b64 s[30:31], s[40:41]
	v_mov_b32_e32 v38, v0
	v_mov_b32_e32 v39, v1
	v_mov_b32_e32 v0, s38
	v_mov_b32_e32 v1, s39
	v_mov_b32_e32 v2, s35
	v_mov_b32_e32 v3, v41
	v_mov_b32_e32 v4, v34
	s_swappc_b64 s[30:31], s[40:41]
	v_mov_b32_e32 v36, v0
	v_mov_b32_e32 v37, v1
	v_mov_b32_e32 v0, s38
	v_mov_b32_e32 v1, s39
	v_mov_b32_e32 v2, s35
	v_mov_b32_e32 v3, v41
	v_mov_b32_e32 v4, v35
	;; [unrolled: 8-line block ×3, first 2 shown]
	s_swappc_b64 s[30:31], s[40:41]
	v_mul_lo_u32 v2, s34, v40
	v_ashrrev_i32_e32 v3, 31, v2
	v_lshl_add_u64 v[4:5], s[36:37], 0, v[2:3]
	v_mov_b32_e32 v3, 11
	v_cmp_lt_i16_sdwa s[0:1], v43, v3 src0_sel:BYTE_0 src1_sel:DWORD
	s_and_b64 vcc, exec, s[0:1]
	s_cbranch_vccnz .LBB10_520
; %bb.514:
	v_mov_b32_e32 v3, 25
	v_cmp_gt_i16_sdwa s[0:1], v43, v3 src0_sel:BYTE_0 src1_sel:DWORD
	s_mov_b64 s[2:3], -1
	s_mov_b64 s[4:5], 0
	s_and_b64 vcc, exec, s[0:1]
	s_mov_b64 s[6:7], 0
	s_mov_b64 s[0:1], 0
	s_cbranch_vccz .LBB10_550
; %bb.515:
	v_mov_b32_e32 v3, 28
	v_cmp_gt_i16_sdwa s[0:1], v43, v3 src0_sel:BYTE_0 src1_sel:DWORD
	s_and_b64 vcc, exec, s[0:1]
	s_cbranch_vccz .LBB10_522
; %bb.516:
	v_mov_b32_e32 v3, 43
	v_cmp_gt_i16_sdwa s[0:1], v43, v3 src0_sel:BYTE_0 src1_sel:DWORD
	s_and_b64 vcc, exec, s[0:1]
	;; [unrolled: 5-line block ×3, first 2 shown]
	s_cbranch_vccz .LBB10_524
; %bb.518:
	v_mov_b32_e32 v3, 46
	v_cmp_eq_u16_sdwa s[6:7], v43, v3 src0_sel:BYTE_0 src1_sel:DWORD
	s_mov_b64 s[0:1], -1
	s_mov_b64 s[2:3], 0
	s_and_b64 vcc, exec, s[6:7]
	s_mov_b64 s[6:7], 0
	s_cbranch_vccz .LBB10_525
; %bb.519:
	v_cvt_f32_f64_e32 v3, v[38:39]
	v_bfe_u32 v6, v3, 16, 1
	s_movk_i32 s0, 0x7fff
	v_add3_u32 v6, v3, v6, s0
	v_lshrrev_b32_e32 v6, 16, v6
	v_mov_b32_e32 v7, 0x7fc0
	v_cmp_o_f32_e32 vcc, v3, v3
	s_mov_b64 s[0:1], 0
	s_mov_b64 s[6:7], -1
	v_cndmask_b32_e32 v3, v7, v6, vcc
	global_store_dword v[4:5], v3, off
	s_branch .LBB10_525
.LBB10_520:
	s_mov_b64 s[6:7], 0
	s_mov_b64 s[2:3], s[44:45]
	s_cbranch_execnz .LBB10_594
.LBB10_521:
	s_andn2_b64 vcc, exec, s[6:7]
	s_cbranch_vccz .LBB10_632
	s_branch .LBB10_961
.LBB10_522:
	s_mov_b64 s[0:1], 0
	s_and_b64 vcc, exec, s[2:3]
	s_cbranch_vccz .LBB10_549
	s_branch .LBB10_534
.LBB10_523:
	s_mov_b64 s[0:1], 0
	s_and_b64 vcc, exec, s[2:3]
	s_cbranch_vccnz .LBB10_531
	s_branch .LBB10_533
.LBB10_524:
	s_mov_b64 s[0:1], 0
.LBB10_525:
	s_and_b64 vcc, exec, s[2:3]
	s_cbranch_vccz .LBB10_530
; %bb.526:
	v_mov_b32_e32 v3, 44
	v_cmp_eq_u16_sdwa s[2:3], v43, v3 src0_sel:BYTE_0 src1_sel:DWORD
	s_mov_b64 s[0:1], -1
	s_and_b64 vcc, exec, s[2:3]
	s_cbranch_vccz .LBB10_530
; %bb.527:
	v_cvt_f32_f64_e32 v3, v[38:39]
	v_bfe_u32 v6, v3, 23, 8
	s_movk_i32 s0, 0xff
	v_cmp_ne_u32_e32 vcc, s0, v6
	v_mov_b32_e32 v7, 0xff
	s_and_saveexec_b64 s[2:3], vcc
; %bb.528:
	s_mov_b32 s0, 0x3fffff
	v_lshrrev_b32_e32 v7, 23, v3
	v_and_b32_e32 v8, 0x400000, v3
	v_and_or_b32 v3, v3, s0, v6
	v_cmp_ne_u32_e32 vcc, 0, v8
	v_cmp_ne_u32_e64 s[0:1], 0, v3
	s_and_b64 s[0:1], vcc, s[0:1]
	s_nop 0
	v_cndmask_b32_e64 v3, 0, 1, s[0:1]
	v_add_u32_e32 v7, v7, v3
; %bb.529:
	s_or_b64 exec, exec, s[2:3]
	s_mov_b64 s[0:1], 0
	s_mov_b64 s[6:7], -1
	global_store_byte v[4:5], v7, off
.LBB10_530:
	s_branch .LBB10_533
.LBB10_531:
	v_mov_b32_e32 v3, 29
	v_cmp_eq_u16_sdwa s[2:3], v43, v3 src0_sel:BYTE_0 src1_sel:DWORD
	s_mov_b64 s[0:1], -1
	s_and_b64 vcc, exec, s[2:3]
	s_cbranch_vccz .LBB10_533
; %bb.532:
	v_trunc_f64_e32 v[6:7], v[38:39]
	s_movk_i32 s0, 0xffe0
	v_ldexp_f64 v[8:9], v[6:7], s0
	v_floor_f64_e32 v[8:9], v[8:9]
	v_fmac_f64_e32 v[6:7], 0xc1f00000, v[8:9]
	v_cvt_u32_f64_e32 v11, v[8:9]
	v_cvt_u32_f64_e32 v10, v[6:7]
	global_store_dwordx2 v[4:5], v[10:11], off
	s_mov_b64 s[0:1], 0
	s_mov_b64 s[6:7], -1
.LBB10_533:
	s_branch .LBB10_549
.LBB10_534:
	v_mov_b32_e32 v3, 27
	v_cmp_lt_i16_sdwa s[6:7], v43, v3 src0_sel:BYTE_0 src1_sel:DWORD
	s_mov_b64 s[2:3], -1
	s_and_b64 vcc, exec, s[6:7]
	s_cbranch_vccnz .LBB10_540
; %bb.535:
	v_cmp_gt_i16_sdwa s[6:7], v43, v3 src0_sel:BYTE_0 src1_sel:DWORD
	s_and_b64 vcc, exec, s[6:7]
	v_cvt_u32_f64_e32 v3, v[38:39]
	s_cbranch_vccz .LBB10_537
; %bb.536:
	s_mov_b64 s[2:3], 0
	global_store_dword v[4:5], v3, off
.LBB10_537:
	s_andn2_b64 vcc, exec, s[2:3]
	s_cbranch_vccnz .LBB10_539
; %bb.538:
	global_store_short v[4:5], v3, off
.LBB10_539:
	s_mov_b64 s[2:3], 0
.LBB10_540:
	s_andn2_b64 vcc, exec, s[2:3]
	s_cbranch_vccnz .LBB10_548
; %bb.541:
	v_cvt_f32_f64_e32 v3, v[38:39]
	v_and_b32_e32 v6, 0x7fffffff, v3
	s_mov_b32 s2, 0x43800000
	v_cmp_gt_u32_e32 vcc, s2, v6
	v_mov_b32_e32 v7, 0x80
	s_and_saveexec_b64 s[2:3], vcc
	s_cbranch_execz .LBB10_547
; %bb.542:
	s_mov_b32 s6, 0x3bffffff
	v_cmp_lt_u32_e32 vcc, s6, v6
	s_mov_b64 s[6:7], 0
                                        ; implicit-def: $vgpr6
	s_and_saveexec_b64 s[8:9], vcc
	s_xor_b64 s[8:9], exec, s[8:9]
	s_cbranch_execz .LBB10_642
; %bb.543:
	v_bfe_u32 v6, v3, 20, 1
	s_mov_b32 s10, 0x487ffff
	v_add3_u32 v6, v3, v6, s10
	s_mov_b64 s[6:7], exec
	v_lshrrev_b32_e32 v6, 20, v6
	s_or_saveexec_b64 s[8:9], s[8:9]
                                        ; implicit-def: $sgpr10
	s_xor_b64 exec, exec, s[8:9]
	s_cbranch_execnz .LBB10_643
.LBB10_544:
	s_or_b64 exec, exec, s[8:9]
	v_mov_b32_e32 v7, s10
	s_and_saveexec_b64 s[8:9], s[6:7]
.LBB10_545:
	v_lshrrev_b32_e32 v3, 24, v3
	s_movk_i32 s6, 0x80
	v_and_or_b32 v7, v3, s6, v6
.LBB10_546:
	s_or_b64 exec, exec, s[8:9]
.LBB10_547:
	s_or_b64 exec, exec, s[2:3]
	global_store_byte v[4:5], v7, off
.LBB10_548:
	s_mov_b64 s[6:7], -1
.LBB10_549:
	s_mov_b64 s[2:3], 0
.LBB10_550:
	s_and_b64 vcc, exec, s[2:3]
	s_cbranch_vccz .LBB10_590
; %bb.551:
	v_mov_b32_e32 v3, 22
	v_cmp_gt_i16_sdwa s[4:5], v43, v3 src0_sel:BYTE_0 src1_sel:DWORD
	s_mov_b64 s[2:3], -1
	s_and_b64 vcc, exec, s[4:5]
	s_cbranch_vccz .LBB10_583
; %bb.552:
	v_mov_b32_e32 v3, 24
	v_cmp_lt_i16_sdwa s[4:5], v43, v3 src0_sel:BYTE_0 src1_sel:DWORD
	s_and_b64 vcc, exec, s[4:5]
	s_cbranch_vccnz .LBB10_572
; %bb.553:
	v_cmp_gt_i16_sdwa s[4:5], v43, v3 src0_sel:BYTE_0 src1_sel:DWORD
	s_and_b64 vcc, exec, s[4:5]
	s_cbranch_vccz .LBB10_561
; %bb.554:
	v_cvt_f32_f64_e32 v3, v[38:39]
	v_and_b32_e32 v6, 0x7fffffff, v3
	s_mov_b32 s2, 0x47800000
	v_cmp_gt_u32_e32 vcc, s2, v6
	v_mov_b32_e32 v7, 0x80
	s_and_saveexec_b64 s[2:3], vcc
	s_cbranch_execz .LBB10_560
; %bb.555:
	s_mov_b32 s4, 0x37ffffff
	v_cmp_lt_u32_e32 vcc, s4, v6
	s_mov_b64 s[4:5], 0
                                        ; implicit-def: $vgpr6
	s_and_saveexec_b64 s[6:7], vcc
	s_xor_b64 s[6:7], exec, s[6:7]
	s_cbranch_execz .LBB10_646
; %bb.556:
	v_bfe_u32 v6, v3, 21, 1
	s_mov_b32 s8, 0x88fffff
	v_add3_u32 v6, v3, v6, s8
	s_mov_b64 s[4:5], exec
	v_lshrrev_b32_e32 v6, 21, v6
	s_or_saveexec_b64 s[6:7], s[6:7]
                                        ; implicit-def: $sgpr8
	s_xor_b64 exec, exec, s[6:7]
	s_cbranch_execnz .LBB10_647
.LBB10_557:
	s_or_b64 exec, exec, s[6:7]
	v_mov_b32_e32 v7, s8
	s_and_saveexec_b64 s[6:7], s[4:5]
.LBB10_558:
	v_lshrrev_b32_e32 v3, 24, v3
	s_movk_i32 s4, 0x80
	v_and_or_b32 v7, v3, s4, v6
.LBB10_559:
	s_or_b64 exec, exec, s[6:7]
.LBB10_560:
	s_or_b64 exec, exec, s[2:3]
	s_mov_b64 s[2:3], 0
	global_store_byte v[4:5], v7, off
.LBB10_561:
	s_and_b64 vcc, exec, s[2:3]
	s_cbranch_vccz .LBB10_571
; %bb.562:
	v_cvt_f32_f64_e32 v3, v[38:39]
	v_and_b32_e32 v7, 0x7fffffff, v3
	s_mov_b32 s2, 0x43f00000
	v_cmp_gt_u32_e32 vcc, s2, v7
                                        ; implicit-def: $vgpr6
	s_and_saveexec_b64 s[2:3], vcc
	s_xor_b64 s[2:3], exec, s[2:3]
	s_cbranch_execz .LBB10_568
; %bb.563:
	s_mov_b32 s4, 0x3c7fffff
	v_cmp_lt_u32_e32 vcc, s4, v7
                                        ; implicit-def: $vgpr6
	s_and_saveexec_b64 s[4:5], vcc
	s_xor_b64 s[4:5], exec, s[4:5]
; %bb.564:
	v_bfe_u32 v6, v3, 20, 1
	s_mov_b32 s6, 0x407ffff
	v_add3_u32 v6, v3, v6, s6
	v_lshrrev_b32_e32 v7, 20, v6
	v_and_b32_e32 v6, 0xff00000, v6
	s_mov_b32 s6, 0x7f00000
	v_mov_b32_e32 v8, 0x7e
	v_cmp_ne_u32_e32 vcc, s6, v6
	s_nop 1
	v_cndmask_b32_e32 v6, v8, v7, vcc
; %bb.565:
	s_andn2_saveexec_b64 s[4:5], s[4:5]
; %bb.566:
	s_mov_b32 s6, 0x46800000
	v_add_f32_e64 v6, |v3|, s6
; %bb.567:
	s_or_b64 exec, exec, s[4:5]
                                        ; implicit-def: $vgpr7
.LBB10_568:
	s_andn2_saveexec_b64 s[2:3], s[2:3]
; %bb.569:
	s_mov_b32 s4, 0x7f800000
	v_mov_b32_e32 v6, 0x7e
	v_mov_b32_e32 v8, 0x7f
	v_cmp_lt_u32_e32 vcc, s4, v7
	s_nop 1
	v_cndmask_b32_e32 v6, v6, v8, vcc
; %bb.570:
	s_or_b64 exec, exec, s[2:3]
	v_lshrrev_b32_e32 v3, 24, v3
	s_movk_i32 s2, 0x80
	v_and_or_b32 v3, v3, s2, v6
	global_store_byte v[4:5], v3, off
.LBB10_571:
	s_mov_b64 s[2:3], 0
.LBB10_572:
	s_andn2_b64 vcc, exec, s[2:3]
	s_cbranch_vccnz .LBB10_582
; %bb.573:
	v_cvt_f32_f64_e32 v3, v[38:39]
	v_and_b32_e32 v7, 0x7fffffff, v3
	s_mov_b32 s2, 0x47800000
	v_cmp_gt_u32_e32 vcc, s2, v7
                                        ; implicit-def: $vgpr6
	s_and_saveexec_b64 s[2:3], vcc
	s_xor_b64 s[2:3], exec, s[2:3]
	s_cbranch_execz .LBB10_579
; %bb.574:
	s_mov_b32 s4, 0x387fffff
	v_cmp_lt_u32_e32 vcc, s4, v7
                                        ; implicit-def: $vgpr6
	s_and_saveexec_b64 s[4:5], vcc
	s_xor_b64 s[4:5], exec, s[4:5]
; %bb.575:
	v_bfe_u32 v6, v3, 21, 1
	s_mov_b32 s6, 0x80fffff
	v_add3_u32 v6, v3, v6, s6
	v_lshrrev_b32_e32 v6, 21, v6
; %bb.576:
	s_andn2_saveexec_b64 s[4:5], s[4:5]
; %bb.577:
	s_mov_b32 s6, 0x43000000
	v_add_f32_e64 v6, |v3|, s6
; %bb.578:
	s_or_b64 exec, exec, s[4:5]
                                        ; implicit-def: $vgpr7
.LBB10_579:
	s_andn2_saveexec_b64 s[2:3], s[2:3]
; %bb.580:
	s_mov_b32 s4, 0x7f800000
	v_mov_b32_e32 v6, 0x7c
	v_mov_b32_e32 v8, 0x7f
	v_cmp_lt_u32_e32 vcc, s4, v7
	s_nop 1
	v_cndmask_b32_e32 v6, v6, v8, vcc
; %bb.581:
	s_or_b64 exec, exec, s[2:3]
	v_lshrrev_b32_e32 v3, 24, v3
	s_movk_i32 s2, 0x80
	v_and_or_b32 v3, v3, s2, v6
	global_store_byte v[4:5], v3, off
.LBB10_582:
	s_mov_b64 s[2:3], 0
	s_mov_b64 s[6:7], -1
.LBB10_583:
	s_andn2_b64 vcc, exec, s[2:3]
	s_mov_b64 s[4:5], 0
	s_cbranch_vccnz .LBB10_590
; %bb.584:
	v_mov_b32_e32 v3, 14
	v_cmp_gt_i16_sdwa s[4:5], v43, v3 src0_sel:BYTE_0 src1_sel:DWORD
	s_mov_b64 s[2:3], -1
	s_and_b64 vcc, exec, s[4:5]
	s_cbranch_vccz .LBB10_588
; %bb.585:
	v_mov_b32_e32 v3, 15
	v_cmp_eq_u16_sdwa s[2:3], v43, v3 src0_sel:BYTE_0 src1_sel:DWORD
	s_mov_b64 s[0:1], -1
	s_and_b64 vcc, exec, s[2:3]
	s_cbranch_vccz .LBB10_587
; %bb.586:
	v_cvt_f32_f64_e32 v3, v[38:39]
	v_bfe_u32 v6, v3, 16, 1
	s_movk_i32 s0, 0x7fff
	v_add3_u32 v6, v3, v6, s0
	v_lshrrev_b32_e32 v6, 16, v6
	v_mov_b32_e32 v7, 0x7fc0
	v_cmp_o_f32_e32 vcc, v3, v3
	s_mov_b64 s[0:1], 0
	s_mov_b64 s[6:7], -1
	v_cndmask_b32_e32 v3, v7, v6, vcc
	global_store_short v[4:5], v3, off
.LBB10_587:
	s_mov_b64 s[2:3], 0
.LBB10_588:
	s_mov_b64 s[4:5], 0
	s_and_b64 vcc, exec, s[2:3]
	s_cbranch_vccz .LBB10_590
; %bb.589:
	v_mov_b32_e32 v3, 11
	v_cmp_ne_u16_sdwa s[0:1], v43, v3 src0_sel:BYTE_0 src1_sel:DWORD
	s_mov_b64 s[4:5], -1
.LBB10_590:
	s_and_b64 vcc, exec, s[0:1]
	s_mov_b64 s[2:3], s[44:45]
	s_cbranch_vccnz .LBB10_645
; %bb.591:
	s_andn2_b64 vcc, exec, s[4:5]
	s_cbranch_vccnz .LBB10_593
.LBB10_592:
	v_cmp_neq_f64_e32 vcc, 0, v[38:39]
	s_mov_b64 s[6:7], -1
	s_nop 0
	v_cndmask_b32_e64 v3, 0, 1, vcc
	global_store_byte v[4:5], v3, off
.LBB10_593:
	s_branch .LBB10_521
.LBB10_594:
	v_mov_b32_e32 v3, 5
	v_cmp_lt_i16_sdwa s[4:5], v43, v3 src0_sel:BYTE_0 src1_sel:DWORD
	s_mov_b64 s[0:1], -1
	s_and_b64 vcc, exec, s[4:5]
	s_cbranch_vccnz .LBB10_615
; %bb.595:
	v_mov_b32_e32 v3, 8
	v_cmp_lt_i16_sdwa s[4:5], v43, v3 src0_sel:BYTE_0 src1_sel:DWORD
	s_and_b64 vcc, exec, s[4:5]
	s_cbranch_vccnz .LBB10_605
; %bb.596:
	v_mov_b32_e32 v3, 9
	v_cmp_lt_i16_sdwa s[4:5], v43, v3 src0_sel:BYTE_0 src1_sel:DWORD
	s_and_b64 vcc, exec, s[4:5]
	s_cbranch_vccnz .LBB10_602
; %bb.597:
	v_cmp_gt_i16_sdwa s[4:5], v43, v3 src0_sel:BYTE_0 src1_sel:DWORD
	s_and_b64 vcc, exec, s[4:5]
	s_cbranch_vccz .LBB10_599
; %bb.598:
	v_mov_b32_e32 v40, 0
	v_mov_b32_e32 v41, v40
	global_store_dwordx4 v[4:5], v[38:41], off
	s_mov_b64 s[0:1], 0
.LBB10_599:
	s_andn2_b64 vcc, exec, s[0:1]
	s_cbranch_vccnz .LBB10_601
; %bb.600:
	v_cvt_f32_f64_e32 v6, v[38:39]
	v_mov_b32_e32 v7, 0
	global_store_dwordx2 v[4:5], v[6:7], off
.LBB10_601:
	s_mov_b64 s[0:1], 0
.LBB10_602:
	s_andn2_b64 vcc, exec, s[0:1]
	s_cbranch_vccnz .LBB10_604
; %bb.603:
	v_cvt_f32_f64_e32 v3, v[38:39]
	v_cvt_f16_f32_e32 v3, v3
	global_store_dword v[4:5], v3, off
.LBB10_604:
	s_mov_b64 s[0:1], 0
.LBB10_605:
	s_andn2_b64 vcc, exec, s[0:1]
	s_cbranch_vccnz .LBB10_614
; %bb.606:
	v_mov_b32_e32 v3, 6
	v_cmp_lt_i16_sdwa s[4:5], v43, v3 src0_sel:BYTE_0 src1_sel:DWORD
	s_mov_b64 s[0:1], -1
	s_and_b64 vcc, exec, s[4:5]
	s_cbranch_vccnz .LBB10_612
; %bb.607:
	v_cmp_gt_i16_sdwa s[4:5], v43, v3 src0_sel:BYTE_0 src1_sel:DWORD
	s_and_b64 vcc, exec, s[4:5]
	s_cbranch_vccz .LBB10_609
; %bb.608:
	global_store_dwordx2 v[4:5], v[38:39], off
	s_mov_b64 s[0:1], 0
.LBB10_609:
	s_andn2_b64 vcc, exec, s[0:1]
	s_cbranch_vccnz .LBB10_611
; %bb.610:
	v_cvt_f32_f64_e32 v3, v[38:39]
	global_store_dword v[4:5], v3, off
.LBB10_611:
	s_mov_b64 s[0:1], 0
.LBB10_612:
	s_andn2_b64 vcc, exec, s[0:1]
	s_cbranch_vccnz .LBB10_614
; %bb.613:
	v_cvt_f32_f64_e32 v3, v[38:39]
	v_cvt_f16_f32_e32 v3, v3
	global_store_short v[4:5], v3, off
.LBB10_614:
	s_mov_b64 s[0:1], 0
.LBB10_615:
	s_andn2_b64 vcc, exec, s[0:1]
	s_cbranch_vccnz .LBB10_631
; %bb.616:
	v_mov_b32_e32 v3, 2
	v_cmp_lt_i16_sdwa s[4:5], v43, v3 src0_sel:BYTE_0 src1_sel:DWORD
	s_mov_b64 s[0:1], -1
	s_and_b64 vcc, exec, s[4:5]
	s_cbranch_vccnz .LBB10_626
; %bb.617:
	v_mov_b32_e32 v3, 3
	v_cmp_lt_i16_sdwa s[4:5], v43, v3 src0_sel:BYTE_0 src1_sel:DWORD
	s_and_b64 vcc, exec, s[4:5]
	s_cbranch_vccnz .LBB10_623
; %bb.618:
	v_cmp_gt_i16_sdwa s[4:5], v43, v3 src0_sel:BYTE_0 src1_sel:DWORD
	s_and_b64 vcc, exec, s[4:5]
	s_cbranch_vccz .LBB10_620
; %bb.619:
	v_trunc_f64_e32 v[6:7], v[38:39]
	s_movk_i32 s0, 0xffe0
	v_ldexp_f64 v[8:9], v[6:7], s0
	v_floor_f64_e32 v[8:9], v[8:9]
	v_fmac_f64_e32 v[6:7], 0xc1f00000, v[8:9]
	v_cvt_i32_f64_e32 v11, v[8:9]
	v_cvt_u32_f64_e32 v10, v[6:7]
	global_store_dwordx2 v[4:5], v[10:11], off
	s_mov_b64 s[0:1], 0
.LBB10_620:
	s_andn2_b64 vcc, exec, s[0:1]
	s_cbranch_vccnz .LBB10_622
; %bb.621:
	v_cvt_i32_f64_e32 v3, v[38:39]
	global_store_dword v[4:5], v3, off
.LBB10_622:
	s_mov_b64 s[0:1], 0
.LBB10_623:
	s_andn2_b64 vcc, exec, s[0:1]
	s_cbranch_vccnz .LBB10_625
; %bb.624:
	v_cvt_i32_f64_e32 v3, v[38:39]
	global_store_short v[4:5], v3, off
.LBB10_625:
	s_mov_b64 s[0:1], 0
.LBB10_626:
	s_andn2_b64 vcc, exec, s[0:1]
	s_cbranch_vccnz .LBB10_631
; %bb.627:
	v_mov_b32_e32 v3, 0
	v_cmp_gt_i16_sdwa s[4:5], v43, v3 src0_sel:BYTE_0 src1_sel:DWORD
	s_mov_b64 s[0:1], -1
	s_and_b64 vcc, exec, s[4:5]
	s_cbranch_vccz .LBB10_629
; %bb.628:
	v_cvt_i32_f64_e32 v3, v[38:39]
	global_store_byte v[4:5], v3, off
	s_mov_b64 s[0:1], 0
.LBB10_629:
	s_andn2_b64 vcc, exec, s[0:1]
	s_cbranch_vccnz .LBB10_631
; %bb.630:
	v_trunc_f64_e32 v[6:7], v[38:39]
	s_movk_i32 s0, 0xffe0
	v_ldexp_f64 v[8:9], v[6:7], s0
	v_floor_f64_e32 v[8:9], v[8:9]
	v_fmac_f64_e32 v[6:7], 0xc1f00000, v[8:9]
	v_cvt_u32_f64_e32 v3, v[6:7]
	global_store_byte v[4:5], v3, off
.LBB10_631:
.LBB10_632:
	s_lshl_b32 s12, s34, 7
	v_add_u32_e32 v2, s12, v2
	v_ashrrev_i32_e32 v3, 31, v2
	v_lshl_add_u64 v[4:5], s[36:37], 0, v[2:3]
	v_mov_b32_e32 v3, 11
	v_cmp_lt_i16_sdwa s[0:1], v43, v3 src0_sel:BYTE_0 src1_sel:DWORD
	s_and_b64 vcc, exec, s[0:1]
	s_cbranch_vccnz .LBB10_639
; %bb.633:
	v_mov_b32_e32 v3, 25
	v_cmp_gt_i16_sdwa s[0:1], v43, v3 src0_sel:BYTE_0 src1_sel:DWORD
	s_mov_b64 s[8:9], -1
	s_mov_b64 s[4:5], 0
	s_and_b64 vcc, exec, s[0:1]
	s_mov_b64 s[6:7], 0
	s_mov_b64 s[0:1], 0
	s_cbranch_vccz .LBB10_676
; %bb.634:
	v_mov_b32_e32 v3, 28
	v_cmp_gt_i16_sdwa s[0:1], v43, v3 src0_sel:BYTE_0 src1_sel:DWORD
	s_and_b64 vcc, exec, s[0:1]
	s_cbranch_vccz .LBB10_641
; %bb.635:
	v_mov_b32_e32 v3, 43
	v_cmp_gt_i16_sdwa s[0:1], v43, v3 src0_sel:BYTE_0 src1_sel:DWORD
	s_and_b64 vcc, exec, s[0:1]
	;; [unrolled: 5-line block ×3, first 2 shown]
	s_cbranch_vccz .LBB10_648
; %bb.637:
	v_mov_b32_e32 v3, 46
	v_cmp_eq_u16_sdwa s[6:7], v43, v3 src0_sel:BYTE_0 src1_sel:DWORD
	s_mov_b64 s[0:1], -1
	s_mov_b64 s[8:9], 0
	s_and_b64 vcc, exec, s[6:7]
	s_mov_b64 s[6:7], 0
	s_cbranch_vccz .LBB10_649
; %bb.638:
	v_cvt_f32_f64_e32 v3, v[36:37]
	v_bfe_u32 v6, v3, 16, 1
	s_movk_i32 s0, 0x7fff
	v_add3_u32 v6, v3, v6, s0
	v_lshrrev_b32_e32 v6, 16, v6
	v_mov_b32_e32 v7, 0x7fc0
	v_cmp_o_f32_e32 vcc, v3, v3
	s_mov_b64 s[0:1], 0
	s_mov_b64 s[6:7], -1
	v_cndmask_b32_e32 v3, v7, v6, vcc
	global_store_dword v[4:5], v3, off
	s_branch .LBB10_649
.LBB10_639:
	s_mov_b64 s[6:7], 0
	s_cbranch_execnz .LBB10_720
.LBB10_640:
	s_andn2_b64 vcc, exec, s[6:7]
	s_cbranch_vccz .LBB10_758
	s_branch .LBB10_961
.LBB10_641:
	s_mov_b64 s[0:1], 0
	s_branch .LBB10_659
.LBB10_642:
	s_or_saveexec_b64 s[8:9], s[8:9]
                                        ; implicit-def: $sgpr10
	s_xor_b64 exec, exec, s[8:9]
	s_cbranch_execz .LBB10_544
.LBB10_643:
	s_mov_b32 s10, 0x46000000
	v_add_f32_e64 v6, |v3|, s10
	v_and_b32_e32 v6, 0xff, v6
	v_cmp_ne_u32_e32 vcc, 0, v6
	s_andn2_b64 s[6:7], s[6:7], exec
	s_and_b64 s[12:13], vcc, exec
	s_mov_b32 s10, 0
	s_or_b64 s[6:7], s[6:7], s[12:13]
	s_or_b64 exec, exec, s[8:9]
	v_mov_b32_e32 v7, s10
	s_and_saveexec_b64 s[8:9], s[6:7]
	s_cbranch_execnz .LBB10_545
	s_branch .LBB10_546
.LBB10_644:
	s_mov_b64 s[0:1], 0
	s_branch .LBB10_655
.LBB10_645:
	s_or_b64 s[2:3], s[44:45], exec
	s_trap 2
	s_cbranch_execz .LBB10_592
	s_branch .LBB10_593
.LBB10_646:
	s_or_saveexec_b64 s[6:7], s[6:7]
                                        ; implicit-def: $sgpr8
	s_xor_b64 exec, exec, s[6:7]
	s_cbranch_execz .LBB10_557
.LBB10_647:
	s_mov_b32 s8, 0x42800000
	v_add_f32_e64 v6, |v3|, s8
	v_and_b32_e32 v6, 0xff, v6
	v_cmp_ne_u32_e32 vcc, 0, v6
	s_andn2_b64 s[4:5], s[4:5], exec
	s_and_b64 s[10:11], vcc, exec
	s_mov_b32 s8, 0
	s_or_b64 s[4:5], s[4:5], s[10:11]
	s_or_b64 exec, exec, s[6:7]
	v_mov_b32_e32 v7, s8
	s_and_saveexec_b64 s[6:7], s[4:5]
	s_cbranch_execnz .LBB10_558
	s_branch .LBB10_559
.LBB10_648:
	s_mov_b64 s[0:1], 0
.LBB10_649:
	s_and_b64 vcc, exec, s[8:9]
	s_cbranch_vccz .LBB10_654
; %bb.650:
	v_mov_b32_e32 v3, 44
	v_cmp_eq_u16_sdwa s[8:9], v43, v3 src0_sel:BYTE_0 src1_sel:DWORD
	s_mov_b64 s[0:1], -1
	s_and_b64 vcc, exec, s[8:9]
	s_cbranch_vccz .LBB10_654
; %bb.651:
	v_cvt_f32_f64_e32 v3, v[36:37]
	v_bfe_u32 v6, v3, 23, 8
	s_movk_i32 s0, 0xff
	v_cmp_ne_u32_e32 vcc, s0, v6
	v_mov_b32_e32 v7, 0xff
	s_and_saveexec_b64 s[6:7], vcc
; %bb.652:
	s_mov_b32 s0, 0x3fffff
	v_lshrrev_b32_e32 v7, 23, v3
	v_and_b32_e32 v8, 0x400000, v3
	v_and_or_b32 v3, v3, s0, v6
	v_cmp_ne_u32_e32 vcc, 0, v8
	v_cmp_ne_u32_e64 s[0:1], 0, v3
	s_and_b64 s[0:1], vcc, s[0:1]
	s_nop 0
	v_cndmask_b32_e64 v3, 0, 1, s[0:1]
	v_add_u32_e32 v7, v7, v3
; %bb.653:
	s_or_b64 exec, exec, s[6:7]
	s_mov_b64 s[0:1], 0
	s_mov_b64 s[6:7], -1
	global_store_byte v[4:5], v7, off
.LBB10_654:
	s_mov_b64 s[8:9], 0
.LBB10_655:
	s_and_b64 vcc, exec, s[8:9]
	s_cbranch_vccz .LBB10_658
; %bb.656:
	v_mov_b32_e32 v3, 29
	v_cmp_eq_u16_sdwa s[8:9], v43, v3 src0_sel:BYTE_0 src1_sel:DWORD
	s_mov_b64 s[0:1], -1
	s_and_b64 vcc, exec, s[8:9]
	s_cbranch_vccz .LBB10_658
; %bb.657:
	v_trunc_f64_e32 v[6:7], v[36:37]
	s_movk_i32 s0, 0xffe0
	v_ldexp_f64 v[8:9], v[6:7], s0
	v_floor_f64_e32 v[8:9], v[8:9]
	v_fmac_f64_e32 v[6:7], 0xc1f00000, v[8:9]
	v_cvt_u32_f64_e32 v11, v[8:9]
	v_cvt_u32_f64_e32 v10, v[6:7]
	global_store_dwordx2 v[4:5], v[10:11], off
	s_mov_b64 s[0:1], 0
	s_mov_b64 s[6:7], -1
.LBB10_658:
	s_mov_b64 s[8:9], 0
.LBB10_659:
	s_and_b64 vcc, exec, s[8:9]
	s_cbranch_vccz .LBB10_675
; %bb.660:
	v_mov_b32_e32 v3, 27
	v_cmp_lt_i16_sdwa s[8:9], v43, v3 src0_sel:BYTE_0 src1_sel:DWORD
	s_mov_b64 s[6:7], -1
	s_and_b64 vcc, exec, s[8:9]
	s_cbranch_vccnz .LBB10_666
; %bb.661:
	v_cmp_gt_i16_sdwa s[8:9], v43, v3 src0_sel:BYTE_0 src1_sel:DWORD
	s_and_b64 vcc, exec, s[8:9]
	v_cvt_u32_f64_e32 v3, v[36:37]
	s_cbranch_vccz .LBB10_663
; %bb.662:
	s_mov_b64 s[6:7], 0
	global_store_dword v[4:5], v3, off
.LBB10_663:
	s_andn2_b64 vcc, exec, s[6:7]
	s_cbranch_vccnz .LBB10_665
; %bb.664:
	global_store_short v[4:5], v3, off
.LBB10_665:
	s_mov_b64 s[6:7], 0
.LBB10_666:
	s_andn2_b64 vcc, exec, s[6:7]
	s_cbranch_vccnz .LBB10_674
; %bb.667:
	v_cvt_f32_f64_e32 v3, v[36:37]
	v_and_b32_e32 v6, 0x7fffffff, v3
	s_mov_b32 s6, 0x43800000
	v_cmp_gt_u32_e32 vcc, s6, v6
	v_mov_b32_e32 v7, 0x80
	s_and_saveexec_b64 s[6:7], vcc
	s_cbranch_execz .LBB10_673
; %bb.668:
	s_mov_b32 s8, 0x3bffffff
	v_cmp_lt_u32_e32 vcc, s8, v6
	s_mov_b64 s[8:9], 0
                                        ; implicit-def: $vgpr6
	s_and_saveexec_b64 s[10:11], vcc
	s_xor_b64 s[10:11], exec, s[10:11]
	s_cbranch_execz .LBB10_845
; %bb.669:
	v_bfe_u32 v6, v3, 20, 1
	s_mov_b32 s13, 0x487ffff
	v_add3_u32 v6, v3, v6, s13
	s_mov_b64 s[8:9], exec
	v_lshrrev_b32_e32 v6, 20, v6
	s_or_saveexec_b64 s[10:11], s[10:11]
                                        ; implicit-def: $sgpr13
	s_xor_b64 exec, exec, s[10:11]
	s_cbranch_execnz .LBB10_846
.LBB10_670:
	s_or_b64 exec, exec, s[10:11]
	v_mov_b32_e32 v7, s13
	s_and_saveexec_b64 s[10:11], s[8:9]
.LBB10_671:
	v_lshrrev_b32_e32 v3, 24, v3
	s_movk_i32 s8, 0x80
	v_and_or_b32 v7, v3, s8, v6
.LBB10_672:
	s_or_b64 exec, exec, s[10:11]
.LBB10_673:
	s_or_b64 exec, exec, s[6:7]
	global_store_byte v[4:5], v7, off
.LBB10_674:
	s_mov_b64 s[6:7], -1
.LBB10_675:
	s_mov_b64 s[8:9], 0
.LBB10_676:
	s_and_b64 vcc, exec, s[8:9]
	s_cbranch_vccz .LBB10_716
; %bb.677:
	v_mov_b32_e32 v3, 22
	v_cmp_gt_i16_sdwa s[8:9], v43, v3 src0_sel:BYTE_0 src1_sel:DWORD
	s_mov_b64 s[4:5], -1
	s_and_b64 vcc, exec, s[8:9]
	s_cbranch_vccz .LBB10_709
; %bb.678:
	v_mov_b32_e32 v3, 24
	v_cmp_lt_i16_sdwa s[6:7], v43, v3 src0_sel:BYTE_0 src1_sel:DWORD
	s_and_b64 vcc, exec, s[6:7]
	s_cbranch_vccnz .LBB10_698
; %bb.679:
	v_cmp_gt_i16_sdwa s[6:7], v43, v3 src0_sel:BYTE_0 src1_sel:DWORD
	s_and_b64 vcc, exec, s[6:7]
	s_cbranch_vccz .LBB10_687
; %bb.680:
	v_cvt_f32_f64_e32 v3, v[36:37]
	v_and_b32_e32 v6, 0x7fffffff, v3
	s_mov_b32 s4, 0x47800000
	v_cmp_gt_u32_e32 vcc, s4, v6
	v_mov_b32_e32 v7, 0x80
	s_and_saveexec_b64 s[4:5], vcc
	s_cbranch_execz .LBB10_686
; %bb.681:
	s_mov_b32 s6, 0x37ffffff
	v_cmp_lt_u32_e32 vcc, s6, v6
	s_mov_b64 s[6:7], 0
                                        ; implicit-def: $vgpr6
	s_and_saveexec_b64 s[8:9], vcc
	s_xor_b64 s[8:9], exec, s[8:9]
	s_cbranch_execz .LBB10_849
; %bb.682:
	v_bfe_u32 v6, v3, 21, 1
	s_mov_b32 s10, 0x88fffff
	v_add3_u32 v6, v3, v6, s10
	s_mov_b64 s[6:7], exec
	v_lshrrev_b32_e32 v6, 21, v6
	s_or_saveexec_b64 s[8:9], s[8:9]
                                        ; implicit-def: $sgpr10
	s_xor_b64 exec, exec, s[8:9]
	s_cbranch_execnz .LBB10_850
.LBB10_683:
	s_or_b64 exec, exec, s[8:9]
	v_mov_b32_e32 v7, s10
	s_and_saveexec_b64 s[8:9], s[6:7]
.LBB10_684:
	v_lshrrev_b32_e32 v3, 24, v3
	s_movk_i32 s6, 0x80
	v_and_or_b32 v7, v3, s6, v6
.LBB10_685:
	s_or_b64 exec, exec, s[8:9]
.LBB10_686:
	s_or_b64 exec, exec, s[4:5]
	s_mov_b64 s[4:5], 0
	global_store_byte v[4:5], v7, off
.LBB10_687:
	s_and_b64 vcc, exec, s[4:5]
	s_cbranch_vccz .LBB10_697
; %bb.688:
	v_cvt_f32_f64_e32 v3, v[36:37]
	v_and_b32_e32 v7, 0x7fffffff, v3
	s_mov_b32 s4, 0x43f00000
	v_cmp_gt_u32_e32 vcc, s4, v7
                                        ; implicit-def: $vgpr6
	s_and_saveexec_b64 s[4:5], vcc
	s_xor_b64 s[4:5], exec, s[4:5]
	s_cbranch_execz .LBB10_694
; %bb.689:
	s_mov_b32 s6, 0x3c7fffff
	v_cmp_lt_u32_e32 vcc, s6, v7
                                        ; implicit-def: $vgpr6
	s_and_saveexec_b64 s[6:7], vcc
	s_xor_b64 s[6:7], exec, s[6:7]
; %bb.690:
	v_bfe_u32 v6, v3, 20, 1
	s_mov_b32 s8, 0x407ffff
	v_add3_u32 v6, v3, v6, s8
	v_lshrrev_b32_e32 v7, 20, v6
	v_and_b32_e32 v6, 0xff00000, v6
	s_mov_b32 s8, 0x7f00000
	v_mov_b32_e32 v8, 0x7e
	v_cmp_ne_u32_e32 vcc, s8, v6
	s_nop 1
	v_cndmask_b32_e32 v6, v8, v7, vcc
; %bb.691:
	s_andn2_saveexec_b64 s[6:7], s[6:7]
; %bb.692:
	s_mov_b32 s8, 0x46800000
	v_add_f32_e64 v6, |v3|, s8
; %bb.693:
	s_or_b64 exec, exec, s[6:7]
                                        ; implicit-def: $vgpr7
.LBB10_694:
	s_andn2_saveexec_b64 s[4:5], s[4:5]
; %bb.695:
	s_mov_b32 s6, 0x7f800000
	v_mov_b32_e32 v6, 0x7e
	v_mov_b32_e32 v8, 0x7f
	v_cmp_lt_u32_e32 vcc, s6, v7
	s_nop 1
	v_cndmask_b32_e32 v6, v6, v8, vcc
; %bb.696:
	s_or_b64 exec, exec, s[4:5]
	v_lshrrev_b32_e32 v3, 24, v3
	s_movk_i32 s4, 0x80
	v_and_or_b32 v3, v3, s4, v6
	global_store_byte v[4:5], v3, off
.LBB10_697:
	s_mov_b64 s[4:5], 0
.LBB10_698:
	s_andn2_b64 vcc, exec, s[4:5]
	s_cbranch_vccnz .LBB10_708
; %bb.699:
	v_cvt_f32_f64_e32 v3, v[36:37]
	v_and_b32_e32 v7, 0x7fffffff, v3
	s_mov_b32 s4, 0x47800000
	v_cmp_gt_u32_e32 vcc, s4, v7
                                        ; implicit-def: $vgpr6
	s_and_saveexec_b64 s[4:5], vcc
	s_xor_b64 s[4:5], exec, s[4:5]
	s_cbranch_execz .LBB10_705
; %bb.700:
	s_mov_b32 s6, 0x387fffff
	v_cmp_lt_u32_e32 vcc, s6, v7
                                        ; implicit-def: $vgpr6
	s_and_saveexec_b64 s[6:7], vcc
	s_xor_b64 s[6:7], exec, s[6:7]
; %bb.701:
	v_bfe_u32 v6, v3, 21, 1
	s_mov_b32 s8, 0x80fffff
	v_add3_u32 v6, v3, v6, s8
	v_lshrrev_b32_e32 v6, 21, v6
; %bb.702:
	s_andn2_saveexec_b64 s[6:7], s[6:7]
; %bb.703:
	s_mov_b32 s8, 0x43000000
	v_add_f32_e64 v6, |v3|, s8
; %bb.704:
	s_or_b64 exec, exec, s[6:7]
                                        ; implicit-def: $vgpr7
.LBB10_705:
	s_andn2_saveexec_b64 s[4:5], s[4:5]
; %bb.706:
	s_mov_b32 s6, 0x7f800000
	v_mov_b32_e32 v6, 0x7c
	v_mov_b32_e32 v8, 0x7f
	v_cmp_lt_u32_e32 vcc, s6, v7
	s_nop 1
	v_cndmask_b32_e32 v6, v6, v8, vcc
; %bb.707:
	s_or_b64 exec, exec, s[4:5]
	v_lshrrev_b32_e32 v3, 24, v3
	s_movk_i32 s4, 0x80
	v_and_or_b32 v3, v3, s4, v6
	global_store_byte v[4:5], v3, off
.LBB10_708:
	s_mov_b64 s[4:5], 0
	s_mov_b64 s[6:7], -1
.LBB10_709:
	s_andn2_b64 vcc, exec, s[4:5]
	s_mov_b64 s[4:5], 0
	s_cbranch_vccnz .LBB10_716
; %bb.710:
	v_mov_b32_e32 v3, 14
	v_cmp_gt_i16_sdwa s[4:5], v43, v3 src0_sel:BYTE_0 src1_sel:DWORD
	s_mov_b64 s[8:9], -1
	s_and_b64 vcc, exec, s[4:5]
	s_cbranch_vccz .LBB10_714
; %bb.711:
	v_mov_b32_e32 v3, 15
	v_cmp_eq_u16_sdwa s[4:5], v43, v3 src0_sel:BYTE_0 src1_sel:DWORD
	s_mov_b64 s[0:1], -1
	s_and_b64 vcc, exec, s[4:5]
	s_cbranch_vccz .LBB10_713
; %bb.712:
	v_cvt_f32_f64_e32 v3, v[36:37]
	v_bfe_u32 v6, v3, 16, 1
	s_movk_i32 s0, 0x7fff
	v_add3_u32 v6, v3, v6, s0
	v_lshrrev_b32_e32 v6, 16, v6
	v_mov_b32_e32 v7, 0x7fc0
	v_cmp_o_f32_e32 vcc, v3, v3
	s_mov_b64 s[0:1], 0
	s_mov_b64 s[6:7], -1
	v_cndmask_b32_e32 v3, v7, v6, vcc
	global_store_short v[4:5], v3, off
.LBB10_713:
	s_mov_b64 s[8:9], 0
.LBB10_714:
	s_mov_b64 s[4:5], 0
	s_and_b64 vcc, exec, s[8:9]
	s_cbranch_vccz .LBB10_716
; %bb.715:
	v_mov_b32_e32 v3, 11
	v_cmp_ne_u16_sdwa s[0:1], v43, v3 src0_sel:BYTE_0 src1_sel:DWORD
	s_mov_b64 s[4:5], -1
.LBB10_716:
	s_and_b64 vcc, exec, s[0:1]
	s_cbranch_vccnz .LBB10_848
; %bb.717:
	s_andn2_b64 vcc, exec, s[4:5]
	s_cbranch_vccnz .LBB10_719
.LBB10_718:
	v_cmp_neq_f64_e32 vcc, 0, v[36:37]
	s_mov_b64 s[6:7], -1
	s_nop 0
	v_cndmask_b32_e64 v3, 0, 1, vcc
	global_store_byte v[4:5], v3, off
.LBB10_719:
	s_branch .LBB10_640
.LBB10_720:
	v_mov_b32_e32 v3, 5
	v_cmp_lt_i16_sdwa s[4:5], v43, v3 src0_sel:BYTE_0 src1_sel:DWORD
	s_mov_b64 s[0:1], -1
	s_and_b64 vcc, exec, s[4:5]
	s_cbranch_vccnz .LBB10_741
; %bb.721:
	v_mov_b32_e32 v3, 8
	v_cmp_lt_i16_sdwa s[4:5], v43, v3 src0_sel:BYTE_0 src1_sel:DWORD
	s_and_b64 vcc, exec, s[4:5]
	s_cbranch_vccnz .LBB10_731
; %bb.722:
	v_mov_b32_e32 v3, 9
	v_cmp_lt_i16_sdwa s[4:5], v43, v3 src0_sel:BYTE_0 src1_sel:DWORD
	s_and_b64 vcc, exec, s[4:5]
	s_cbranch_vccnz .LBB10_728
; %bb.723:
	v_cmp_gt_i16_sdwa s[4:5], v43, v3 src0_sel:BYTE_0 src1_sel:DWORD
	s_and_b64 vcc, exec, s[4:5]
	s_cbranch_vccz .LBB10_725
; %bb.724:
	v_mov_b32_e32 v38, 0
	v_mov_b32_e32 v39, v38
	global_store_dwordx4 v[4:5], v[36:39], off
	s_mov_b64 s[0:1], 0
.LBB10_725:
	s_andn2_b64 vcc, exec, s[0:1]
	s_cbranch_vccnz .LBB10_727
; %bb.726:
	v_cvt_f32_f64_e32 v6, v[36:37]
	v_mov_b32_e32 v7, 0
	global_store_dwordx2 v[4:5], v[6:7], off
.LBB10_727:
	s_mov_b64 s[0:1], 0
.LBB10_728:
	s_andn2_b64 vcc, exec, s[0:1]
	s_cbranch_vccnz .LBB10_730
; %bb.729:
	v_cvt_f32_f64_e32 v3, v[36:37]
	v_cvt_f16_f32_e32 v3, v3
	global_store_dword v[4:5], v3, off
.LBB10_730:
	s_mov_b64 s[0:1], 0
.LBB10_731:
	s_andn2_b64 vcc, exec, s[0:1]
	s_cbranch_vccnz .LBB10_740
; %bb.732:
	v_mov_b32_e32 v3, 6
	v_cmp_lt_i16_sdwa s[4:5], v43, v3 src0_sel:BYTE_0 src1_sel:DWORD
	s_mov_b64 s[0:1], -1
	s_and_b64 vcc, exec, s[4:5]
	s_cbranch_vccnz .LBB10_738
; %bb.733:
	v_cmp_gt_i16_sdwa s[4:5], v43, v3 src0_sel:BYTE_0 src1_sel:DWORD
	s_and_b64 vcc, exec, s[4:5]
	s_cbranch_vccz .LBB10_735
; %bb.734:
	global_store_dwordx2 v[4:5], v[36:37], off
	s_mov_b64 s[0:1], 0
.LBB10_735:
	s_andn2_b64 vcc, exec, s[0:1]
	s_cbranch_vccnz .LBB10_737
; %bb.736:
	v_cvt_f32_f64_e32 v3, v[36:37]
	global_store_dword v[4:5], v3, off
.LBB10_737:
	s_mov_b64 s[0:1], 0
.LBB10_738:
	s_andn2_b64 vcc, exec, s[0:1]
	s_cbranch_vccnz .LBB10_740
; %bb.739:
	v_cvt_f32_f64_e32 v3, v[36:37]
	v_cvt_f16_f32_e32 v3, v3
	global_store_short v[4:5], v3, off
.LBB10_740:
	s_mov_b64 s[0:1], 0
.LBB10_741:
	s_andn2_b64 vcc, exec, s[0:1]
	s_cbranch_vccnz .LBB10_757
; %bb.742:
	v_mov_b32_e32 v3, 2
	v_cmp_lt_i16_sdwa s[4:5], v43, v3 src0_sel:BYTE_0 src1_sel:DWORD
	s_mov_b64 s[0:1], -1
	s_and_b64 vcc, exec, s[4:5]
	s_cbranch_vccnz .LBB10_752
; %bb.743:
	v_mov_b32_e32 v3, 3
	v_cmp_lt_i16_sdwa s[4:5], v43, v3 src0_sel:BYTE_0 src1_sel:DWORD
	s_and_b64 vcc, exec, s[4:5]
	s_cbranch_vccnz .LBB10_749
; %bb.744:
	v_cmp_gt_i16_sdwa s[4:5], v43, v3 src0_sel:BYTE_0 src1_sel:DWORD
	s_and_b64 vcc, exec, s[4:5]
	s_cbranch_vccz .LBB10_746
; %bb.745:
	v_trunc_f64_e32 v[6:7], v[36:37]
	s_movk_i32 s0, 0xffe0
	v_ldexp_f64 v[8:9], v[6:7], s0
	v_floor_f64_e32 v[8:9], v[8:9]
	v_fmac_f64_e32 v[6:7], 0xc1f00000, v[8:9]
	v_cvt_i32_f64_e32 v11, v[8:9]
	v_cvt_u32_f64_e32 v10, v[6:7]
	global_store_dwordx2 v[4:5], v[10:11], off
	s_mov_b64 s[0:1], 0
.LBB10_746:
	s_andn2_b64 vcc, exec, s[0:1]
	s_cbranch_vccnz .LBB10_748
; %bb.747:
	v_cvt_i32_f64_e32 v3, v[36:37]
	global_store_dword v[4:5], v3, off
.LBB10_748:
	s_mov_b64 s[0:1], 0
.LBB10_749:
	s_andn2_b64 vcc, exec, s[0:1]
	s_cbranch_vccnz .LBB10_751
; %bb.750:
	v_cvt_i32_f64_e32 v3, v[36:37]
	global_store_short v[4:5], v3, off
.LBB10_751:
	s_mov_b64 s[0:1], 0
.LBB10_752:
	s_andn2_b64 vcc, exec, s[0:1]
	s_cbranch_vccnz .LBB10_757
; %bb.753:
	v_mov_b32_e32 v3, 0
	v_cmp_gt_i16_sdwa s[4:5], v43, v3 src0_sel:BYTE_0 src1_sel:DWORD
	s_mov_b64 s[0:1], -1
	s_and_b64 vcc, exec, s[4:5]
	s_cbranch_vccz .LBB10_755
; %bb.754:
	v_cvt_i32_f64_e32 v3, v[36:37]
	global_store_byte v[4:5], v3, off
	s_mov_b64 s[0:1], 0
.LBB10_755:
	s_andn2_b64 vcc, exec, s[0:1]
	s_cbranch_vccnz .LBB10_757
; %bb.756:
	v_trunc_f64_e32 v[6:7], v[36:37]
	s_movk_i32 s0, 0xffe0
	v_ldexp_f64 v[8:9], v[6:7], s0
	v_floor_f64_e32 v[8:9], v[8:9]
	v_fmac_f64_e32 v[6:7], 0xc1f00000, v[8:9]
	v_cvt_u32_f64_e32 v3, v[6:7]
	global_store_byte v[4:5], v3, off
.LBB10_757:
.LBB10_758:
	v_add_u32_e32 v2, s12, v2
	v_ashrrev_i32_e32 v3, 31, v2
	v_lshl_add_u64 v[4:5], s[36:37], 0, v[2:3]
	v_mov_b32_e32 v3, 11
	v_cmp_lt_i16_sdwa s[0:1], v43, v3 src0_sel:BYTE_0 src1_sel:DWORD
	s_and_b64 vcc, exec, s[0:1]
	s_cbranch_vccnz .LBB10_765
; %bb.759:
	v_mov_b32_e32 v3, 25
	v_cmp_gt_i16_sdwa s[0:1], v43, v3 src0_sel:BYTE_0 src1_sel:DWORD
	s_mov_b64 s[8:9], -1
	s_mov_b64 s[4:5], 0
	s_and_b64 vcc, exec, s[0:1]
	s_mov_b64 s[6:7], 0
	s_mov_b64 s[0:1], 0
	s_cbranch_vccz .LBB10_879
; %bb.760:
	v_mov_b32_e32 v3, 28
	v_cmp_gt_i16_sdwa s[0:1], v43, v3 src0_sel:BYTE_0 src1_sel:DWORD
	s_and_b64 vcc, exec, s[0:1]
	s_cbranch_vccz .LBB10_844
; %bb.761:
	v_mov_b32_e32 v3, 43
	v_cmp_gt_i16_sdwa s[0:1], v43, v3 src0_sel:BYTE_0 src1_sel:DWORD
	s_and_b64 vcc, exec, s[0:1]
	;; [unrolled: 5-line block ×3, first 2 shown]
	s_cbranch_vccz .LBB10_851
; %bb.763:
	v_mov_b32_e32 v3, 46
	v_cmp_eq_u16_sdwa s[6:7], v43, v3 src0_sel:BYTE_0 src1_sel:DWORD
	s_mov_b64 s[0:1], -1
	s_mov_b64 s[8:9], 0
	s_and_b64 vcc, exec, s[6:7]
	s_mov_b64 s[6:7], 0
	s_cbranch_vccz .LBB10_852
; %bb.764:
	v_cvt_f32_f64_e32 v3, v[34:35]
	v_bfe_u32 v6, v3, 16, 1
	s_movk_i32 s0, 0x7fff
	v_add3_u32 v6, v3, v6, s0
	v_lshrrev_b32_e32 v6, 16, v6
	v_mov_b32_e32 v7, 0x7fc0
	v_cmp_o_f32_e32 vcc, v3, v3
	s_mov_b64 s[0:1], 0
	s_mov_b64 s[6:7], -1
	v_cndmask_b32_e32 v3, v7, v6, vcc
	global_store_dword v[4:5], v3, off
	s_branch .LBB10_852
.LBB10_765:
	s_mov_b64 s[6:7], 0
	s_cbranch_execnz .LBB10_923
.LBB10_766:
	s_andn2_b64 vcc, exec, s[6:7]
	s_cbranch_vccnz .LBB10_961
.LBB10_767:
	v_add_u32_e32 v2, s12, v2
	v_and_b32_e32 v6, 0xff, v43
	v_ashrrev_i32_e32 v3, 31, v2
	v_cmp_gt_i16_e32 vcc, 11, v6
	v_lshl_add_u64 v[4:5], s[36:37], 0, v[2:3]
	s_cbranch_vccnz .LBB10_843
; %bb.768:
	v_cmp_lt_i16_e32 vcc, 25, v6
	s_mov_b64 s[6:7], -1
	s_mov_b64 s[4:5], 0
	s_mov_b64 s[0:1], 0
	s_cbranch_vccz .LBB10_801
; %bb.769:
	v_cmp_lt_i16_e32 vcc, 28, v6
	s_cbranch_vccz .LBB10_785
; %bb.770:
	v_cmp_lt_i16_e32 vcc, 43, v6
	;; [unrolled: 3-line block ×3, first 2 shown]
	s_cbranch_vccz .LBB10_775
; %bb.772:
	v_cmp_eq_u16_e32 vcc, 46, v6
	s_mov_b64 s[0:1], -1
	s_cbranch_vccz .LBB10_774
; %bb.773:
	v_cvt_f32_f64_e32 v2, v[0:1]
	v_bfe_u32 v3, v2, 16, 1
	s_movk_i32 s0, 0x7fff
	v_add3_u32 v3, v2, v3, s0
	v_lshrrev_b32_e32 v3, 16, v3
	v_mov_b32_e32 v7, 0x7fc0
	v_cmp_o_f32_e32 vcc, v2, v2
	s_mov_b64 s[0:1], 0
	s_nop 0
	v_cndmask_b32_e32 v2, v7, v3, vcc
	global_store_dword v[4:5], v2, off
.LBB10_774:
	s_mov_b64 s[6:7], 0
.LBB10_775:
	s_and_b64 vcc, exec, s[6:7]
	s_cbranch_vccz .LBB10_780
; %bb.776:
	v_cmp_eq_u16_e32 vcc, 44, v6
	s_mov_b64 s[0:1], -1
	s_cbranch_vccz .LBB10_780
; %bb.777:
	v_cvt_f32_f64_e32 v2, v[0:1]
	v_bfe_u32 v3, v2, 23, 8
	s_movk_i32 s0, 0xff
	v_cmp_ne_u32_e32 vcc, s0, v3
	v_mov_b32_e32 v7, 0xff
	s_and_saveexec_b64 s[6:7], vcc
; %bb.778:
	s_mov_b32 s0, 0x3fffff
	v_lshrrev_b32_e32 v7, 23, v2
	v_and_b32_e32 v8, 0x400000, v2
	v_and_or_b32 v2, v2, s0, v3
	v_cmp_ne_u32_e32 vcc, 0, v8
	v_cmp_ne_u32_e64 s[0:1], 0, v2
	s_and_b64 s[0:1], vcc, s[0:1]
	s_nop 0
	v_cndmask_b32_e64 v2, 0, 1, s[0:1]
	v_add_u32_e32 v7, v7, v2
; %bb.779:
	s_or_b64 exec, exec, s[6:7]
	s_mov_b64 s[0:1], 0
	global_store_byte v[4:5], v7, off
.LBB10_780:
	s_mov_b64 s[6:7], 0
.LBB10_781:
	s_and_b64 vcc, exec, s[6:7]
	s_cbranch_vccz .LBB10_784
; %bb.782:
	v_cmp_eq_u16_e32 vcc, 29, v6
	s_mov_b64 s[0:1], -1
	s_cbranch_vccz .LBB10_784
; %bb.783:
	v_trunc_f64_e32 v[2:3], v[0:1]
	s_movk_i32 s0, 0xffe0
	v_ldexp_f64 v[8:9], v[2:3], s0
	v_floor_f64_e32 v[8:9], v[8:9]
	v_fmac_f64_e32 v[2:3], 0xc1f00000, v[8:9]
	v_cvt_u32_f64_e32 v11, v[8:9]
	v_cvt_u32_f64_e32 v10, v[2:3]
	global_store_dwordx2 v[4:5], v[10:11], off
	s_mov_b64 s[0:1], 0
.LBB10_784:
	s_mov_b64 s[6:7], 0
.LBB10_785:
	s_and_b64 vcc, exec, s[6:7]
	s_cbranch_vccz .LBB10_800
; %bb.786:
	v_cmp_gt_i16_e32 vcc, 27, v6
	s_mov_b64 s[6:7], -1
	s_cbranch_vccnz .LBB10_792
; %bb.787:
	v_cmp_lt_i16_e32 vcc, 27, v6
	v_cvt_u32_f64_e32 v2, v[0:1]
	s_cbranch_vccz .LBB10_789
; %bb.788:
	global_store_dword v[4:5], v2, off
	s_mov_b64 s[6:7], 0
.LBB10_789:
	s_andn2_b64 vcc, exec, s[6:7]
	s_cbranch_vccnz .LBB10_791
; %bb.790:
	global_store_short v[4:5], v2, off
.LBB10_791:
	s_mov_b64 s[6:7], 0
.LBB10_792:
	s_andn2_b64 vcc, exec, s[6:7]
	s_cbranch_vccnz .LBB10_800
; %bb.793:
	v_cvt_f32_f64_e32 v2, v[0:1]
	v_and_b32_e32 v3, 0x7fffffff, v2
	s_mov_b32 s6, 0x43800000
	v_cmp_gt_u32_e32 vcc, s6, v3
	v_mov_b32_e32 v7, 0x80
	s_and_saveexec_b64 s[6:7], vcc
	s_cbranch_execz .LBB10_799
; %bb.794:
	s_mov_b32 s8, 0x3bffffff
	v_cmp_lt_u32_e32 vcc, s8, v3
	s_mov_b64 s[8:9], 0
                                        ; implicit-def: $vgpr3
	s_and_saveexec_b64 s[10:11], vcc
	s_xor_b64 s[10:11], exec, s[10:11]
	s_cbranch_execz .LBB10_1009
; %bb.795:
	v_bfe_u32 v3, v2, 20, 1
	s_mov_b32 s12, 0x487ffff
	v_add3_u32 v3, v2, v3, s12
	s_mov_b64 s[8:9], exec
	v_lshrrev_b32_e32 v3, 20, v3
	s_or_saveexec_b64 s[10:11], s[10:11]
                                        ; implicit-def: $sgpr12
	s_xor_b64 exec, exec, s[10:11]
	s_cbranch_execnz .LBB10_1010
.LBB10_796:
	s_or_b64 exec, exec, s[10:11]
	v_mov_b32_e32 v7, s12
	s_and_saveexec_b64 s[10:11], s[8:9]
.LBB10_797:
	v_lshrrev_b32_e32 v2, 24, v2
	s_movk_i32 s8, 0x80
	v_and_or_b32 v7, v2, s8, v3
.LBB10_798:
	s_or_b64 exec, exec, s[10:11]
.LBB10_799:
	s_or_b64 exec, exec, s[6:7]
	global_store_byte v[4:5], v7, off
.LBB10_800:
	s_mov_b64 s[6:7], 0
.LBB10_801:
	s_and_b64 vcc, exec, s[6:7]
	s_cbranch_vccz .LBB10_841
; %bb.802:
	v_cmp_lt_i16_e32 vcc, 22, v6
	s_mov_b64 s[4:5], -1
	s_cbranch_vccz .LBB10_834
; %bb.803:
	v_cmp_gt_i16_e32 vcc, 24, v6
	s_cbranch_vccnz .LBB10_823
; %bb.804:
	v_cmp_lt_i16_e32 vcc, 24, v6
	s_cbranch_vccz .LBB10_812
; %bb.805:
	v_cvt_f32_f64_e32 v2, v[0:1]
	v_and_b32_e32 v3, 0x7fffffff, v2
	s_mov_b32 s4, 0x47800000
	v_cmp_gt_u32_e32 vcc, s4, v3
	v_mov_b32_e32 v7, 0x80
	s_and_saveexec_b64 s[4:5], vcc
	s_cbranch_execz .LBB10_811
; %bb.806:
	s_mov_b32 s6, 0x37ffffff
	v_cmp_lt_u32_e32 vcc, s6, v3
	s_mov_b64 s[6:7], 0
                                        ; implicit-def: $vgpr3
	s_and_saveexec_b64 s[8:9], vcc
	s_xor_b64 s[8:9], exec, s[8:9]
	s_cbranch_execz .LBB10_1016
; %bb.807:
	v_bfe_u32 v3, v2, 21, 1
	s_mov_b32 s10, 0x88fffff
	v_add3_u32 v3, v2, v3, s10
	s_mov_b64 s[6:7], exec
	v_lshrrev_b32_e32 v3, 21, v3
	s_or_saveexec_b64 s[8:9], s[8:9]
                                        ; implicit-def: $sgpr10
	s_xor_b64 exec, exec, s[8:9]
	s_cbranch_execnz .LBB10_1017
.LBB10_808:
	s_or_b64 exec, exec, s[8:9]
	v_mov_b32_e32 v7, s10
	s_and_saveexec_b64 s[8:9], s[6:7]
.LBB10_809:
	v_lshrrev_b32_e32 v2, 24, v2
	s_movk_i32 s6, 0x80
	v_and_or_b32 v7, v2, s6, v3
.LBB10_810:
	s_or_b64 exec, exec, s[8:9]
.LBB10_811:
	s_or_b64 exec, exec, s[4:5]
	s_mov_b64 s[4:5], 0
	global_store_byte v[4:5], v7, off
.LBB10_812:
	s_and_b64 vcc, exec, s[4:5]
	s_cbranch_vccz .LBB10_822
; %bb.813:
	v_cvt_f32_f64_e32 v2, v[0:1]
	v_and_b32_e32 v7, 0x7fffffff, v2
	s_mov_b32 s4, 0x43f00000
	v_cmp_gt_u32_e32 vcc, s4, v7
                                        ; implicit-def: $vgpr3
	s_and_saveexec_b64 s[4:5], vcc
	s_xor_b64 s[4:5], exec, s[4:5]
	s_cbranch_execz .LBB10_819
; %bb.814:
	s_mov_b32 s6, 0x3c7fffff
	v_cmp_lt_u32_e32 vcc, s6, v7
                                        ; implicit-def: $vgpr3
	s_and_saveexec_b64 s[6:7], vcc
	s_xor_b64 s[6:7], exec, s[6:7]
; %bb.815:
	v_bfe_u32 v3, v2, 20, 1
	s_mov_b32 s8, 0x407ffff
	v_add3_u32 v3, v2, v3, s8
	v_lshrrev_b32_e32 v7, 20, v3
	v_and_b32_e32 v3, 0xff00000, v3
	s_mov_b32 s8, 0x7f00000
	v_mov_b32_e32 v8, 0x7e
	v_cmp_ne_u32_e32 vcc, s8, v3
	s_nop 1
	v_cndmask_b32_e32 v3, v8, v7, vcc
; %bb.816:
	s_andn2_saveexec_b64 s[6:7], s[6:7]
; %bb.817:
	s_mov_b32 s8, 0x46800000
	v_add_f32_e64 v3, |v2|, s8
; %bb.818:
	s_or_b64 exec, exec, s[6:7]
                                        ; implicit-def: $vgpr7
.LBB10_819:
	s_andn2_saveexec_b64 s[4:5], s[4:5]
; %bb.820:
	s_mov_b32 s6, 0x7f800000
	v_mov_b32_e32 v3, 0x7e
	v_mov_b32_e32 v8, 0x7f
	v_cmp_lt_u32_e32 vcc, s6, v7
	s_nop 1
	v_cndmask_b32_e32 v3, v3, v8, vcc
; %bb.821:
	s_or_b64 exec, exec, s[4:5]
	v_lshrrev_b32_e32 v2, 24, v2
	s_movk_i32 s4, 0x80
	v_and_or_b32 v2, v2, s4, v3
	global_store_byte v[4:5], v2, off
.LBB10_822:
	s_mov_b64 s[4:5], 0
.LBB10_823:
	s_andn2_b64 vcc, exec, s[4:5]
	s_cbranch_vccnz .LBB10_833
; %bb.824:
	v_cvt_f32_f64_e32 v2, v[0:1]
	v_and_b32_e32 v7, 0x7fffffff, v2
	s_mov_b32 s4, 0x47800000
	v_cmp_gt_u32_e32 vcc, s4, v7
                                        ; implicit-def: $vgpr3
	s_and_saveexec_b64 s[4:5], vcc
	s_xor_b64 s[4:5], exec, s[4:5]
	s_cbranch_execz .LBB10_830
; %bb.825:
	s_mov_b32 s6, 0x387fffff
	v_cmp_lt_u32_e32 vcc, s6, v7
                                        ; implicit-def: $vgpr3
	s_and_saveexec_b64 s[6:7], vcc
	s_xor_b64 s[6:7], exec, s[6:7]
; %bb.826:
	v_bfe_u32 v3, v2, 21, 1
	s_mov_b32 s8, 0x80fffff
	v_add3_u32 v3, v2, v3, s8
	v_lshrrev_b32_e32 v3, 21, v3
; %bb.827:
	s_andn2_saveexec_b64 s[6:7], s[6:7]
; %bb.828:
	s_mov_b32 s8, 0x43000000
	v_add_f32_e64 v3, |v2|, s8
; %bb.829:
	s_or_b64 exec, exec, s[6:7]
                                        ; implicit-def: $vgpr7
.LBB10_830:
	s_andn2_saveexec_b64 s[4:5], s[4:5]
; %bb.831:
	s_mov_b32 s6, 0x7f800000
	v_mov_b32_e32 v3, 0x7c
	v_mov_b32_e32 v8, 0x7f
	v_cmp_lt_u32_e32 vcc, s6, v7
	s_nop 1
	v_cndmask_b32_e32 v3, v3, v8, vcc
; %bb.832:
	s_or_b64 exec, exec, s[4:5]
	v_lshrrev_b32_e32 v2, 24, v2
	s_movk_i32 s4, 0x80
	v_and_or_b32 v2, v2, s4, v3
	global_store_byte v[4:5], v2, off
.LBB10_833:
	s_mov_b64 s[4:5], 0
.LBB10_834:
	s_andn2_b64 vcc, exec, s[4:5]
	s_mov_b64 s[4:5], 0
	s_cbranch_vccnz .LBB10_841
; %bb.835:
	v_cmp_lt_i16_e32 vcc, 14, v6
	s_mov_b64 s[6:7], -1
	s_cbranch_vccz .LBB10_839
; %bb.836:
	v_cmp_eq_u16_e32 vcc, 15, v6
	s_mov_b64 s[0:1], -1
	s_cbranch_vccz .LBB10_838
; %bb.837:
	v_cvt_f32_f64_e32 v2, v[0:1]
	v_bfe_u32 v3, v2, 16, 1
	s_movk_i32 s0, 0x7fff
	v_add3_u32 v3, v2, v3, s0
	v_lshrrev_b32_e32 v3, 16, v3
	v_mov_b32_e32 v7, 0x7fc0
	v_cmp_o_f32_e32 vcc, v2, v2
	s_mov_b64 s[0:1], 0
	s_nop 0
	v_cndmask_b32_e32 v2, v7, v3, vcc
	global_store_short v[4:5], v2, off
.LBB10_838:
	s_mov_b64 s[6:7], 0
.LBB10_839:
	s_and_b64 vcc, exec, s[6:7]
	s_cbranch_vccz .LBB10_841
; %bb.840:
	v_cmp_ne_u16_e64 s[0:1], 11, v6
	s_mov_b64 s[4:5], -1
.LBB10_841:
	s_and_b64 vcc, exec, s[0:1]
	s_cbranch_vccnz .LBB10_1013
.LBB10_842:
	s_mov_b64 s[0:1], 0
	s_branch .LBB10_962
.LBB10_843:
	s_mov_b64 s[4:5], 0
	s_mov_b64 s[0:1], -1
	s_branch .LBB10_962
.LBB10_844:
	s_mov_b64 s[0:1], 0
	s_branch .LBB10_862
.LBB10_845:
	s_or_saveexec_b64 s[10:11], s[10:11]
                                        ; implicit-def: $sgpr13
	s_xor_b64 exec, exec, s[10:11]
	s_cbranch_execz .LBB10_670
.LBB10_846:
	s_mov_b32 s13, 0x46000000
	v_add_f32_e64 v6, |v3|, s13
	v_and_b32_e32 v6, 0xff, v6
	v_cmp_ne_u32_e32 vcc, 0, v6
	s_andn2_b64 s[8:9], s[8:9], exec
	s_and_b64 s[14:15], vcc, exec
	s_mov_b32 s13, 0
	s_or_b64 s[8:9], s[8:9], s[14:15]
	s_or_b64 exec, exec, s[10:11]
	v_mov_b32_e32 v7, s13
	s_and_saveexec_b64 s[10:11], s[8:9]
	s_cbranch_execnz .LBB10_671
	s_branch .LBB10_672
.LBB10_847:
	s_mov_b64 s[0:1], 0
	s_branch .LBB10_858
.LBB10_848:
	s_trap 2
	s_or_b64 s[2:3], s[2:3], exec
	s_cbranch_execz .LBB10_718
	s_branch .LBB10_719
.LBB10_849:
	s_or_saveexec_b64 s[8:9], s[8:9]
                                        ; implicit-def: $sgpr10
	s_xor_b64 exec, exec, s[8:9]
	s_cbranch_execz .LBB10_683
.LBB10_850:
	s_mov_b32 s10, 0x42800000
	v_add_f32_e64 v6, |v3|, s10
	v_and_b32_e32 v6, 0xff, v6
	v_cmp_ne_u32_e32 vcc, 0, v6
	s_andn2_b64 s[6:7], s[6:7], exec
	s_and_b64 s[14:15], vcc, exec
	s_mov_b32 s10, 0
	s_or_b64 s[6:7], s[6:7], s[14:15]
	s_or_b64 exec, exec, s[8:9]
	v_mov_b32_e32 v7, s10
	s_and_saveexec_b64 s[8:9], s[6:7]
	s_cbranch_execnz .LBB10_684
	s_branch .LBB10_685
.LBB10_851:
	s_mov_b64 s[0:1], 0
.LBB10_852:
	s_and_b64 vcc, exec, s[8:9]
	s_cbranch_vccz .LBB10_857
; %bb.853:
	v_mov_b32_e32 v3, 44
	v_cmp_eq_u16_sdwa s[8:9], v43, v3 src0_sel:BYTE_0 src1_sel:DWORD
	s_mov_b64 s[0:1], -1
	s_and_b64 vcc, exec, s[8:9]
	s_cbranch_vccz .LBB10_857
; %bb.854:
	v_cvt_f32_f64_e32 v3, v[34:35]
	v_bfe_u32 v6, v3, 23, 8
	s_movk_i32 s0, 0xff
	v_cmp_ne_u32_e32 vcc, s0, v6
	v_mov_b32_e32 v7, 0xff
	s_and_saveexec_b64 s[6:7], vcc
; %bb.855:
	s_mov_b32 s0, 0x3fffff
	v_lshrrev_b32_e32 v7, 23, v3
	v_and_b32_e32 v8, 0x400000, v3
	v_and_or_b32 v3, v3, s0, v6
	v_cmp_ne_u32_e32 vcc, 0, v8
	v_cmp_ne_u32_e64 s[0:1], 0, v3
	s_and_b64 s[0:1], vcc, s[0:1]
	s_nop 0
	v_cndmask_b32_e64 v3, 0, 1, s[0:1]
	v_add_u32_e32 v7, v7, v3
; %bb.856:
	s_or_b64 exec, exec, s[6:7]
	s_mov_b64 s[0:1], 0
	s_mov_b64 s[6:7], -1
	global_store_byte v[4:5], v7, off
.LBB10_857:
	s_mov_b64 s[8:9], 0
.LBB10_858:
	s_and_b64 vcc, exec, s[8:9]
	s_cbranch_vccz .LBB10_861
; %bb.859:
	v_mov_b32_e32 v3, 29
	v_cmp_eq_u16_sdwa s[8:9], v43, v3 src0_sel:BYTE_0 src1_sel:DWORD
	s_mov_b64 s[0:1], -1
	s_and_b64 vcc, exec, s[8:9]
	s_cbranch_vccz .LBB10_861
; %bb.860:
	v_trunc_f64_e32 v[6:7], v[34:35]
	s_movk_i32 s0, 0xffe0
	v_ldexp_f64 v[8:9], v[6:7], s0
	v_floor_f64_e32 v[8:9], v[8:9]
	v_fmac_f64_e32 v[6:7], 0xc1f00000, v[8:9]
	v_cvt_u32_f64_e32 v11, v[8:9]
	v_cvt_u32_f64_e32 v10, v[6:7]
	global_store_dwordx2 v[4:5], v[10:11], off
	s_mov_b64 s[0:1], 0
	s_mov_b64 s[6:7], -1
.LBB10_861:
	s_mov_b64 s[8:9], 0
.LBB10_862:
	s_and_b64 vcc, exec, s[8:9]
	s_cbranch_vccz .LBB10_878
; %bb.863:
	v_mov_b32_e32 v3, 27
	v_cmp_lt_i16_sdwa s[8:9], v43, v3 src0_sel:BYTE_0 src1_sel:DWORD
	s_mov_b64 s[6:7], -1
	s_and_b64 vcc, exec, s[8:9]
	s_cbranch_vccnz .LBB10_869
; %bb.864:
	v_cmp_gt_i16_sdwa s[8:9], v43, v3 src0_sel:BYTE_0 src1_sel:DWORD
	s_and_b64 vcc, exec, s[8:9]
	v_cvt_u32_f64_e32 v3, v[34:35]
	s_cbranch_vccz .LBB10_866
; %bb.865:
	s_mov_b64 s[6:7], 0
	global_store_dword v[4:5], v3, off
.LBB10_866:
	s_andn2_b64 vcc, exec, s[6:7]
	s_cbranch_vccnz .LBB10_868
; %bb.867:
	global_store_short v[4:5], v3, off
.LBB10_868:
	s_mov_b64 s[6:7], 0
.LBB10_869:
	s_andn2_b64 vcc, exec, s[6:7]
	s_cbranch_vccnz .LBB10_877
; %bb.870:
	v_cvt_f32_f64_e32 v3, v[34:35]
	v_and_b32_e32 v6, 0x7fffffff, v3
	s_mov_b32 s6, 0x43800000
	v_cmp_gt_u32_e32 vcc, s6, v6
	v_mov_b32_e32 v7, 0x80
	s_and_saveexec_b64 s[6:7], vcc
	s_cbranch_execz .LBB10_876
; %bb.871:
	s_mov_b32 s8, 0x3bffffff
	v_cmp_lt_u32_e32 vcc, s8, v6
	s_mov_b64 s[8:9], 0
                                        ; implicit-def: $vgpr6
	s_and_saveexec_b64 s[10:11], vcc
	s_xor_b64 s[10:11], exec, s[10:11]
	s_cbranch_execz .LBB10_1006
; %bb.872:
	v_bfe_u32 v6, v3, 20, 1
	s_mov_b32 s13, 0x487ffff
	v_add3_u32 v6, v3, v6, s13
	s_mov_b64 s[8:9], exec
	v_lshrrev_b32_e32 v6, 20, v6
	s_or_saveexec_b64 s[10:11], s[10:11]
                                        ; implicit-def: $sgpr13
	s_xor_b64 exec, exec, s[10:11]
	s_cbranch_execnz .LBB10_1007
.LBB10_873:
	s_or_b64 exec, exec, s[10:11]
	v_mov_b32_e32 v7, s13
	s_and_saveexec_b64 s[10:11], s[8:9]
.LBB10_874:
	v_lshrrev_b32_e32 v3, 24, v3
	s_movk_i32 s8, 0x80
	v_and_or_b32 v7, v3, s8, v6
.LBB10_875:
	s_or_b64 exec, exec, s[10:11]
.LBB10_876:
	s_or_b64 exec, exec, s[6:7]
	global_store_byte v[4:5], v7, off
.LBB10_877:
	s_mov_b64 s[6:7], -1
.LBB10_878:
	s_mov_b64 s[8:9], 0
.LBB10_879:
	s_and_b64 vcc, exec, s[8:9]
	s_cbranch_vccz .LBB10_919
; %bb.880:
	v_mov_b32_e32 v3, 22
	v_cmp_gt_i16_sdwa s[8:9], v43, v3 src0_sel:BYTE_0 src1_sel:DWORD
	s_mov_b64 s[4:5], -1
	s_and_b64 vcc, exec, s[8:9]
	s_cbranch_vccz .LBB10_912
; %bb.881:
	v_mov_b32_e32 v3, 24
	v_cmp_lt_i16_sdwa s[6:7], v43, v3 src0_sel:BYTE_0 src1_sel:DWORD
	s_and_b64 vcc, exec, s[6:7]
	s_cbranch_vccnz .LBB10_901
; %bb.882:
	v_cmp_gt_i16_sdwa s[6:7], v43, v3 src0_sel:BYTE_0 src1_sel:DWORD
	s_and_b64 vcc, exec, s[6:7]
	s_cbranch_vccz .LBB10_890
; %bb.883:
	v_cvt_f32_f64_e32 v3, v[34:35]
	v_and_b32_e32 v6, 0x7fffffff, v3
	s_mov_b32 s4, 0x47800000
	v_cmp_gt_u32_e32 vcc, s4, v6
	v_mov_b32_e32 v7, 0x80
	s_and_saveexec_b64 s[4:5], vcc
	s_cbranch_execz .LBB10_889
; %bb.884:
	s_mov_b32 s6, 0x37ffffff
	v_cmp_lt_u32_e32 vcc, s6, v6
	s_mov_b64 s[6:7], 0
                                        ; implicit-def: $vgpr6
	s_and_saveexec_b64 s[8:9], vcc
	s_xor_b64 s[8:9], exec, s[8:9]
	s_cbranch_execz .LBB10_1011
; %bb.885:
	v_bfe_u32 v6, v3, 21, 1
	s_mov_b32 s10, 0x88fffff
	v_add3_u32 v6, v3, v6, s10
	s_mov_b64 s[6:7], exec
	v_lshrrev_b32_e32 v6, 21, v6
	s_or_saveexec_b64 s[8:9], s[8:9]
                                        ; implicit-def: $sgpr10
	s_xor_b64 exec, exec, s[8:9]
	s_cbranch_execnz .LBB10_1012
.LBB10_886:
	s_or_b64 exec, exec, s[8:9]
	v_mov_b32_e32 v7, s10
	s_and_saveexec_b64 s[8:9], s[6:7]
.LBB10_887:
	v_lshrrev_b32_e32 v3, 24, v3
	s_movk_i32 s6, 0x80
	v_and_or_b32 v7, v3, s6, v6
.LBB10_888:
	s_or_b64 exec, exec, s[8:9]
.LBB10_889:
	s_or_b64 exec, exec, s[4:5]
	s_mov_b64 s[4:5], 0
	global_store_byte v[4:5], v7, off
.LBB10_890:
	s_and_b64 vcc, exec, s[4:5]
	s_cbranch_vccz .LBB10_900
; %bb.891:
	v_cvt_f32_f64_e32 v3, v[34:35]
	v_and_b32_e32 v7, 0x7fffffff, v3
	s_mov_b32 s4, 0x43f00000
	v_cmp_gt_u32_e32 vcc, s4, v7
                                        ; implicit-def: $vgpr6
	s_and_saveexec_b64 s[4:5], vcc
	s_xor_b64 s[4:5], exec, s[4:5]
	s_cbranch_execz .LBB10_897
; %bb.892:
	s_mov_b32 s6, 0x3c7fffff
	v_cmp_lt_u32_e32 vcc, s6, v7
                                        ; implicit-def: $vgpr6
	s_and_saveexec_b64 s[6:7], vcc
	s_xor_b64 s[6:7], exec, s[6:7]
; %bb.893:
	v_bfe_u32 v6, v3, 20, 1
	s_mov_b32 s8, 0x407ffff
	v_add3_u32 v6, v3, v6, s8
	v_lshrrev_b32_e32 v7, 20, v6
	v_and_b32_e32 v6, 0xff00000, v6
	s_mov_b32 s8, 0x7f00000
	v_mov_b32_e32 v8, 0x7e
	v_cmp_ne_u32_e32 vcc, s8, v6
	s_nop 1
	v_cndmask_b32_e32 v6, v8, v7, vcc
; %bb.894:
	s_andn2_saveexec_b64 s[6:7], s[6:7]
; %bb.895:
	s_mov_b32 s8, 0x46800000
	v_add_f32_e64 v6, |v3|, s8
; %bb.896:
	s_or_b64 exec, exec, s[6:7]
                                        ; implicit-def: $vgpr7
.LBB10_897:
	s_andn2_saveexec_b64 s[4:5], s[4:5]
; %bb.898:
	s_mov_b32 s6, 0x7f800000
	v_mov_b32_e32 v6, 0x7e
	v_mov_b32_e32 v8, 0x7f
	v_cmp_lt_u32_e32 vcc, s6, v7
	s_nop 1
	v_cndmask_b32_e32 v6, v6, v8, vcc
; %bb.899:
	s_or_b64 exec, exec, s[4:5]
	v_lshrrev_b32_e32 v3, 24, v3
	s_movk_i32 s4, 0x80
	v_and_or_b32 v3, v3, s4, v6
	global_store_byte v[4:5], v3, off
.LBB10_900:
	s_mov_b64 s[4:5], 0
.LBB10_901:
	s_andn2_b64 vcc, exec, s[4:5]
	s_cbranch_vccnz .LBB10_911
; %bb.902:
	v_cvt_f32_f64_e32 v3, v[34:35]
	v_and_b32_e32 v7, 0x7fffffff, v3
	s_mov_b32 s4, 0x47800000
	v_cmp_gt_u32_e32 vcc, s4, v7
                                        ; implicit-def: $vgpr6
	s_and_saveexec_b64 s[4:5], vcc
	s_xor_b64 s[4:5], exec, s[4:5]
	s_cbranch_execz .LBB10_908
; %bb.903:
	s_mov_b32 s6, 0x387fffff
	v_cmp_lt_u32_e32 vcc, s6, v7
                                        ; implicit-def: $vgpr6
	s_and_saveexec_b64 s[6:7], vcc
	s_xor_b64 s[6:7], exec, s[6:7]
; %bb.904:
	v_bfe_u32 v6, v3, 21, 1
	s_mov_b32 s8, 0x80fffff
	v_add3_u32 v6, v3, v6, s8
	v_lshrrev_b32_e32 v6, 21, v6
; %bb.905:
	s_andn2_saveexec_b64 s[6:7], s[6:7]
; %bb.906:
	s_mov_b32 s8, 0x43000000
	v_add_f32_e64 v6, |v3|, s8
; %bb.907:
	s_or_b64 exec, exec, s[6:7]
                                        ; implicit-def: $vgpr7
.LBB10_908:
	s_andn2_saveexec_b64 s[4:5], s[4:5]
; %bb.909:
	s_mov_b32 s6, 0x7f800000
	v_mov_b32_e32 v6, 0x7c
	v_mov_b32_e32 v8, 0x7f
	v_cmp_lt_u32_e32 vcc, s6, v7
	s_nop 1
	v_cndmask_b32_e32 v6, v6, v8, vcc
; %bb.910:
	s_or_b64 exec, exec, s[4:5]
	v_lshrrev_b32_e32 v3, 24, v3
	s_movk_i32 s4, 0x80
	v_and_or_b32 v3, v3, s4, v6
	global_store_byte v[4:5], v3, off
.LBB10_911:
	s_mov_b64 s[4:5], 0
	s_mov_b64 s[6:7], -1
.LBB10_912:
	s_andn2_b64 vcc, exec, s[4:5]
	s_mov_b64 s[4:5], 0
	s_cbranch_vccnz .LBB10_919
; %bb.913:
	v_mov_b32_e32 v3, 14
	v_cmp_gt_i16_sdwa s[4:5], v43, v3 src0_sel:BYTE_0 src1_sel:DWORD
	s_mov_b64 s[8:9], -1
	s_and_b64 vcc, exec, s[4:5]
	s_cbranch_vccz .LBB10_917
; %bb.914:
	v_mov_b32_e32 v3, 15
	v_cmp_eq_u16_sdwa s[4:5], v43, v3 src0_sel:BYTE_0 src1_sel:DWORD
	s_mov_b64 s[0:1], -1
	s_and_b64 vcc, exec, s[4:5]
	s_cbranch_vccz .LBB10_916
; %bb.915:
	v_cvt_f32_f64_e32 v3, v[34:35]
	v_bfe_u32 v6, v3, 16, 1
	s_movk_i32 s0, 0x7fff
	v_add3_u32 v6, v3, v6, s0
	v_lshrrev_b32_e32 v6, 16, v6
	v_mov_b32_e32 v7, 0x7fc0
	v_cmp_o_f32_e32 vcc, v3, v3
	s_mov_b64 s[0:1], 0
	s_mov_b64 s[6:7], -1
	v_cndmask_b32_e32 v3, v7, v6, vcc
	global_store_short v[4:5], v3, off
.LBB10_916:
	s_mov_b64 s[8:9], 0
.LBB10_917:
	s_mov_b64 s[4:5], 0
	s_and_b64 vcc, exec, s[8:9]
	s_cbranch_vccz .LBB10_919
; %bb.918:
	v_mov_b32_e32 v3, 11
	v_cmp_ne_u16_sdwa s[0:1], v43, v3 src0_sel:BYTE_0 src1_sel:DWORD
	s_mov_b64 s[4:5], -1
.LBB10_919:
	s_and_b64 vcc, exec, s[0:1]
	s_cbranch_vccnz .LBB10_1008
; %bb.920:
	s_andn2_b64 vcc, exec, s[4:5]
	s_cbranch_vccnz .LBB10_922
.LBB10_921:
	v_cmp_neq_f64_e32 vcc, 0, v[34:35]
	s_mov_b64 s[6:7], -1
	s_nop 0
	v_cndmask_b32_e64 v3, 0, 1, vcc
	global_store_byte v[4:5], v3, off
.LBB10_922:
	s_branch .LBB10_766
.LBB10_923:
	v_mov_b32_e32 v3, 5
	v_cmp_lt_i16_sdwa s[4:5], v43, v3 src0_sel:BYTE_0 src1_sel:DWORD
	s_mov_b64 s[0:1], -1
	s_and_b64 vcc, exec, s[4:5]
	s_cbranch_vccnz .LBB10_944
; %bb.924:
	v_mov_b32_e32 v3, 8
	v_cmp_lt_i16_sdwa s[4:5], v43, v3 src0_sel:BYTE_0 src1_sel:DWORD
	s_and_b64 vcc, exec, s[4:5]
	s_cbranch_vccnz .LBB10_934
; %bb.925:
	v_mov_b32_e32 v3, 9
	v_cmp_lt_i16_sdwa s[4:5], v43, v3 src0_sel:BYTE_0 src1_sel:DWORD
	s_and_b64 vcc, exec, s[4:5]
	s_cbranch_vccnz .LBB10_931
; %bb.926:
	v_cmp_gt_i16_sdwa s[4:5], v43, v3 src0_sel:BYTE_0 src1_sel:DWORD
	s_and_b64 vcc, exec, s[4:5]
	s_cbranch_vccz .LBB10_928
; %bb.927:
	v_mov_b32_e32 v36, 0
	v_mov_b32_e32 v37, v36
	global_store_dwordx4 v[4:5], v[34:37], off
	s_mov_b64 s[0:1], 0
.LBB10_928:
	s_andn2_b64 vcc, exec, s[0:1]
	s_cbranch_vccnz .LBB10_930
; %bb.929:
	v_cvt_f32_f64_e32 v6, v[34:35]
	v_mov_b32_e32 v7, 0
	global_store_dwordx2 v[4:5], v[6:7], off
.LBB10_930:
	s_mov_b64 s[0:1], 0
.LBB10_931:
	s_andn2_b64 vcc, exec, s[0:1]
	s_cbranch_vccnz .LBB10_933
; %bb.932:
	v_cvt_f32_f64_e32 v3, v[34:35]
	v_cvt_f16_f32_e32 v3, v3
	global_store_dword v[4:5], v3, off
.LBB10_933:
	s_mov_b64 s[0:1], 0
.LBB10_934:
	s_andn2_b64 vcc, exec, s[0:1]
	s_cbranch_vccnz .LBB10_943
; %bb.935:
	v_mov_b32_e32 v3, 6
	v_cmp_lt_i16_sdwa s[4:5], v43, v3 src0_sel:BYTE_0 src1_sel:DWORD
	s_mov_b64 s[0:1], -1
	s_and_b64 vcc, exec, s[4:5]
	s_cbranch_vccnz .LBB10_941
; %bb.936:
	v_cmp_gt_i16_sdwa s[4:5], v43, v3 src0_sel:BYTE_0 src1_sel:DWORD
	s_and_b64 vcc, exec, s[4:5]
	s_cbranch_vccz .LBB10_938
; %bb.937:
	global_store_dwordx2 v[4:5], v[34:35], off
	s_mov_b64 s[0:1], 0
.LBB10_938:
	s_andn2_b64 vcc, exec, s[0:1]
	s_cbranch_vccnz .LBB10_940
; %bb.939:
	v_cvt_f32_f64_e32 v3, v[34:35]
	global_store_dword v[4:5], v3, off
.LBB10_940:
	s_mov_b64 s[0:1], 0
.LBB10_941:
	s_andn2_b64 vcc, exec, s[0:1]
	s_cbranch_vccnz .LBB10_943
; %bb.942:
	v_cvt_f32_f64_e32 v3, v[34:35]
	v_cvt_f16_f32_e32 v3, v3
	global_store_short v[4:5], v3, off
.LBB10_943:
	s_mov_b64 s[0:1], 0
.LBB10_944:
	s_andn2_b64 vcc, exec, s[0:1]
	s_cbranch_vccnz .LBB10_960
; %bb.945:
	v_mov_b32_e32 v3, 2
	v_cmp_lt_i16_sdwa s[4:5], v43, v3 src0_sel:BYTE_0 src1_sel:DWORD
	s_mov_b64 s[0:1], -1
	s_and_b64 vcc, exec, s[4:5]
	s_cbranch_vccnz .LBB10_955
; %bb.946:
	v_mov_b32_e32 v3, 3
	v_cmp_lt_i16_sdwa s[4:5], v43, v3 src0_sel:BYTE_0 src1_sel:DWORD
	s_and_b64 vcc, exec, s[4:5]
	s_cbranch_vccnz .LBB10_952
; %bb.947:
	v_cmp_gt_i16_sdwa s[4:5], v43, v3 src0_sel:BYTE_0 src1_sel:DWORD
	s_and_b64 vcc, exec, s[4:5]
	s_cbranch_vccz .LBB10_949
; %bb.948:
	v_trunc_f64_e32 v[6:7], v[34:35]
	s_movk_i32 s0, 0xffe0
	v_ldexp_f64 v[8:9], v[6:7], s0
	v_floor_f64_e32 v[8:9], v[8:9]
	v_fmac_f64_e32 v[6:7], 0xc1f00000, v[8:9]
	v_cvt_i32_f64_e32 v11, v[8:9]
	v_cvt_u32_f64_e32 v10, v[6:7]
	global_store_dwordx2 v[4:5], v[10:11], off
	s_mov_b64 s[0:1], 0
.LBB10_949:
	s_andn2_b64 vcc, exec, s[0:1]
	s_cbranch_vccnz .LBB10_951
; %bb.950:
	v_cvt_i32_f64_e32 v3, v[34:35]
	global_store_dword v[4:5], v3, off
.LBB10_951:
	s_mov_b64 s[0:1], 0
.LBB10_952:
	s_andn2_b64 vcc, exec, s[0:1]
	s_cbranch_vccnz .LBB10_954
; %bb.953:
	v_cvt_i32_f64_e32 v3, v[34:35]
	global_store_short v[4:5], v3, off
.LBB10_954:
	s_mov_b64 s[0:1], 0
.LBB10_955:
	s_andn2_b64 vcc, exec, s[0:1]
	s_cbranch_vccnz .LBB10_960
; %bb.956:
	v_mov_b32_e32 v3, 0
	v_cmp_gt_i16_sdwa s[4:5], v43, v3 src0_sel:BYTE_0 src1_sel:DWORD
	s_mov_b64 s[0:1], -1
	s_and_b64 vcc, exec, s[4:5]
	s_cbranch_vccz .LBB10_958
; %bb.957:
	v_cvt_i32_f64_e32 v3, v[34:35]
	global_store_byte v[4:5], v3, off
	s_mov_b64 s[0:1], 0
.LBB10_958:
	s_andn2_b64 vcc, exec, s[0:1]
	s_cbranch_vccnz .LBB10_960
; %bb.959:
	v_trunc_f64_e32 v[6:7], v[34:35]
	s_movk_i32 s0, 0xffe0
	v_ldexp_f64 v[8:9], v[6:7], s0
	v_floor_f64_e32 v[8:9], v[8:9]
	v_fmac_f64_e32 v[6:7], 0xc1f00000, v[8:9]
	v_cvt_u32_f64_e32 v3, v[6:7]
	global_store_byte v[4:5], v3, off
.LBB10_960:
	s_branch .LBB10_767
.LBB10_961:
	s_mov_b64 s[0:1], 0
	s_mov_b64 s[4:5], 0
                                        ; implicit-def: $vgpr6
                                        ; implicit-def: $vgpr4_vgpr5
.LBB10_962:
	s_and_b64 s[40:41], s[4:5], exec
	s_andn2_b64 s[4:5], s[44:45], exec
	s_and_b64 s[2:3], s[2:3], exec
	s_and_b64 s[0:1], s[0:1], exec
	s_or_b64 s[44:45], s[4:5], s[2:3]
.LBB10_963:
	s_or_b64 exec, exec, s[42:43]
	s_and_saveexec_b64 s[2:3], s[44:45]
	s_cbranch_execz .LBB10_966
; %bb.964:
	; divergent unreachable
	s_or_b64 exec, exec, s[2:3]
	s_and_saveexec_b64 s[2:3], s[40:41]
	s_xor_b64 s[2:3], exec, s[2:3]
	s_cbranch_execnz .LBB10_967
.LBB10_965:
	s_or_b64 exec, exec, s[2:3]
	s_and_saveexec_b64 s[2:3], s[0:1]
	s_cbranch_execnz .LBB10_968
	s_branch .LBB10_1005
.LBB10_966:
	s_or_b64 exec, exec, s[2:3]
	s_and_saveexec_b64 s[2:3], s[40:41]
	s_xor_b64 s[2:3], exec, s[2:3]
	s_cbranch_execz .LBB10_965
.LBB10_967:
	v_cmp_neq_f64_e32 vcc, 0, v[0:1]
	s_nop 1
	v_cndmask_b32_e64 v2, 0, 1, vcc
	global_store_byte v[4:5], v2, off
	s_or_b64 exec, exec, s[2:3]
	s_and_saveexec_b64 s[2:3], s[0:1]
	s_cbranch_execz .LBB10_1005
.LBB10_968:
	v_cmp_gt_i16_e32 vcc, 5, v6
	s_mov_b64 s[0:1], -1
	s_cbranch_vccnz .LBB10_989
; %bb.969:
	v_cmp_gt_i16_e32 vcc, 8, v6
	s_cbranch_vccnz .LBB10_979
; %bb.970:
	v_cmp_gt_i16_e32 vcc, 9, v6
	s_cbranch_vccnz .LBB10_976
; %bb.971:
	v_cmp_lt_i16_e32 vcc, 9, v6
	s_cbranch_vccz .LBB10_973
; %bb.972:
	v_mov_b32_e32 v2, 0
	v_mov_b32_e32 v3, v2
	global_store_dwordx4 v[4:5], v[0:3], off
	s_mov_b64 s[0:1], 0
.LBB10_973:
	s_andn2_b64 vcc, exec, s[0:1]
	s_cbranch_vccnz .LBB10_975
; %bb.974:
	v_cvt_f32_f64_e32 v2, v[0:1]
	v_mov_b32_e32 v3, 0
	global_store_dwordx2 v[4:5], v[2:3], off
.LBB10_975:
	s_mov_b64 s[0:1], 0
.LBB10_976:
	s_andn2_b64 vcc, exec, s[0:1]
	s_cbranch_vccnz .LBB10_978
; %bb.977:
	v_cvt_f32_f64_e32 v2, v[0:1]
	v_cvt_f16_f32_e32 v2, v2
	global_store_dword v[4:5], v2, off
.LBB10_978:
	s_mov_b64 s[0:1], 0
.LBB10_979:
	s_andn2_b64 vcc, exec, s[0:1]
	s_cbranch_vccnz .LBB10_988
; %bb.980:
	v_cmp_gt_i16_e32 vcc, 6, v6
	s_mov_b64 s[0:1], -1
	s_cbranch_vccnz .LBB10_986
; %bb.981:
	v_cmp_lt_i16_e32 vcc, 6, v6
	s_cbranch_vccz .LBB10_983
; %bb.982:
	global_store_dwordx2 v[4:5], v[0:1], off
	s_mov_b64 s[0:1], 0
.LBB10_983:
	s_andn2_b64 vcc, exec, s[0:1]
	s_cbranch_vccnz .LBB10_985
; %bb.984:
	v_cvt_f32_f64_e32 v2, v[0:1]
	global_store_dword v[4:5], v2, off
.LBB10_985:
	s_mov_b64 s[0:1], 0
.LBB10_986:
	s_andn2_b64 vcc, exec, s[0:1]
	s_cbranch_vccnz .LBB10_988
; %bb.987:
	v_cvt_f32_f64_e32 v2, v[0:1]
	v_cvt_f16_f32_e32 v2, v2
	global_store_short v[4:5], v2, off
.LBB10_988:
	s_mov_b64 s[0:1], 0
.LBB10_989:
	s_andn2_b64 vcc, exec, s[0:1]
	s_cbranch_vccnz .LBB10_1005
; %bb.990:
	v_cmp_gt_i16_e32 vcc, 2, v6
	s_mov_b64 s[0:1], -1
	s_cbranch_vccnz .LBB10_1000
; %bb.991:
	v_cmp_gt_i16_e32 vcc, 3, v6
	s_cbranch_vccnz .LBB10_997
; %bb.992:
	v_cmp_lt_i16_e32 vcc, 3, v6
	s_cbranch_vccz .LBB10_994
; %bb.993:
	v_trunc_f64_e32 v[2:3], v[0:1]
	s_movk_i32 s0, 0xffe0
	v_ldexp_f64 v[8:9], v[2:3], s0
	v_floor_f64_e32 v[8:9], v[8:9]
	v_fmac_f64_e32 v[2:3], 0xc1f00000, v[8:9]
	v_cvt_i32_f64_e32 v11, v[8:9]
	v_cvt_u32_f64_e32 v10, v[2:3]
	global_store_dwordx2 v[4:5], v[10:11], off
	s_mov_b64 s[0:1], 0
.LBB10_994:
	s_andn2_b64 vcc, exec, s[0:1]
	s_cbranch_vccnz .LBB10_996
; %bb.995:
	v_cvt_i32_f64_e32 v2, v[0:1]
	global_store_dword v[4:5], v2, off
.LBB10_996:
	s_mov_b64 s[0:1], 0
.LBB10_997:
	s_andn2_b64 vcc, exec, s[0:1]
	s_cbranch_vccnz .LBB10_999
; %bb.998:
	v_cvt_i32_f64_e32 v2, v[0:1]
	global_store_short v[4:5], v2, off
.LBB10_999:
	s_mov_b64 s[0:1], 0
.LBB10_1000:
	s_andn2_b64 vcc, exec, s[0:1]
	s_cbranch_vccnz .LBB10_1005
; %bb.1001:
	v_cmp_lt_i16_e32 vcc, 0, v6
	s_mov_b64 s[0:1], -1
	s_cbranch_vccz .LBB10_1003
; %bb.1002:
	v_cvt_i32_f64_e32 v2, v[0:1]
	global_store_byte v[4:5], v2, off
	s_mov_b64 s[0:1], 0
.LBB10_1003:
	s_andn2_b64 vcc, exec, s[0:1]
	s_cbranch_vccnz .LBB10_1005
; %bb.1004:
	v_trunc_f64_e32 v[0:1], v[0:1]
	s_movk_i32 s0, 0xffe0
	v_ldexp_f64 v[2:3], v[0:1], s0
	v_floor_f64_e32 v[2:3], v[2:3]
	v_fmac_f64_e32 v[0:1], 0xc1f00000, v[2:3]
	v_cvt_u32_f64_e32 v0, v[0:1]
	global_store_byte v[4:5], v0, off
	s_endpgm
.LBB10_1005:
	s_endpgm
.LBB10_1006:
	s_or_saveexec_b64 s[10:11], s[10:11]
                                        ; implicit-def: $sgpr13
	s_xor_b64 exec, exec, s[10:11]
	s_cbranch_execz .LBB10_873
.LBB10_1007:
	s_mov_b32 s13, 0x46000000
	v_add_f32_e64 v6, |v3|, s13
	v_and_b32_e32 v6, 0xff, v6
	v_cmp_ne_u32_e32 vcc, 0, v6
	s_andn2_b64 s[8:9], s[8:9], exec
	s_and_b64 s[14:15], vcc, exec
	s_mov_b32 s13, 0
	s_or_b64 s[8:9], s[8:9], s[14:15]
	s_or_b64 exec, exec, s[10:11]
	v_mov_b32_e32 v7, s13
	s_and_saveexec_b64 s[10:11], s[8:9]
	s_cbranch_execnz .LBB10_874
	s_branch .LBB10_875
.LBB10_1008:
	s_trap 2
	s_or_b64 s[2:3], s[2:3], exec
	s_cbranch_execz .LBB10_921
	s_branch .LBB10_922
.LBB10_1009:
	s_or_saveexec_b64 s[10:11], s[10:11]
                                        ; implicit-def: $sgpr12
	s_xor_b64 exec, exec, s[10:11]
	s_cbranch_execz .LBB10_796
.LBB10_1010:
	s_mov_b32 s12, 0x46000000
	v_add_f32_e64 v3, |v2|, s12
	v_and_b32_e32 v3, 0xff, v3
	v_cmp_ne_u32_e32 vcc, 0, v3
	s_andn2_b64 s[8:9], s[8:9], exec
	s_and_b64 s[14:15], vcc, exec
	s_mov_b32 s12, 0
	s_or_b64 s[8:9], s[8:9], s[14:15]
	s_or_b64 exec, exec, s[10:11]
	v_mov_b32_e32 v7, s12
	s_and_saveexec_b64 s[10:11], s[8:9]
	s_cbranch_execnz .LBB10_797
	s_branch .LBB10_798
.LBB10_1011:
	s_or_saveexec_b64 s[8:9], s[8:9]
                                        ; implicit-def: $sgpr10
	s_xor_b64 exec, exec, s[8:9]
	s_cbranch_execz .LBB10_886
.LBB10_1012:
	s_mov_b32 s10, 0x42800000
	v_add_f32_e64 v6, |v3|, s10
	v_and_b32_e32 v6, 0xff, v6
	v_cmp_ne_u32_e32 vcc, 0, v6
	s_andn2_b64 s[6:7], s[6:7], exec
	s_and_b64 s[14:15], vcc, exec
	s_mov_b32 s10, 0
	s_or_b64 s[6:7], s[6:7], s[14:15]
	s_or_b64 exec, exec, s[8:9]
	v_mov_b32_e32 v7, s10
	s_and_saveexec_b64 s[8:9], s[6:7]
	s_cbranch_execnz .LBB10_887
	s_branch .LBB10_888
.LBB10_1013:
	s_mov_b64 s[4:5], 0
	s_or_b64 s[2:3], s[2:3], exec
	s_trap 2
	s_branch .LBB10_842
.LBB10_1014:
	s_or_saveexec_b64 s[6:7], s[6:7]
                                        ; implicit-def: $sgpr8
	s_xor_b64 exec, exec, s[6:7]
	s_cbranch_execz .LBB10_422
.LBB10_1015:
	s_mov_b32 s8, 0x46000000
	v_add_f32_e64 v3, |v2|, s8
	v_and_b32_e32 v3, 0xff, v3
	v_cmp_ne_u32_e32 vcc, 0, v3
	s_andn2_b64 s[4:5], s[4:5], exec
	s_and_b64 s[10:11], vcc, exec
	s_mov_b32 s8, 0
	s_or_b64 s[4:5], s[4:5], s[10:11]
	s_or_b64 exec, exec, s[6:7]
	v_mov_b32_e32 v7, s8
	s_and_saveexec_b64 s[6:7], s[4:5]
	s_cbranch_execnz .LBB10_423
	s_branch .LBB10_424
.LBB10_1016:
	s_or_saveexec_b64 s[8:9], s[8:9]
                                        ; implicit-def: $sgpr10
	s_xor_b64 exec, exec, s[8:9]
	s_cbranch_execz .LBB10_808
.LBB10_1017:
	s_mov_b32 s10, 0x42800000
	v_add_f32_e64 v3, |v2|, s10
	v_and_b32_e32 v3, 0xff, v3
	v_cmp_ne_u32_e32 vcc, 0, v3
	s_andn2_b64 s[6:7], s[6:7], exec
	s_and_b64 s[12:13], vcc, exec
	s_mov_b32 s10, 0
	s_or_b64 s[6:7], s[6:7], s[12:13]
	s_or_b64 exec, exec, s[8:9]
	v_mov_b32_e32 v7, s10
	s_and_saveexec_b64 s[8:9], s[6:7]
	s_cbranch_execnz .LBB10_809
	s_branch .LBB10_810
.LBB10_1018:
	s_or_saveexec_b64 s[8:9], s[8:9]
                                        ; implicit-def: $sgpr10
	s_xor_b64 exec, exec, s[8:9]
	s_cbranch_execz .LBB10_434
.LBB10_1019:
	s_mov_b32 s10, 0x42800000
	v_add_f32_e64 v3, |v2|, s10
	v_and_b32_e32 v3, 0xff, v3
	v_cmp_ne_u32_e32 vcc, 0, v3
	s_andn2_b64 s[6:7], s[6:7], exec
	s_and_b64 s[12:13], vcc, exec
	s_mov_b32 s10, 0
	s_or_b64 s[6:7], s[6:7], s[12:13]
	s_or_b64 exec, exec, s[8:9]
	v_mov_b32_e32 v7, s10
	s_and_saveexec_b64 s[8:9], s[6:7]
	s_cbranch_execnz .LBB10_435
	s_branch .LBB10_436
	.section	.rodata,"a",@progbits
	.p2align	6, 0x0
	.amdhsa_kernel _ZN2at6native32elementwise_kernel_manual_unrollILi128ELi4EZNS0_15gpu_kernel_implIZZZNS0_12_GLOBAL__N_121bessel_y0_kernel_cudaERNS_18TensorIteratorBaseEENKUlvE_clEvENKUlvE_clEvEUldE_EEvS5_RKT_EUlibE_EEviT1_
		.amdhsa_group_segment_fixed_size 0
		.amdhsa_private_segment_fixed_size 0
		.amdhsa_kernarg_size 40
		.amdhsa_user_sgpr_count 2
		.amdhsa_user_sgpr_dispatch_ptr 0
		.amdhsa_user_sgpr_queue_ptr 0
		.amdhsa_user_sgpr_kernarg_segment_ptr 1
		.amdhsa_user_sgpr_dispatch_id 0
		.amdhsa_user_sgpr_kernarg_preload_length 0
		.amdhsa_user_sgpr_kernarg_preload_offset 0
		.amdhsa_user_sgpr_private_segment_size 0
		.amdhsa_uses_dynamic_stack 0
		.amdhsa_enable_private_segment 0
		.amdhsa_system_sgpr_workgroup_id_x 1
		.amdhsa_system_sgpr_workgroup_id_y 0
		.amdhsa_system_sgpr_workgroup_id_z 0
		.amdhsa_system_sgpr_workgroup_info 0
		.amdhsa_system_vgpr_workitem_id 0
		.amdhsa_next_free_vgpr 44
		.amdhsa_next_free_sgpr 58
		.amdhsa_accum_offset 44
		.amdhsa_reserve_vcc 1
		.amdhsa_float_round_mode_32 0
		.amdhsa_float_round_mode_16_64 0
		.amdhsa_float_denorm_mode_32 3
		.amdhsa_float_denorm_mode_16_64 3
		.amdhsa_dx10_clamp 1
		.amdhsa_ieee_mode 1
		.amdhsa_fp16_overflow 0
		.amdhsa_tg_split 0
		.amdhsa_exception_fp_ieee_invalid_op 0
		.amdhsa_exception_fp_denorm_src 0
		.amdhsa_exception_fp_ieee_div_zero 0
		.amdhsa_exception_fp_ieee_overflow 0
		.amdhsa_exception_fp_ieee_underflow 0
		.amdhsa_exception_fp_ieee_inexact 0
		.amdhsa_exception_int_div_zero 0
	.end_amdhsa_kernel
	.section	.text._ZN2at6native32elementwise_kernel_manual_unrollILi128ELi4EZNS0_15gpu_kernel_implIZZZNS0_12_GLOBAL__N_121bessel_y0_kernel_cudaERNS_18TensorIteratorBaseEENKUlvE_clEvENKUlvE_clEvEUldE_EEvS5_RKT_EUlibE_EEviT1_,"axG",@progbits,_ZN2at6native32elementwise_kernel_manual_unrollILi128ELi4EZNS0_15gpu_kernel_implIZZZNS0_12_GLOBAL__N_121bessel_y0_kernel_cudaERNS_18TensorIteratorBaseEENKUlvE_clEvENKUlvE_clEvEUldE_EEvS5_RKT_EUlibE_EEviT1_,comdat
.Lfunc_end10:
	.size	_ZN2at6native32elementwise_kernel_manual_unrollILi128ELi4EZNS0_15gpu_kernel_implIZZZNS0_12_GLOBAL__N_121bessel_y0_kernel_cudaERNS_18TensorIteratorBaseEENKUlvE_clEvENKUlvE_clEvEUldE_EEvS5_RKT_EUlibE_EEviT1_, .Lfunc_end10-_ZN2at6native32elementwise_kernel_manual_unrollILi128ELi4EZNS0_15gpu_kernel_implIZZZNS0_12_GLOBAL__N_121bessel_y0_kernel_cudaERNS_18TensorIteratorBaseEENKUlvE_clEvENKUlvE_clEvEUldE_EEvS5_RKT_EUlibE_EEviT1_
                                        ; -- End function
	.section	.AMDGPU.csdata,"",@progbits
; Kernel info:
; codeLenInByte = 18752
; NumSgprs: 64
; NumVgprs: 44
; NumAgprs: 0
; TotalNumVgprs: 44
; ScratchSize: 0
; MemoryBound: 0
; FloatMode: 240
; IeeeMode: 1
; LDSByteSize: 0 bytes/workgroup (compile time only)
; SGPRBlocks: 7
; VGPRBlocks: 5
; NumSGPRsForWavesPerEU: 64
; NumVGPRsForWavesPerEU: 44
; AccumOffset: 44
; Occupancy: 8
; WaveLimiterHint : 0
; COMPUTE_PGM_RSRC2:SCRATCH_EN: 0
; COMPUTE_PGM_RSRC2:USER_SGPR: 2
; COMPUTE_PGM_RSRC2:TRAP_HANDLER: 0
; COMPUTE_PGM_RSRC2:TGID_X_EN: 1
; COMPUTE_PGM_RSRC2:TGID_Y_EN: 0
; COMPUTE_PGM_RSRC2:TGID_Z_EN: 0
; COMPUTE_PGM_RSRC2:TIDIG_COMP_CNT: 0
; COMPUTE_PGM_RSRC3_GFX90A:ACCUM_OFFSET: 10
; COMPUTE_PGM_RSRC3_GFX90A:TG_SPLIT: 0
	.text
	.p2align	2                               ; -- Begin function _ZN2at6native6invokeIZZZNS0_12_GLOBAL__N_121bessel_y0_kernel_cudaERNS_18TensorIteratorBaseEENKUlvE_clEvENKUlvE_clEvEUldE_j15function_traitsIS7_EEENT1_11result_typeERKT_PrKPcPKT0_PKN3c1010ScalarTypeEi
	.type	_ZN2at6native6invokeIZZZNS0_12_GLOBAL__N_121bessel_y0_kernel_cudaERNS_18TensorIteratorBaseEENKUlvE_clEvENKUlvE_clEvEUldE_j15function_traitsIS7_EEENT1_11result_typeERKT_PrKPcPKT0_PKN3c1010ScalarTypeEi,@function
_ZN2at6native6invokeIZZZNS0_12_GLOBAL__N_121bessel_y0_kernel_cudaERNS_18TensorIteratorBaseEENKUlvE_clEvENKUlvE_clEvEUldE_j15function_traitsIS7_EEENT1_11result_typeERKT_PrKPcPKT0_PKN3c1010ScalarTypeEi: ; @_ZN2at6native6invokeIZZZNS0_12_GLOBAL__N_121bessel_y0_kernel_cudaERNS_18TensorIteratorBaseEENKUlvE_clEvENKUlvE_clEvEUldE_j15function_traitsIS7_EEENT1_11result_typeERKT_PrKPcPKT0_PKN3c1010ScalarTypeEi
; %bb.0:
	s_waitcnt vmcnt(0) expcnt(0) lgkmcnt(0)
	v_mov_b32_e32 v4, v3
	v_mov_b32_e32 v3, 0
	v_lshl_add_u64 v[0:1], v[0:1], 0, v[2:3]
	v_mov_b32_e32 v2, 10
	v_cmp_gt_i16_sdwa s[0:1], v4, v2 src0_sel:BYTE_0 src1_sel:DWORD
	s_mov_b64 s[4:5], 0
                                        ; implicit-def: $vgpr2_vgpr3
	s_and_saveexec_b64 s[2:3], s[0:1]
	s_xor_b64 s[0:1], exec, s[2:3]
	s_cbranch_execz .LBB11_53
; %bb.1:
	v_mov_b32_e32 v2, 25
	v_cmp_gt_i16_sdwa s[6:7], v4, v2 src0_sel:BYTE_0 src1_sel:DWORD
	s_mov_b64 s[2:3], 0
	s_mov_b64 s[8:9], 0
                                        ; implicit-def: $vgpr2_vgpr3
	s_and_saveexec_b64 s[10:11], s[6:7]
	s_xor_b64 s[6:7], exec, s[10:11]
	s_cbranch_execz .LBB11_96
; %bb.2:
	v_mov_b32_e32 v2, 28
	v_cmp_gt_i16_sdwa s[4:5], v4, v2 src0_sel:BYTE_0 src1_sel:DWORD
	s_mov_b64 s[10:11], 0
                                        ; implicit-def: $vgpr2_vgpr3
	s_and_saveexec_b64 s[12:13], s[4:5]
	s_xor_b64 s[4:5], exec, s[12:13]
	s_cbranch_execz .LBB11_18
; %bb.3:
	v_mov_b32_e32 v2, 43
	v_cmp_gt_i16_sdwa s[8:9], v4, v2 src0_sel:BYTE_0 src1_sel:DWORD
	s_mov_b64 s[12:13], 0
	s_mov_b64 s[14:15], 0
                                        ; implicit-def: $vgpr2_vgpr3
	s_and_saveexec_b64 s[10:11], s[8:9]
	s_xor_b64 s[8:9], exec, s[10:11]
	s_cbranch_execz .LBB11_13
; %bb.4:
	v_mov_b32_e32 v2, 45
	v_cmp_gt_i16_sdwa s[14:15], v4, v2 src0_sel:BYTE_0 src1_sel:DWORD
	s_mov_b64 s[10:11], 0
                                        ; implicit-def: $vgpr2_vgpr3
	s_and_saveexec_b64 s[16:17], s[14:15]
	s_xor_b64 s[14:15], exec, s[16:17]
	s_cbranch_execz .LBB11_8
; %bb.5:
	v_mov_b32_e32 v2, 46
	v_cmp_eq_u16_sdwa s[18:19], v4, v2 src0_sel:BYTE_0 src1_sel:DWORD
	s_mov_b64 s[16:17], -1
                                        ; implicit-def: $vgpr2_vgpr3
	s_and_saveexec_b64 s[12:13], s[18:19]
	s_cbranch_execz .LBB11_7
; %bb.6:
	flat_load_dword v2, v[0:1]
	s_mov_b64 s[10:11], exec
	s_xor_b64 s[16:17], exec, -1
	s_waitcnt vmcnt(0) lgkmcnt(0)
	v_lshlrev_b32_e32 v2, 16, v2
	v_cvt_f64_f32_e32 v[2:3], v2
.LBB11_7:
	s_or_b64 exec, exec, s[12:13]
	s_and_b64 s[12:13], s[10:11], exec
	s_and_b64 s[10:11], s[16:17], exec
                                        ; implicit-def: $vgpr4
.LBB11_8:
	s_andn2_saveexec_b64 s[14:15], s[14:15]
	s_cbranch_execz .LBB11_12
; %bb.9:
	v_mov_b32_e32 v2, 44
	v_cmp_eq_u16_sdwa s[22:23], v4, v2 src0_sel:BYTE_0 src1_sel:DWORD
	s_mov_b64 s[20:21], -1
	s_mov_b64 s[18:19], s[12:13]
                                        ; implicit-def: $vgpr2_vgpr3
	s_and_saveexec_b64 s[16:17], s[22:23]
	s_cbranch_execz .LBB11_11
; %bb.10:
	flat_load_ubyte v4, v[0:1]
	s_movk_i32 s20, 0xff
	v_bfrev_b32_e32 v5, 4
	v_mov_b32_e32 v6, 0x7ff80000
	v_bfrev_b32_e32 v7, 28
	s_or_b64 s[18:19], s[12:13], exec
	s_waitcnt vmcnt(0) lgkmcnt(0)
	v_lshlrev_b32_e32 v2, 23, v4
	v_cvt_f64_f32_e32 v[2:3], v2
	v_cmp_ne_u32_e32 vcc, s20, v4
	s_xor_b64 s[20:21], exec, -1
	s_nop 0
	v_cndmask_b32_e32 v2, v5, v2, vcc
	v_cndmask_b32_e32 v3, v6, v3, vcc
	v_cmp_ne_u32_e32 vcc, 0, v4
	s_nop 1
	v_cndmask_b32_e32 v3, v7, v3, vcc
	v_cndmask_b32_e32 v2, 0, v2, vcc
.LBB11_11:
	s_or_b64 exec, exec, s[16:17]
	s_andn2_b64 s[12:13], s[12:13], exec
	s_and_b64 s[16:17], s[18:19], exec
	s_or_b64 s[12:13], s[12:13], s[16:17]
	s_andn2_b64 s[10:11], s[10:11], exec
	s_and_b64 s[16:17], s[20:21], exec
	s_or_b64 s[10:11], s[10:11], s[16:17]
.LBB11_12:
	s_or_b64 exec, exec, s[14:15]
	s_and_b64 s[14:15], s[12:13], exec
	s_and_b64 s[12:13], s[10:11], exec
                                        ; implicit-def: $vgpr4
.LBB11_13:
	s_andn2_saveexec_b64 s[8:9], s[8:9]
	s_cbranch_execz .LBB11_17
; %bb.14:
	v_mov_b32_e32 v2, 29
	v_cmp_eq_u16_sdwa s[20:21], v4, v2 src0_sel:BYTE_0 src1_sel:DWORD
	s_mov_b64 s[10:11], -1
	s_mov_b64 s[16:17], s[14:15]
                                        ; implicit-def: $vgpr2_vgpr3
	s_and_saveexec_b64 s[18:19], s[20:21]
	s_cbranch_execz .LBB11_16
; %bb.15:
	flat_load_dwordx2 v[2:3], v[0:1]
	s_or_b64 s[16:17], s[14:15], exec
	s_xor_b64 s[10:11], exec, -1
	s_waitcnt vmcnt(0) lgkmcnt(0)
	v_cvt_f64_u32_e32 v[4:5], v3
	v_cvt_f64_u32_e32 v[2:3], v2
	v_ldexp_f64 v[4:5], v[4:5], 32
	v_add_f64 v[2:3], v[4:5], v[2:3]
.LBB11_16:
	s_or_b64 exec, exec, s[18:19]
	s_andn2_b64 s[14:15], s[14:15], exec
	s_and_b64 s[16:17], s[16:17], exec
	s_andn2_b64 s[12:13], s[12:13], exec
	s_and_b64 s[10:11], s[10:11], exec
	s_or_b64 s[14:15], s[14:15], s[16:17]
	s_or_b64 s[12:13], s[12:13], s[10:11]
.LBB11_17:
	s_or_b64 exec, exec, s[8:9]
	s_and_b64 s[10:11], s[14:15], exec
	s_and_b64 s[8:9], s[12:13], exec
                                        ; implicit-def: $vgpr4
.LBB11_18:
	s_andn2_saveexec_b64 s[4:5], s[4:5]
	s_cbranch_execz .LBB11_34
; %bb.19:
	v_mov_b32_e32 v2, 26
	v_cmp_gt_i16_sdwa s[12:13], v4, v2 src0_sel:BYTE_0 src1_sel:DWORD
                                        ; implicit-def: $vgpr2_vgpr3
	s_and_saveexec_b64 s[14:15], s[12:13]
	s_xor_b64 s[12:13], exec, s[14:15]
	s_cbranch_execz .LBB11_25
; %bb.20:
	v_mov_b32_e32 v2, 27
	v_cmp_gt_i16_sdwa s[14:15], v4, v2 src0_sel:BYTE_0 src1_sel:DWORD
                                        ; implicit-def: $vgpr2_vgpr3
	s_and_saveexec_b64 s[16:17], s[14:15]
	s_xor_b64 s[14:15], exec, s[16:17]
	s_cbranch_execz .LBB11_22
; %bb.21:
	flat_load_dword v2, v[0:1]
	s_waitcnt vmcnt(0) lgkmcnt(0)
	v_cvt_f64_u32_e32 v[2:3], v2
.LBB11_22:
	s_andn2_saveexec_b64 s[14:15], s[14:15]
	s_cbranch_execz .LBB11_24
; %bb.23:
	flat_load_ushort v2, v[0:1]
	s_waitcnt vmcnt(0) lgkmcnt(0)
	v_cvt_f64_u32_e32 v[2:3], v2
.LBB11_24:
	s_or_b64 exec, exec, s[14:15]
.LBB11_25:
	s_andn2_saveexec_b64 s[12:13], s[12:13]
	s_cbranch_execz .LBB11_33
; %bb.26:
	flat_load_ubyte v4, v[0:1]
	s_movk_i32 s14, 0x7f
                                        ; implicit-def: $sgpr16_sgpr17
	s_waitcnt vmcnt(0) lgkmcnt(0)
	v_cmp_lt_i16_e32 vcc, s14, v4
	s_mov_b64 s[14:15], 0
	s_and_saveexec_b64 s[18:19], vcc
	s_xor_b64 s[18:19], exec, s[18:19]
	s_cbranch_execz .LBB11_131
; %bb.27:
	s_movk_i32 s14, 0x80
	v_cmp_eq_u16_e32 vcc, s14, v4
	s_mov_b64 s[20:21], -1
                                        ; implicit-def: $sgpr16_sgpr17
	s_and_saveexec_b64 s[14:15], vcc
; %bb.28:
	s_mov_b32 s17, 0x7ff80000
	s_brev_b32 s16, 4
	s_xor_b64 s[20:21], exec, -1
; %bb.29:
	s_or_b64 exec, exec, s[14:15]
	s_and_b64 s[14:15], s[20:21], exec
	s_or_saveexec_b64 s[18:19], s[18:19]
	v_mov_b64_e32 v[2:3], s[16:17]
	s_xor_b64 exec, exec, s[18:19]
	s_cbranch_execnz .LBB11_132
.LBB11_30:
	s_or_b64 exec, exec, s[18:19]
	s_and_saveexec_b64 s[16:17], s[14:15]
	s_cbranch_execz .LBB11_32
.LBB11_31:
	v_and_b32_e32 v3, 0xffff, v4
	v_lshlrev_b32_e32 v2, 24, v4
	v_and_b32_e32 v4, 7, v3
	v_ffbh_u32_e32 v6, v4
	v_min_u32_e32 v6, 32, v6
	v_subrev_u32_e32 v7, 28, v6
	v_bfe_u32 v5, v3, 3, 4
	v_lshlrev_b32_e32 v3, v7, v3
	v_sub_u32_e32 v6, 29, v6
	v_and_b32_e32 v3, 7, v3
	v_cmp_eq_u32_e32 vcc, 0, v5
	v_and_b32_e32 v2, 0x80000000, v2
	s_nop 0
	v_cndmask_b32_e32 v5, v5, v6, vcc
	v_cndmask_b32_e32 v3, v4, v3, vcc
	v_mov_b32_e32 v4, 0x3b800000
	v_lshlrev_b32_e32 v3, 20, v3
	v_lshl_add_u32 v4, v5, 23, v4
	v_or3_b32 v2, v2, v4, v3
	v_cvt_f64_f32_e32 v[2:3], v2
.LBB11_32:
	s_or_b64 exec, exec, s[16:17]
.LBB11_33:
	s_or_b64 exec, exec, s[12:13]
	s_or_b64 s[10:11], s[10:11], exec
.LBB11_34:
	s_or_b64 exec, exec, s[4:5]
	s_and_b64 s[4:5], s[10:11], exec
	s_and_b64 s[8:9], s[8:9], exec
                                        ; implicit-def: $vgpr4
	s_andn2_saveexec_b64 s[6:7], s[6:7]
	s_cbranch_execnz .LBB11_97
.LBB11_35:
	s_or_b64 exec, exec, s[6:7]
	s_and_saveexec_b64 s[6:7], s[8:9]
	s_cbranch_execnz .LBB11_122
.LBB11_36:
	s_or_b64 exec, exec, s[6:7]
	s_and_saveexec_b64 s[6:7], s[2:3]
	s_xor_b64 s[2:3], exec, s[6:7]
	s_cbranch_execz .LBB11_38
.LBB11_37:
	flat_load_ubyte v0, v[0:1]
	v_mov_b32_e32 v1, 0x3ff00000
	v_mov_b32_e32 v2, 0
	s_or_b64 s[4:5], s[4:5], exec
	s_waitcnt vmcnt(0) lgkmcnt(0)
	v_cmp_ne_u16_e32 vcc, 0, v0
	s_nop 1
	v_cndmask_b32_e32 v3, 0, v1, vcc
.LBB11_38:
	s_or_b64 exec, exec, s[2:3]
	s_and_b64 s[4:5], s[4:5], exec
                                        ; implicit-def: $vgpr4
                                        ; implicit-def: $vgpr0_vgpr1
	s_andn2_saveexec_b64 s[0:1], s[0:1]
	s_cbranch_execnz .LBB11_54
.LBB11_39:
	s_or_b64 exec, exec, s[0:1]
                                        ; implicit-def: $vgpr0_vgpr1
	s_and_saveexec_b64 s[2:3], s[4:5]
	s_cbranch_execz .LBB11_95
.LBB11_40:
	s_mov_b32 s0, 0
	s_mov_b32 s1, 0x40140000
	s_waitcnt vmcnt(0) lgkmcnt(0)
	v_cmp_ge_f64_e32 vcc, s[0:1], v[2:3]
                                        ; implicit-def: $vgpr0_vgpr1
	s_and_saveexec_b64 s[0:1], vcc
	s_xor_b64 s[0:1], exec, s[0:1]
	s_cbranch_execz .LBB11_50
; %bb.41:
	v_mov_b32_e32 v0, 0
	v_cmp_neq_f64_e32 vcc, 0, v[2:3]
	v_mov_b32_e32 v1, 0xfff00000
	s_and_saveexec_b64 s[4:5], vcc
	s_cbranch_execz .LBB11_49
; %bb.42:
	v_mov_b32_e32 v0, 0
	v_cmp_ngt_f64_e32 vcc, 0, v[2:3]
	v_mov_b32_e32 v1, 0x7ff80000
	s_and_saveexec_b64 s[6:7], vcc
	s_cbranch_execz .LBB11_48
; %bb.43:
	s_mov_b32 s8, 0x88e368f1
	v_mul_f64 v[0:1], v[2:3], v[2:3]
	s_mov_b32 s9, 0x3ee4f8b5
	v_mul_f64 v[6:7], v[0:1], 0
	v_cmp_ngt_f64_e32 vcc, s[8:9], v[2:3]
                                        ; implicit-def: $vgpr4_vgpr5
	s_and_saveexec_b64 s[8:9], vcc
	s_xor_b64 s[8:9], exec, s[8:9]
	s_cbranch_execz .LBB11_45
; %bb.44:
	s_mov_b32 s10, 0xad1c8325
	s_mov_b32 s11, 0xc1f1dc53
	v_add_f64 v[4:5], v[6:7], s[10:11]
	v_mov_b32_e32 v8, 0xc772990d
	v_mov_b32_e32 v9, 0x427c7751
	s_mov_b32 s10, 0xa696b78c
	v_fmac_f64_e32 v[8:9], v[0:1], v[4:5]
	v_mov_b32_e32 v4, 0xe0d900f7
	v_mov_b32_e32 v5, 0xc2ec5614
	s_mov_b32 s11, 0x407f3902
	v_fmac_f64_e32 v[4:5], v[0:1], v[8:9]
	v_add_f64 v[8:9], v[6:7], s[10:11]
	v_mov_b32_e32 v10, 0x36a21a67
	v_mov_b32_e32 v11, 0x410536cb
	v_fmac_f64_e32 v[10:11], v[0:1], v[8:9]
	v_mov_b32_e32 v8, 0x2eac0634
	v_mov_b32_e32 v9, 0x41871934
	v_fmac_f64_e32 v[8:9], v[0:1], v[10:11]
	;; [unrolled: 3-line block ×6, first 2 shown]
	v_mov_b32_e32 v10, 0xc7b662cc
	v_mov_b32_e32 v11, 0x43b7be34
	s_mov_b32 s10, 0x80462bbb
	v_fmac_f64_e32 v[10:11], v[0:1], v[8:9]
	v_mov_b32_e32 v8, 0x69ff5fb4
	v_mov_b32_e32 v9, 0x43413ef8
	s_mov_b32 s11, 0xc01721fb
	v_fmac_f64_e32 v[8:9], v[0:1], v[4:5]
	v_add_f64 v[4:5], v[0:1], s[10:11]
	s_mov_b32 s10, 0xa621dd6f
	s_mov_b32 s11, 0xc03e78a4
	v_add_f64 v[12:13], v[0:1], s[10:11]
	v_mul_f64 v[4:5], v[4:5], v[12:13]
	v_mul_f64 v[4:5], v[4:5], v[8:9]
	v_div_scale_f64 v[8:9], s[10:11], v[10:11], v[10:11], v[4:5]
	v_rcp_f64_e32 v[12:13], v[8:9]
	s_nop 0
	v_fma_f64 v[14:15], -v[8:9], v[12:13], 1.0
	v_fmac_f64_e32 v[12:13], v[12:13], v[14:15]
	v_fma_f64 v[14:15], -v[8:9], v[12:13], 1.0
	v_fmac_f64_e32 v[12:13], v[12:13], v[14:15]
	v_div_scale_f64 v[14:15], vcc, v[4:5], v[10:11], v[4:5]
	v_mul_f64 v[16:17], v[14:15], v[12:13]
	v_fma_f64 v[8:9], -v[8:9], v[16:17], v[14:15]
	s_nop 1
	v_div_fmas_f64 v[8:9], v[8:9], v[12:13], v[16:17]
	v_div_fixup_f64 v[4:5], v[8:9], v[10:11], v[4:5]
.LBB11_45:
	s_andn2_saveexec_b64 s[8:9], s[8:9]
; %bb.46:
	s_mov_b32 s10, 0
	s_mov_b32 s11, 0xbfd00000
	v_fma_f64 v[4:5], v[0:1], s[10:11], 1.0
; %bb.47:
	s_or_b64 exec, exec, s[8:9]
	s_mov_b32 s8, 0xe896898f
	s_mov_b32 s9, 0x40ce7437
	v_add_f64 v[8:9], v[6:7], s[8:9]
	v_mov_b32_e32 v10, 0x32e48896
	v_mov_b32_e32 v11, 0xc16bf81f
	v_fmac_f64_e32 v[10:11], v[0:1], v[8:9]
	v_mov_b32_e32 v8, 0xf0284cdd
	v_mov_b32_e32 v9, 0x41f43f78
	v_fmac_f64_e32 v[8:9], v[0:1], v[10:11]
	;; [unrolled: 3-line block ×4, first 2 shown]
	v_mov_b32_e32 v10, 0xd1d8cc02
	v_mov_b32_e32 v11, 0xc328a121
	s_mov_b32 s8, 0x576dfcb6
	v_fmac_f64_e32 v[10:11], v[0:1], v[8:9]
	v_mov_b32_e32 v8, 0x660b4003
	v_mov_b32_e32 v9, 0x4363a94b
	s_mov_b32 s9, 0x40904522
	v_fmac_f64_e32 v[8:9], v[0:1], v[10:11]
	v_add_f64 v[6:7], v[6:7], s[8:9]
	v_mov_b32_e32 v10, 0xa907bc0c
	v_mov_b32_e32 v11, 0x41231b76
	v_fmac_f64_e32 v[10:11], v[0:1], v[6:7]
	v_mov_b32_e32 v6, 0x5164d101
	v_mov_b32_e32 v7, 0x41b00763
	v_fmac_f64_e32 v[6:7], v[0:1], v[10:11]
	;; [unrolled: 3-line block ×7, first 2 shown]
	v_div_scale_f64 v[0:1], s[8:9], v[6:7], v[6:7], v[10:11]
	v_rcp_f64_e32 v[8:9], v[0:1]
	s_mov_b32 s8, 0x55555555
	s_mov_b32 s9, 0x3fe55555
	v_fma_f64 v[12:13], -v[0:1], v[8:9], 1.0
	v_fmac_f64_e32 v[8:9], v[8:9], v[12:13]
	v_fma_f64 v[12:13], -v[0:1], v[8:9], 1.0
	v_fmac_f64_e32 v[8:9], v[8:9], v[12:13]
	v_div_scale_f64 v[12:13], vcc, v[10:11], v[6:7], v[10:11]
	v_mul_f64 v[14:15], v[12:13], v[8:9]
	v_fma_f64 v[0:1], -v[0:1], v[14:15], v[12:13]
	s_nop 1
	v_div_fmas_f64 v[0:1], v[0:1], v[8:9], v[14:15]
	v_frexp_exp_i32_f64_e32 v8, v[2:3]
	v_frexp_mant_f64_e32 v[2:3], v[2:3]
	v_div_fixup_f64 v[0:1], v[0:1], v[6:7], v[10:11]
	v_mov_b32_e32 v6, 0x3ff00000
	v_cmp_gt_f64_e32 vcc, s[8:9], v[2:3]
	s_mov_b32 s8, 0xbf559e2b
	s_mov_b32 s9, 0x3fc3ab76
	v_cndmask_b32_e64 v7, v6, 2.0, vcc
	v_mov_b32_e32 v6, 0
	v_mul_f64 v[2:3], v[2:3], v[6:7]
	v_add_f64 v[6:7], v[2:3], 1.0
	v_subbrev_co_u32_e32 v18, vcc, 0, v8, vcc
	v_rcp_f64_e32 v[8:9], v[6:7]
	v_add_f64 v[12:13], v[6:7], -1.0
	v_add_f64 v[10:11], v[2:3], -1.0
	v_add_f64 v[2:3], v[2:3], -v[12:13]
	v_fma_f64 v[12:13], -v[6:7], v[8:9], 1.0
	v_fmac_f64_e32 v[8:9], v[12:13], v[8:9]
	v_fma_f64 v[12:13], -v[6:7], v[8:9], 1.0
	v_fmac_f64_e32 v[8:9], v[12:13], v[8:9]
	v_mul_f64 v[12:13], v[10:11], v[8:9]
	v_mul_f64 v[14:15], v[6:7], v[12:13]
	v_fma_f64 v[6:7], v[12:13], v[6:7], -v[14:15]
	v_fmac_f64_e32 v[6:7], v[12:13], v[2:3]
	v_add_f64 v[2:3], v[14:15], v[6:7]
	v_add_f64 v[16:17], v[10:11], -v[2:3]
	v_add_f64 v[14:15], v[2:3], -v[14:15]
	;; [unrolled: 1-line block ×5, first 2 shown]
	v_add_f64 v[2:3], v[6:7], v[2:3]
	v_add_f64 v[2:3], v[16:17], v[2:3]
	v_mul_f64 v[2:3], v[8:9], v[2:3]
	v_add_f64 v[6:7], v[12:13], v[2:3]
	v_add_f64 v[8:9], v[6:7], -v[12:13]
	v_add_f64 v[2:3], v[2:3], -v[8:9]
	v_mul_f64 v[8:9], v[6:7], v[6:7]
	v_mov_b32_e32 v10, 0x6b47b09a
	v_mov_b32_e32 v11, 0x3fc38538
	v_fmac_f64_e32 v[10:11], s[8:9], v[8:9]
	v_mov_b32_e32 v12, 0xd7f4df2e
	v_mov_b32_e32 v13, 0x3fc7474d
	v_fmac_f64_e32 v[12:13], v[8:9], v[10:11]
	;; [unrolled: 3-line block ×6, first 2 shown]
	v_ldexp_f64 v[10:11], v[6:7], 1
	v_mul_f64 v[6:7], v[6:7], v[8:9]
	v_mul_f64 v[6:7], v[6:7], v[12:13]
	v_add_f64 v[8:9], v[10:11], v[6:7]
	v_add_f64 v[10:11], v[8:9], -v[10:11]
	v_ldexp_f64 v[2:3], v[2:3], 1
	v_add_f64 v[6:7], v[6:7], -v[10:11]
	v_add_f64 v[2:3], v[2:3], v[6:7]
	v_add_f64 v[6:7], v[8:9], v[2:3]
	v_add_f64 v[8:9], v[6:7], -v[8:9]
	s_mov_b32 s8, 0xfefa39ef
	v_add_f64 v[2:3], v[2:3], -v[8:9]
	v_cvt_f64_i32_e32 v[8:9], v18
	s_mov_b32 s9, 0x3fe62e42
	v_mul_f64 v[10:11], v[8:9], s[8:9]
	v_fma_f64 v[12:13], v[8:9], s[8:9], -v[10:11]
	s_mov_b32 s8, 0x3b39803f
	s_mov_b32 s9, 0x3c7abc9e
	v_fmac_f64_e32 v[12:13], s[8:9], v[8:9]
	v_add_f64 v[8:9], v[10:11], v[12:13]
	v_add_f64 v[10:11], v[8:9], -v[10:11]
	v_add_f64 v[10:11], v[12:13], -v[10:11]
	v_add_f64 v[12:13], v[8:9], v[6:7]
	v_add_f64 v[14:15], v[12:13], -v[8:9]
	v_add_f64 v[16:17], v[12:13], -v[14:15]
	;; [unrolled: 1-line block ×4, first 2 shown]
	v_add_f64 v[6:7], v[6:7], v[8:9]
	v_add_f64 v[8:9], v[10:11], v[2:3]
	v_add_f64 v[14:15], v[8:9], -v[10:11]
	v_add_f64 v[16:17], v[8:9], -v[14:15]
	v_add_f64 v[6:7], v[8:9], v[6:7]
	v_add_f64 v[10:11], v[10:11], -v[16:17]
	v_add_f64 v[2:3], v[2:3], -v[14:15]
	v_add_f64 v[8:9], v[12:13], v[6:7]
	v_add_f64 v[2:3], v[2:3], v[10:11]
	v_add_f64 v[10:11], v[8:9], -v[12:13]
	v_add_f64 v[6:7], v[6:7], -v[10:11]
	v_add_f64 v[2:3], v[2:3], v[6:7]
	s_mov_b32 s8, 0x6dc9c883
	v_add_f64 v[2:3], v[8:9], v[2:3]
	s_mov_b32 s9, 0x3fe45f30
	v_mul_f64 v[2:3], v[2:3], s[8:9]
	v_fmac_f64_e32 v[0:1], v[2:3], v[4:5]
.LBB11_48:
	s_or_b64 exec, exec, s[6:7]
.LBB11_49:
	s_or_b64 exec, exec, s[4:5]
                                        ; implicit-def: $vgpr2_vgpr3
.LBB11_50:
	s_andn2_saveexec_b64 s[4:5], s[0:1]
	s_cbranch_execz .LBB11_130
; %bb.51:
	s_mov_b32 s9, 0xbfe921fb
	s_mov_b32 s8, 0x54442d18
	;; [unrolled: 1-line block ×3, first 2 shown]
	v_add_f64 v[0:1], v[2:3], s[8:9]
	s_mov_b32 s1, 0x41d00000
	v_cmp_nlt_f64_e64 s[6:7], |v[0:1]|, s[0:1]
	v_trig_preop_f64 v[16:17], |v[0:1]|, 0
	v_trig_preop_f64 v[14:15], |v[0:1]|, 1
	;; [unrolled: 1-line block ×3, first 2 shown]
                                        ; implicit-def: $vgpr24
                                        ; implicit-def: $vgpr4_vgpr5
                                        ; implicit-def: $vgpr6_vgpr7
	s_and_saveexec_b64 s[0:1], s[6:7]
	s_xor_b64 s[10:11], exec, s[0:1]
	s_cbranch_execz .LBB11_123
; %bb.52:
	s_mov_b32 s0, 0
	s_mov_b32 s1, 0x7b000000
	s_movk_i32 s9, 0xff80
	v_and_b32_e32 v6, 0x7fffffff, v1
	v_ldexp_f64 v[4:5], |v[0:1]|, s9
	v_cmp_ge_f64_e64 vcc, |v[0:1]|, s[0:1]
	s_mov_b32 s0, 0
	s_mov_b32 s1, 0x7ff00000
	v_cndmask_b32_e32 v5, v6, v5, vcc
	v_cndmask_b32_e32 v4, v0, v4, vcc
	v_mul_f64 v[8:9], v[16:17], v[4:5]
	v_mul_f64 v[6:7], v[14:15], v[4:5]
	v_fma_f64 v[10:11], v[16:17], v[4:5], -v[8:9]
	v_add_f64 v[18:19], v[6:7], v[10:11]
	v_add_f64 v[20:21], v[8:9], v[18:19]
	v_ldexp_f64 v[22:23], v[20:21], -2
	v_fract_f64_e32 v[24:25], v[22:23]
	v_cmp_neq_f64_e64 vcc, |v[22:23]|, s[0:1]
	v_add_f64 v[8:9], v[20:21], -v[8:9]
	v_add_f64 v[8:9], v[18:19], -v[8:9]
	v_cndmask_b32_e32 v23, 0, v25, vcc
	v_cndmask_b32_e32 v22, 0, v24, vcc
	v_add_f64 v[24:25], v[18:19], -v[6:7]
	v_add_f64 v[10:11], v[10:11], -v[24:25]
	;; [unrolled: 1-line block ×4, first 2 shown]
	v_add_f64 v[10:11], v[10:11], v[24:25]
	v_fma_f64 v[6:7], v[14:15], v[4:5], -v[6:7]
	v_mul_f64 v[24:25], v[12:13], v[4:5]
	v_add_f64 v[28:29], v[24:25], v[6:7]
	v_add_f64 v[30:31], v[28:29], v[10:11]
	v_add_f64 v[20:21], v[30:31], -v[28:29]
	v_add_f64 v[10:11], v[10:11], -v[20:21]
	;; [unrolled: 1-line block ×4, first 2 shown]
	v_add_f64 v[10:11], v[10:11], v[20:21]
	v_add_f64 v[20:21], v[28:29], -v[24:25]
	v_add_f64 v[6:7], v[6:7], -v[20:21]
	;; [unrolled: 1-line block ×4, first 2 shown]
	v_add_f64 v[18:19], v[8:9], v[30:31]
	v_add_f64 v[6:7], v[6:7], v[20:21]
	v_add_f64 v[8:9], v[18:19], -v[8:9]
	v_add_f64 v[6:7], v[6:7], v[10:11]
	v_fma_f64 v[4:5], v[12:13], v[4:5], -v[24:25]
	v_add_f64 v[8:9], v[30:31], -v[8:9]
	v_add_f64 v[4:5], v[4:5], v[6:7]
	v_ldexp_f64 v[6:7], v[22:23], 2
	v_add_f64 v[4:5], v[8:9], v[4:5]
	v_add_f64 v[8:9], v[18:19], v[6:7]
	v_mov_b32_e32 v10, 0x40100000
	v_cmp_gt_f64_e32 vcc, 0, v[8:9]
	v_mov_b32_e32 v26, 0
	s_mov_b32 s9, 0x3ff921fb
	v_cndmask_b32_e32 v27, 0, v10, vcc
	v_add_f64 v[6:7], v[6:7], v[26:27]
	v_add_f64 v[8:9], v[18:19], v[6:7]
	v_cvt_i32_f64_e32 v10, v[8:9]
	v_cvt_f64_i32_e32 v[8:9], v10
	v_add_f64 v[6:7], v[6:7], -v[8:9]
	v_add_f64 v[8:9], v[18:19], v[6:7]
	v_add_f64 v[6:7], v[8:9], -v[6:7]
	v_add_f64 v[6:7], v[18:19], -v[6:7]
	v_add_f64 v[4:5], v[4:5], v[6:7]
	v_cmp_le_f64_e32 vcc, 0.5, v[8:9]
	v_mov_b32_e32 v6, 0x3ff00000
	s_nop 0
	v_cndmask_b32_e32 v27, 0, v6, vcc
	v_add_f64 v[6:7], v[8:9], -v[26:27]
	v_add_f64 v[8:9], v[6:7], v[4:5]
	v_addc_co_u32_e64 v24, s[0:1], 0, v10, vcc
	v_add_f64 v[6:7], v[8:9], -v[6:7]
	v_add_f64 v[4:5], v[4:5], -v[6:7]
	v_mul_f64 v[6:7], v[8:9], s[8:9]
	s_mov_b32 s0, 0x33145c07
	v_fma_f64 v[10:11], v[8:9], s[8:9], -v[6:7]
	s_mov_b32 s1, 0x3c91a626
	v_fmac_f64_e32 v[10:11], s[0:1], v[8:9]
	v_fmac_f64_e32 v[10:11], s[8:9], v[4:5]
	v_add_f64 v[4:5], v[6:7], v[10:11]
	v_add_f64 v[6:7], v[4:5], -v[6:7]
	v_add_f64 v[6:7], v[10:11], -v[6:7]
	s_andn2_saveexec_b64 s[0:1], s[10:11]
	s_cbranch_execz .LBB11_125
	s_branch .LBB11_124
.LBB11_53:
	s_andn2_saveexec_b64 s[0:1], s[0:1]
	s_cbranch_execz .LBB11_39
.LBB11_54:
	v_mov_b32_e32 v2, 4
	v_cmp_gt_i16_sdwa s[2:3], v4, v2 src0_sel:BYTE_0 src1_sel:DWORD
                                        ; implicit-def: $vgpr2_vgpr3
	s_and_saveexec_b64 s[6:7], s[2:3]
	s_xor_b64 s[2:3], exec, s[6:7]
	s_cbranch_execz .LBB11_76
; %bb.55:
	v_mov_b32_e32 v2, 7
	v_cmp_gt_i16_sdwa s[6:7], v4, v2 src0_sel:BYTE_0 src1_sel:DWORD
                                        ; implicit-def: $vgpr2_vgpr3
	s_and_saveexec_b64 s[8:9], s[6:7]
	s_xor_b64 s[6:7], exec, s[8:9]
	s_cbranch_execz .LBB11_65
; %bb.56:
	;; [unrolled: 7-line block ×4, first 2 shown]
	flat_load_dwordx2 v[2:3], v[0:1]
                                        ; implicit-def: $vgpr0_vgpr1
.LBB11_59:
	s_andn2_saveexec_b64 s[10:11], s[10:11]
	s_cbranch_execz .LBB11_61
; %bb.60:
	flat_load_dword v0, v[0:1]
	s_waitcnt vmcnt(0) lgkmcnt(0)
	v_cvt_f64_f32_e32 v[2:3], v0
.LBB11_61:
	s_or_b64 exec, exec, s[10:11]
                                        ; implicit-def: $vgpr0_vgpr1
.LBB11_62:
	s_andn2_saveexec_b64 s[8:9], s[8:9]
	s_cbranch_execz .LBB11_64
; %bb.63:
	flat_load_dword v0, v[0:1]
	s_waitcnt vmcnt(0) lgkmcnt(0)
	v_cvt_f32_f16_e32 v0, v0
	v_cvt_f64_f32_e32 v[2:3], v0
.LBB11_64:
	s_or_b64 exec, exec, s[8:9]
                                        ; implicit-def: $vgpr0_vgpr1
                                        ; implicit-def: $vgpr4
.LBB11_65:
	s_andn2_saveexec_b64 s[6:7], s[6:7]
	s_cbranch_execz .LBB11_75
; %bb.66:
	s_waitcnt vmcnt(0) lgkmcnt(0)
	v_mov_b32_e32 v2, 5
	v_cmp_gt_i16_sdwa s[8:9], v4, v2 src0_sel:BYTE_0 src1_sel:DWORD
                                        ; implicit-def: $vgpr2_vgpr3
	s_and_saveexec_b64 s[10:11], s[8:9]
	s_xor_b64 s[8:9], exec, s[10:11]
	s_cbranch_execz .LBB11_72
; %bb.67:
	v_mov_b32_e32 v2, 6
	v_cmp_gt_i16_sdwa s[10:11], v4, v2 src0_sel:BYTE_0 src1_sel:DWORD
                                        ; implicit-def: $vgpr2_vgpr3
	s_and_saveexec_b64 s[12:13], s[10:11]
	s_xor_b64 s[10:11], exec, s[12:13]
	s_cbranch_execz .LBB11_69
; %bb.68:
	flat_load_dwordx2 v[2:3], v[0:1]
                                        ; implicit-def: $vgpr0_vgpr1
.LBB11_69:
	s_andn2_saveexec_b64 s[10:11], s[10:11]
	s_cbranch_execz .LBB11_71
; %bb.70:
	flat_load_dword v0, v[0:1]
	s_waitcnt vmcnt(0) lgkmcnt(0)
	v_cvt_f64_f32_e32 v[2:3], v0
.LBB11_71:
	s_or_b64 exec, exec, s[10:11]
                                        ; implicit-def: $vgpr0_vgpr1
.LBB11_72:
	s_andn2_saveexec_b64 s[8:9], s[8:9]
	s_cbranch_execz .LBB11_74
; %bb.73:
	flat_load_ushort v0, v[0:1]
	s_waitcnt vmcnt(0) lgkmcnt(0)
	v_cvt_f32_f16_e32 v0, v0
	v_cvt_f64_f32_e32 v[2:3], v0
.LBB11_74:
	s_or_b64 exec, exec, s[8:9]
.LBB11_75:
	s_or_b64 exec, exec, s[6:7]
                                        ; implicit-def: $vgpr4
                                        ; implicit-def: $vgpr0_vgpr1
.LBB11_76:
	s_andn2_saveexec_b64 s[2:3], s[2:3]
	s_cbranch_execz .LBB11_94
; %bb.77:
	s_waitcnt vmcnt(0) lgkmcnt(0)
	v_mov_b32_e32 v2, 1
	v_cmp_gt_i16_sdwa s[6:7], v4, v2 src0_sel:BYTE_0 src1_sel:DWORD
                                        ; implicit-def: $vgpr2_vgpr3
	s_and_saveexec_b64 s[8:9], s[6:7]
	s_xor_b64 s[6:7], exec, s[8:9]
	s_cbranch_execz .LBB11_87
; %bb.78:
	v_mov_b32_e32 v2, 2
	v_cmp_gt_i16_sdwa s[8:9], v4, v2 src0_sel:BYTE_0 src1_sel:DWORD
                                        ; implicit-def: $vgpr2_vgpr3
	s_and_saveexec_b64 s[10:11], s[8:9]
	s_xor_b64 s[8:9], exec, s[10:11]
	s_cbranch_execz .LBB11_84
; %bb.79:
	v_mov_b32_e32 v2, 3
	v_cmp_gt_i16_sdwa s[10:11], v4, v2 src0_sel:BYTE_0 src1_sel:DWORD
                                        ; implicit-def: $vgpr2_vgpr3
	s_and_saveexec_b64 s[12:13], s[10:11]
	s_xor_b64 s[10:11], exec, s[12:13]
	s_cbranch_execz .LBB11_81
; %bb.80:
	flat_load_dwordx2 v[0:1], v[0:1]
	s_waitcnt vmcnt(0) lgkmcnt(0)
	v_cvt_f64_i32_e32 v[2:3], v1
	v_ldexp_f64 v[2:3], v[2:3], 32
	v_cvt_f64_u32_e32 v[0:1], v0
	v_add_f64 v[2:3], v[2:3], v[0:1]
                                        ; implicit-def: $vgpr0_vgpr1
.LBB11_81:
	s_andn2_saveexec_b64 s[10:11], s[10:11]
	s_cbranch_execz .LBB11_83
; %bb.82:
	flat_load_dword v0, v[0:1]
	s_waitcnt vmcnt(0) lgkmcnt(0)
	v_cvt_f64_i32_e32 v[2:3], v0
.LBB11_83:
	s_or_b64 exec, exec, s[10:11]
                                        ; implicit-def: $vgpr0_vgpr1
.LBB11_84:
	s_andn2_saveexec_b64 s[8:9], s[8:9]
	s_cbranch_execz .LBB11_86
; %bb.85:
	flat_load_sshort v0, v[0:1]
	s_waitcnt vmcnt(0) lgkmcnt(0)
	v_cvt_f64_i32_e32 v[2:3], v0
.LBB11_86:
	s_or_b64 exec, exec, s[8:9]
                                        ; implicit-def: $vgpr0_vgpr1
                                        ; implicit-def: $vgpr4
.LBB11_87:
	s_andn2_saveexec_b64 s[6:7], s[6:7]
	s_cbranch_execz .LBB11_93
; %bb.88:
	v_mov_b32_e32 v2, 0
	v_cmp_gt_i16_sdwa s[8:9], v4, v2 src0_sel:BYTE_0 src1_sel:DWORD
                                        ; implicit-def: $vgpr2_vgpr3
	s_and_saveexec_b64 s[10:11], s[8:9]
	s_xor_b64 s[8:9], exec, s[10:11]
	s_cbranch_execz .LBB11_90
; %bb.89:
	flat_load_sbyte v0, v[0:1]
	s_waitcnt vmcnt(0) lgkmcnt(0)
	v_cvt_f64_i32_e32 v[2:3], v0
                                        ; implicit-def: $vgpr0_vgpr1
.LBB11_90:
	s_andn2_saveexec_b64 s[8:9], s[8:9]
	s_cbranch_execz .LBB11_92
; %bb.91:
	flat_load_ubyte v0, v[0:1]
	s_waitcnt vmcnt(0) lgkmcnt(0)
	v_cvt_f64_u32_e32 v[2:3], v0
.LBB11_92:
	s_or_b64 exec, exec, s[8:9]
.LBB11_93:
	s_or_b64 exec, exec, s[6:7]
.LBB11_94:
	s_or_b64 exec, exec, s[2:3]
	s_or_b64 s[4:5], s[4:5], exec
	s_or_b64 exec, exec, s[0:1]
                                        ; implicit-def: $vgpr0_vgpr1
	s_and_saveexec_b64 s[2:3], s[4:5]
	s_cbranch_execnz .LBB11_40
.LBB11_95:
	s_or_b64 exec, exec, s[2:3]
	s_waitcnt vmcnt(0) lgkmcnt(0)
	s_setpc_b64 s[30:31]
.LBB11_96:
	s_andn2_saveexec_b64 s[6:7], s[6:7]
	s_cbranch_execz .LBB11_35
.LBB11_97:
	v_mov_b32_e32 v2, 22
	v_cmp_gt_i16_sdwa s[2:3], v4, v2 src0_sel:BYTE_0 src1_sel:DWORD
	s_mov_b64 s[10:11], s[4:5]
                                        ; implicit-def: $vgpr2_vgpr3
	s_and_saveexec_b64 s[12:13], s[2:3]
	s_xor_b64 s[2:3], exec, s[12:13]
	s_cbranch_execz .LBB11_113
; %bb.98:
	v_mov_b32_e32 v2, 23
	v_cmp_gt_i16_sdwa s[10:11], v4, v2 src0_sel:BYTE_0 src1_sel:DWORD
                                        ; implicit-def: $vgpr2_vgpr3
	s_and_saveexec_b64 s[12:13], s[10:11]
	s_xor_b64 s[10:11], exec, s[12:13]
	s_cbranch_execz .LBB11_110
; %bb.99:
	v_mov_b32_e32 v2, 24
	v_cmp_gt_i16_sdwa s[12:13], v4, v2 src0_sel:BYTE_0 src1_sel:DWORD
                                        ; implicit-def: $vgpr2_vgpr3
	s_and_saveexec_b64 s[14:15], s[12:13]
	s_xor_b64 s[12:13], exec, s[14:15]
	s_cbranch_execz .LBB11_107
; %bb.100:
	flat_load_ubyte v4, v[0:1]
	s_movk_i32 s14, 0x7f
                                        ; implicit-def: $sgpr16_sgpr17
	s_waitcnt vmcnt(0) lgkmcnt(0)
	v_cmp_lt_i16_e32 vcc, s14, v4
	s_mov_b64 s[14:15], 0
	s_and_saveexec_b64 s[18:19], vcc
	s_xor_b64 s[18:19], exec, s[18:19]
	s_cbranch_execz .LBB11_133
; %bb.101:
	s_movk_i32 s14, 0x80
	v_cmp_eq_u16_e32 vcc, s14, v4
	s_mov_b64 s[20:21], -1
                                        ; implicit-def: $sgpr16_sgpr17
	s_and_saveexec_b64 s[14:15], vcc
; %bb.102:
	s_mov_b32 s17, 0x7ff80000
	s_brev_b32 s16, 4
	s_xor_b64 s[20:21], exec, -1
; %bb.103:
	s_or_b64 exec, exec, s[14:15]
	s_and_b64 s[14:15], s[20:21], exec
	s_or_saveexec_b64 s[18:19], s[18:19]
	v_mov_b64_e32 v[2:3], s[16:17]
	s_xor_b64 exec, exec, s[18:19]
	s_cbranch_execnz .LBB11_134
.LBB11_104:
	s_or_b64 exec, exec, s[18:19]
	s_and_saveexec_b64 s[16:17], s[14:15]
	s_cbranch_execz .LBB11_106
.LBB11_105:
	v_and_b32_e32 v3, 0xffff, v4
	v_lshlrev_b32_e32 v2, 24, v4
	v_and_b32_e32 v4, 3, v3
	v_ffbh_u32_e32 v6, v4
	v_min_u32_e32 v6, 32, v6
	v_subrev_u32_e32 v7, 29, v6
	v_bfe_u32 v5, v3, 2, 5
	v_lshlrev_b32_e32 v3, v7, v3
	v_sub_u32_e32 v6, 30, v6
	v_and_b32_e32 v3, 3, v3
	v_cmp_eq_u32_e32 vcc, 0, v5
	v_and_b32_e32 v2, 0x80000000, v2
	s_nop 0
	v_cndmask_b32_e32 v5, v5, v6, vcc
	v_cndmask_b32_e32 v3, v4, v3, vcc
	v_mov_b32_e32 v4, 0x37800000
	v_lshlrev_b32_e32 v3, 21, v3
	v_lshl_add_u32 v4, v5, 23, v4
	v_or3_b32 v2, v2, v4, v3
	v_cvt_f64_f32_e32 v[2:3], v2
.LBB11_106:
	s_or_b64 exec, exec, s[16:17]
.LBB11_107:
	s_andn2_saveexec_b64 s[12:13], s[12:13]
	s_cbranch_execz .LBB11_109
; %bb.108:
	flat_load_ubyte v2, v[0:1]
	s_mov_b32 s14, 0x7f800000
	s_waitcnt vmcnt(0) lgkmcnt(0)
	v_lshlrev_b32_e32 v2, 24, v2
	v_and_b32_e32 v3, 0x7f000000, v2
	v_ffbh_u32_e32 v4, v3
	v_min_u32_e32 v4, 32, v4
	v_sub_u32_e64 v4, v4, 4 clamp
	v_lshlrev_b32_e32 v6, v4, v3
	v_lshlrev_b32_e32 v4, 23, v4
	v_lshrrev_b32_e32 v6, 4, v6
	v_add_u32_e32 v5, 0x1000000, v3
	v_sub_u32_e32 v4, v6, v4
	v_ashrrev_i32_e32 v5, 8, v5
	v_add_u32_e32 v4, 0x3c000000, v4
	v_and_or_b32 v4, v5, s14, v4
	v_cmp_ne_u32_e32 vcc, 0, v3
	s_brev_b32 s14, 1
	s_nop 0
	v_cndmask_b32_e32 v3, 0, v4, vcc
	v_and_or_b32 v2, v2, s14, v3
	v_cvt_f64_f32_e32 v[2:3], v2
.LBB11_109:
	s_or_b64 exec, exec, s[12:13]
.LBB11_110:
	s_andn2_saveexec_b64 s[10:11], s[10:11]
	s_cbranch_execz .LBB11_112
; %bb.111:
	flat_load_ubyte v2, v[0:1]
	s_movk_i32 s12, 0x7f00
	s_brev_b32 s13, 16
	s_waitcnt vmcnt(0) lgkmcnt(0)
	v_lshlrev_b16_e32 v3, 8, v2
	v_lshlrev_b32_e32 v2, 25, v2
	v_lshrrev_b32_e32 v4, 4, v2
	v_and_or_b32 v5, v3, s12, 0.5
	v_or_b32_e32 v4, 0x70000000, v4
	v_add_f32_e32 v5, -0.5, v5
	v_mul_f32_e32 v4, 0x7800000, v4
	v_cmp_gt_u32_e32 vcc, s13, v2
	v_bfe_i32 v3, v3, 0, 16
	s_brev_b32 s12, 1
	v_cndmask_b32_e32 v2, v4, v5, vcc
	v_and_or_b32 v2, v3, s12, v2
	v_cvt_f64_f32_e32 v[2:3], v2
.LBB11_112:
	s_or_b64 exec, exec, s[10:11]
	s_or_b64 s[10:11], s[4:5], exec
                                        ; implicit-def: $vgpr4
.LBB11_113:
	s_or_saveexec_b64 s[2:3], s[2:3]
	s_mov_b64 s[14:15], 0
	s_mov_b64 s[12:13], s[8:9]
	s_xor_b64 exec, exec, s[2:3]
	s_cbranch_execz .LBB11_121
; %bb.114:
	v_mov_b32_e32 v2, 14
	v_cmp_gt_i16_sdwa s[16:17], v4, v2 src0_sel:BYTE_0 src1_sel:DWORD
	s_mov_b64 s[12:13], s[8:9]
	s_mov_b64 s[14:15], s[10:11]
                                        ; implicit-def: $vgpr2_vgpr3
	s_and_saveexec_b64 s[18:19], s[16:17]
	s_xor_b64 s[16:17], exec, s[18:19]
	s_cbranch_execz .LBB11_118
; %bb.115:
	v_mov_b32_e32 v2, 15
	v_cmp_eq_u16_sdwa s[20:21], v4, v2 src0_sel:BYTE_0 src1_sel:DWORD
	s_mov_b64 s[12:13], -1
	s_mov_b64 s[14:15], s[10:11]
                                        ; implicit-def: $vgpr2_vgpr3
	s_and_saveexec_b64 s[18:19], s[20:21]
	s_cbranch_execz .LBB11_117
; %bb.116:
	flat_load_ushort v2, v[0:1]
	s_or_b64 s[14:15], s[10:11], exec
	s_xor_b64 s[12:13], exec, -1
	s_waitcnt vmcnt(0) lgkmcnt(0)
	v_lshlrev_b32_e32 v2, 16, v2
	v_cvt_f64_f32_e32 v[2:3], v2
.LBB11_117:
	s_or_b64 exec, exec, s[18:19]
	s_andn2_b64 s[18:19], s[10:11], exec
	s_and_b64 s[14:15], s[14:15], exec
	s_or_b64 s[14:15], s[18:19], s[14:15]
	s_andn2_b64 s[18:19], s[8:9], exec
	s_and_b64 s[12:13], s[12:13], exec
	s_or_b64 s[12:13], s[18:19], s[12:13]
                                        ; implicit-def: $vgpr4
.LBB11_118:
	s_or_saveexec_b64 s[16:17], s[16:17]
	s_mov_b64 s[18:19], 0
	s_xor_b64 exec, exec, s[16:17]
; %bb.119:
	v_mov_b32_e32 v2, 11
	v_cmp_ne_u16_sdwa s[20:21], v4, v2 src0_sel:BYTE_0 src1_sel:DWORD
	s_andn2_b64 s[12:13], s[12:13], exec
	s_and_b64 s[20:21], s[20:21], exec
	s_mov_b64 s[18:19], exec
	s_or_b64 s[12:13], s[12:13], s[20:21]
                                        ; implicit-def: $vgpr2_vgpr3
; %bb.120:
	s_or_b64 exec, exec, s[16:17]
	s_andn2_b64 s[10:11], s[10:11], exec
	s_and_b64 s[14:15], s[14:15], exec
	s_andn2_b64 s[16:17], s[8:9], exec
	s_and_b64 s[12:13], s[12:13], exec
	s_or_b64 s[10:11], s[10:11], s[14:15]
	s_and_b64 s[14:15], s[18:19], exec
	s_or_b64 s[12:13], s[16:17], s[12:13]
.LBB11_121:
	s_or_b64 exec, exec, s[2:3]
	s_andn2_b64 s[2:3], s[4:5], exec
	s_and_b64 s[4:5], s[10:11], exec
	s_andn2_b64 s[8:9], s[8:9], exec
	s_and_b64 s[10:11], s[12:13], exec
	s_or_b64 s[4:5], s[2:3], s[4:5]
	s_and_b64 s[2:3], s[14:15], exec
	s_or_b64 s[8:9], s[8:9], s[10:11]
	s_or_b64 exec, exec, s[6:7]
	s_and_saveexec_b64 s[6:7], s[8:9]
	s_cbranch_execz .LBB11_36
.LBB11_122:
	s_trap 2
	; divergent unreachable
	s_andn2_b64 s[2:3], s[2:3], exec
                                        ; implicit-def: $vgpr2_vgpr3
	s_or_b64 exec, exec, s[6:7]
	s_and_saveexec_b64 s[6:7], s[2:3]
	s_xor_b64 s[2:3], exec, s[6:7]
	s_cbranch_execnz .LBB11_37
	s_branch .LBB11_38
.LBB11_123:
	s_andn2_saveexec_b64 s[0:1], s[10:11]
	s_cbranch_execz .LBB11_125
.LBB11_124:
	s_mov_b32 s8, 0x6dc9c883
	s_mov_b32 s9, 0x3fe45f30
	v_mul_f64 v[4:5], |v[0:1]|, s[8:9]
	s_mov_b32 s8, 0x54442d18
	v_rndne_f64_e32 v[8:9], v[4:5]
	s_mov_b32 s9, 0xbff921fb
	v_fma_f64 v[4:5], v[8:9], s[8:9], |v[0:1]|
	s_mov_b32 s9, 0xbc91a626
	s_mov_b32 s8, 0x33145c00
	v_mul_f64 v[10:11], v[8:9], s[8:9]
	v_add_f64 v[20:21], v[4:5], v[10:11]
	v_fma_f64 v[6:7], s[8:9], v[8:9], v[4:5]
	s_mov_b32 s9, 0x3c91a626
	v_add_f64 v[4:5], v[4:5], -v[20:21]
	v_fma_f64 v[18:19], s[8:9], v[8:9], v[10:11]
	v_add_f64 v[4:5], v[4:5], v[10:11]
	v_add_f64 v[10:11], v[20:21], -v[6:7]
	v_add_f64 v[4:5], v[10:11], v[4:5]
	s_mov_b32 s8, 0x252049c0
	v_add_f64 v[10:11], v[4:5], -v[18:19]
	s_mov_b32 s9, 0xb97b839a
	v_fmac_f64_e32 v[10:11], s[8:9], v[8:9]
	v_add_f64 v[4:5], v[6:7], v[10:11]
	v_add_f64 v[6:7], v[4:5], -v[6:7]
	v_add_f64 v[6:7], v[10:11], -v[6:7]
	v_cvt_i32_f64_e32 v24, v[8:9]
.LBB11_125:
	s_or_b64 exec, exec, s[0:1]
                                        ; implicit-def: $vgpr25
                                        ; implicit-def: $vgpr8_vgpr9
                                        ; implicit-def: $vgpr10_vgpr11
	s_and_saveexec_b64 s[0:1], s[6:7]
	s_xor_b64 s[6:7], exec, s[0:1]
	s_cbranch_execz .LBB11_127
; %bb.126:
	s_mov_b32 s0, 0
	s_mov_b32 s1, 0x7b000000
	s_movk_i32 s8, 0xff80
	v_and_b32_e32 v10, 0x7fffffff, v1
	v_ldexp_f64 v[8:9], |v[0:1]|, s8
	v_cmp_ge_f64_e64 vcc, |v[0:1]|, s[0:1]
	s_mov_b32 s0, 0
	s_mov_b32 s1, 0x7ff00000
	v_cndmask_b32_e32 v9, v10, v9, vcc
	v_cndmask_b32_e32 v8, v0, v8, vcc
	v_mul_f64 v[18:19], v[16:17], v[8:9]
	v_mul_f64 v[10:11], v[14:15], v[8:9]
	v_fma_f64 v[16:17], v[16:17], v[8:9], -v[18:19]
	v_add_f64 v[20:21], v[10:11], v[16:17]
	v_add_f64 v[22:23], v[18:19], v[20:21]
	v_ldexp_f64 v[26:27], v[22:23], -2
	v_fract_f64_e32 v[28:29], v[26:27]
	v_cmp_neq_f64_e64 vcc, |v[26:27]|, s[0:1]
	v_add_f64 v[18:19], v[22:23], -v[18:19]
	v_add_f64 v[18:19], v[20:21], -v[18:19]
	v_cndmask_b32_e32 v27, 0, v29, vcc
	v_cndmask_b32_e32 v26, 0, v28, vcc
	v_add_f64 v[28:29], v[20:21], -v[10:11]
	v_add_f64 v[16:17], v[16:17], -v[28:29]
	v_add_f64 v[28:29], v[20:21], -v[28:29]
	v_add_f64 v[28:29], v[10:11], -v[28:29]
	v_fma_f64 v[10:11], v[14:15], v[8:9], -v[10:11]
	v_mul_f64 v[14:15], v[12:13], v[8:9]
	v_add_f64 v[16:17], v[16:17], v[28:29]
	v_add_f64 v[28:29], v[14:15], v[10:11]
	;; [unrolled: 1-line block ×3, first 2 shown]
	v_add_f64 v[22:23], v[32:33], -v[28:29]
	v_add_f64 v[16:17], v[16:17], -v[22:23]
	;; [unrolled: 1-line block ×4, first 2 shown]
	v_add_f64 v[16:17], v[16:17], v[22:23]
	v_add_f64 v[22:23], v[28:29], -v[14:15]
	v_add_f64 v[10:11], v[10:11], -v[22:23]
	;; [unrolled: 1-line block ×4, first 2 shown]
	v_add_f64 v[10:11], v[10:11], v[22:23]
	v_add_f64 v[10:11], v[10:11], v[16:17]
	v_fma_f64 v[8:9], v[12:13], v[8:9], -v[14:15]
	v_add_f64 v[20:21], v[18:19], v[32:33]
	v_add_f64 v[8:9], v[8:9], v[10:11]
	v_ldexp_f64 v[10:11], v[26:27], 2
	v_add_f64 v[12:13], v[20:21], v[10:11]
	v_mov_b32_e32 v14, 0x40100000
	v_cmp_gt_f64_e32 vcc, 0, v[12:13]
	v_mov_b32_e32 v30, 0
	v_add_f64 v[18:19], v[20:21], -v[18:19]
	v_cndmask_b32_e32 v31, 0, v14, vcc
	v_add_f64 v[10:11], v[10:11], v[30:31]
	v_add_f64 v[12:13], v[20:21], v[10:11]
	v_cvt_i32_f64_e32 v14, v[12:13]
	v_cvt_f64_i32_e32 v[12:13], v14
	v_add_f64 v[10:11], v[10:11], -v[12:13]
	v_add_f64 v[12:13], v[20:21], v[10:11]
	v_add_f64 v[18:19], v[32:33], -v[18:19]
	v_add_f64 v[10:11], v[12:13], -v[10:11]
	v_add_f64 v[8:9], v[18:19], v[8:9]
	v_add_f64 v[10:11], v[20:21], -v[10:11]
	v_add_f64 v[8:9], v[8:9], v[10:11]
	v_cmp_le_f64_e32 vcc, 0.5, v[12:13]
	v_mov_b32_e32 v10, 0x3ff00000
	s_mov_b32 s8, 0x33145c07
	v_cndmask_b32_e32 v31, 0, v10, vcc
	v_addc_co_u32_e64 v25, s[0:1], 0, v14, vcc
	v_add_f64 v[10:11], v[12:13], -v[30:31]
	v_add_f64 v[12:13], v[10:11], v[8:9]
	s_mov_b32 s0, 0x54442d18
	v_add_f64 v[10:11], v[12:13], -v[10:11]
	s_mov_b32 s1, 0x3ff921fb
	v_add_f64 v[8:9], v[8:9], -v[10:11]
	v_mul_f64 v[10:11], v[12:13], s[0:1]
	v_fma_f64 v[14:15], v[12:13], s[0:1], -v[10:11]
	s_mov_b32 s9, 0x3c91a626
	v_fmac_f64_e32 v[14:15], s[8:9], v[12:13]
	v_fmac_f64_e32 v[14:15], s[0:1], v[8:9]
	v_add_f64 v[8:9], v[10:11], v[14:15]
	v_add_f64 v[10:11], v[8:9], -v[10:11]
	v_add_f64 v[10:11], v[14:15], -v[10:11]
	s_andn2_saveexec_b64 s[0:1], s[6:7]
	s_cbranch_execnz .LBB11_128
	s_branch .LBB11_129
.LBB11_127:
	s_andn2_saveexec_b64 s[0:1], s[6:7]
	s_cbranch_execz .LBB11_129
.LBB11_128:
	s_mov_b32 s6, 0x6dc9c883
	s_mov_b32 s7, 0x3fe45f30
	v_mul_f64 v[8:9], |v[0:1]|, s[6:7]
	s_mov_b32 s6, 0x54442d18
	v_rndne_f64_e32 v[12:13], v[8:9]
	s_mov_b32 s7, 0xbff921fb
	v_fma_f64 v[8:9], v[12:13], s[6:7], |v[0:1]|
	s_mov_b32 s7, 0xbc91a626
	s_mov_b32 s6, 0x33145c00
	v_mul_f64 v[14:15], v[12:13], s[6:7]
	v_add_f64 v[18:19], v[8:9], v[14:15]
	v_fma_f64 v[10:11], s[6:7], v[12:13], v[8:9]
	s_mov_b32 s7, 0x3c91a626
	v_add_f64 v[8:9], v[8:9], -v[18:19]
	v_fma_f64 v[16:17], s[6:7], v[12:13], v[14:15]
	v_add_f64 v[8:9], v[8:9], v[14:15]
	v_add_f64 v[14:15], v[18:19], -v[10:11]
	v_add_f64 v[8:9], v[14:15], v[8:9]
	s_mov_b32 s6, 0x252049c0
	v_add_f64 v[14:15], v[8:9], -v[16:17]
	s_mov_b32 s7, 0xb97b839a
	v_fmac_f64_e32 v[14:15], s[6:7], v[12:13]
	v_add_f64 v[8:9], v[10:11], v[14:15]
	v_add_f64 v[10:11], v[8:9], -v[10:11]
	v_add_f64 v[10:11], v[14:15], -v[10:11]
	v_cvt_i32_f64_e32 v25, v[12:13]
.LBB11_129:
	s_or_b64 exec, exec, s[0:1]
	s_mov_b32 s0, 0
	v_mul_f64 v[12:13], v[2:3], v[2:3]
	s_mov_b32 s1, 0x40390000
	v_div_scale_f64 v[14:15], s[6:7], v[12:13], v[12:13], s[0:1]
	v_rcp_f64_e32 v[16:17], v[14:15]
	v_mov_b32_e32 v22, 0x55b218cd
	v_mov_b32_e32 v23, 0xc049b48c
	s_mov_b32 s6, 0x46cc5e42
	v_fma_f64 v[18:19], -v[14:15], v[16:17], 1.0
	v_fmac_f64_e32 v[16:17], v[16:17], v[18:19]
	v_fma_f64 v[18:19], -v[14:15], v[16:17], 1.0
	v_fmac_f64_e32 v[16:17], v[16:17], v[18:19]
	v_div_scale_f64 v[18:19], vcc, s[0:1], v[12:13], s[0:1]
	v_mul_f64 v[20:21], v[18:19], v[16:17]
	v_fma_f64 v[14:15], -v[14:15], v[20:21], v[18:19]
	v_mov_b32_e32 v18, 0xab5454e3
	s_nop 0
	v_div_fmas_f64 v[14:15], v[14:15], v[16:17], v[20:21]
	v_div_fixup_f64 v[14:15], v[14:15], v[12:13], s[0:1]
	v_mov_b32_e32 v12, 0x983b6b27
	v_mov_b32_e32 v13, 0x3f4a1d30
	v_fmac_f64_e32 v[12:13], 0, v[14:15]
	v_mov_b32_e32 v16, 0xb35dd1cf
	v_mov_b32_e32 v17, 0x3fb534b0
	v_fmac_f64_e32 v[16:17], v[14:15], v[12:13]
	;; [unrolled: 3-line block ×7, first 2 shown]
	v_mov_b32_e32 v19, 0x3fb5ebc5
	v_fmac_f64_e32 v[18:19], v[14:15], v[12:13]
	v_mov_b32_e32 v12, 0xc9b3069f
	v_mov_b32_e32 v13, 0x3ff40e72
	v_fmac_f64_e32 v[12:13], v[14:15], v[18:19]
	v_mov_b32_e32 v18, 0xe68162bb
	;; [unrolled: 3-line block ×10, first 2 shown]
	v_mov_b32_e32 v21, 0xc062627a
	v_fmac_f64_e32 v[20:21], v[14:15], v[12:13]
	v_fmac_f64_e32 v[22:23], v[14:15], v[20:21]
	v_mov_b32_e32 v12, 0xd1b9a1dd
	v_mov_b32_e32 v13, 0xc0183358
	;; [unrolled: 1-line block ×4, first 2 shown]
	v_fmac_f64_e32 v[12:13], v[14:15], v[22:23]
	v_fmac_f64_e32 v[20:21], 0, v[14:15]
	v_mov_b32_e32 v22, 0xb1759c7f
	v_mov_b32_e32 v23, 0x408ac370
	v_fmac_f64_e32 v[22:23], v[14:15], v[20:21]
	v_mov_b32_e32 v20, 0xbd748cb5
	v_mov_b32_e32 v21, 0x40ae54cd
	;; [unrolled: 3-line block ×5, first 2 shown]
	v_fma_f64 v[18:19], v[14:15], v[18:19], 1.0
	v_fmac_f64_e32 v[22:23], v[14:15], v[20:21]
	v_fma_f64 v[20:21], v[14:15], v[16:17], 1.0
	v_div_scale_f64 v[26:27], s[0:1], v[18:19], v[18:19], v[20:21]
	v_rcp_f64_e32 v[28:29], v[26:27]
	v_mov_b32_e32 v16, 0x6280a54
	v_mov_b32_e32 v17, 0x406e402f
	v_fmac_f64_e32 v[16:17], v[14:15], v[22:23]
	v_fma_f64 v[14:15], -v[26:27], v[28:29], 1.0
	v_fmac_f64_e32 v[28:29], v[28:29], v[14:15]
	v_fma_f64 v[14:15], -v[26:27], v[28:29], 1.0
	v_fmac_f64_e32 v[28:29], v[28:29], v[14:15]
	v_div_scale_f64 v[14:15], vcc, v[20:21], v[18:19], v[20:21]
	v_mul_f64 v[22:23], v[14:15], v[28:29]
	v_fma_f64 v[14:15], -v[26:27], v[22:23], v[14:15]
	s_mov_b32 s0, 0x9037ab78
	s_nop 0
	v_div_fmas_f64 v[14:15], v[14:15], v[28:29], v[22:23]
	v_mul_f64 v[22:23], v[4:5], v[4:5]
	v_div_fixup_f64 v[14:15], v[14:15], v[18:19], v[20:21]
	v_mul_f64 v[18:19], v[22:23], 0.5
	v_add_f64 v[20:21], -v[18:19], 1.0
	v_add_f64 v[26:27], -v[20:21], 1.0
	s_mov_b32 s1, 0x3e21eeb6
	v_add_f64 v[26:27], v[26:27], -v[18:19]
	s_mov_b32 s7, 0xbda907db
	v_mov_b64_e32 v[18:19], s[0:1]
	s_mov_b32 s8, 0xa17f65f6
	v_fma_f64 v[30:31], s[6:7], v[22:23], v[18:19]
	s_mov_b32 s9, 0xbe927e4f
	s_mov_b32 s10, 0x19f4ec90
	v_fma_f64 v[30:31], v[22:23], v[30:31], s[8:9]
	s_mov_b32 s11, 0x3efa01a0
	;; [unrolled: 3-line block ×4, first 2 shown]
	v_mul_f64 v[28:29], v[22:23], v[22:23]
	v_fma_f64 v[30:31], v[22:23], v[30:31], s[14:15]
	v_fma_f64 v[26:27], v[4:5], -v[6:7], v[26:27]
	s_mov_b32 s0, 0xb42fdfa7
	v_fmac_f64_e32 v[26:27], v[28:29], v[30:31]
	s_mov_b32 s1, 0xbe5ae600
	s_mov_b32 s16, 0xf9a43bb8
	v_add_f64 v[26:27], v[20:21], v[26:27]
	s_mov_b32 s17, 0x3de5e0b2
	v_mov_b64_e32 v[20:21], s[0:1]
	s_mov_b32 s18, 0x796cde01
	v_fma_f64 v[28:29], s[16:17], v[22:23], v[20:21]
	s_mov_b32 s19, 0x3ec71de3
	s_mov_b32 s20, 0x19e83e5c
	v_fma_f64 v[28:29], v[22:23], v[28:29], s[18:19]
	s_mov_b32 s21, 0xbf2a01a0
	;; [unrolled: 3-line block ×3, first 2 shown]
	v_fma_f64 v[28:29], v[22:23], v[28:29], s[22:23]
	v_mul_f64 v[30:31], v[4:5], -v[22:23]
	v_mul_f64 v[32:33], v[6:7], 0.5
	v_fmac_f64_e32 v[32:33], v[30:31], v[28:29]
	v_fma_f64 v[6:7], v[22:23], v[32:33], -v[6:7]
	s_mov_b32 s25, 0xbfc55555
	s_mov_b32 s24, s14
	v_fmac_f64_e32 v[6:7], s[24:25], v[30:31]
	v_add_f64 v[4:5], v[4:5], -v[6:7]
	v_and_b32_e32 v6, 1, v24
	v_cmp_eq_u32_e32 vcc, 0, v6
	s_mov_b32 s26, 0
	s_mov_b32 s27, 0x40140000
	v_cndmask_b32_e32 v22, v26, v4, vcc
	v_cndmask_b32_e32 v4, v27, v5, vcc
	v_lshlrev_b32_e32 v5, 30, v24
	v_xor_b32_e32 v5, v5, v1
	v_and_b32_e32 v5, 0x80000000, v5
	v_xor_b32_e32 v23, v4, v5
	v_div_scale_f64 v[4:5], s[0:1], v[2:3], v[2:3], s[26:27]
	v_rcp_f64_e32 v[6:7], v[4:5]
	s_movk_i32 s28, 0x1f8
	v_cmp_class_f64_e64 s[0:1], v[0:1], s28
	v_mov_b32_e32 v24, 0x7ff80000
	s_nop 0
	v_cndmask_b32_e64 v0, 0, v22, s[0:1]
	v_cndmask_b32_e64 v1, v24, v23, s[0:1]
	v_fma_f64 v[22:23], -v[4:5], v[6:7], 1.0
	v_fmac_f64_e32 v[6:7], v[6:7], v[22:23]
	v_fma_f64 v[22:23], -v[4:5], v[6:7], 1.0
	v_fmac_f64_e32 v[6:7], v[6:7], v[22:23]
	v_div_scale_f64 v[22:23], vcc, s[26:27], v[2:3], s[26:27]
	v_mul_f64 v[26:27], v[22:23], v[6:7]
	v_fma_f64 v[4:5], -v[4:5], v[26:27], v[22:23]
	v_div_scale_f64 v[22:23], s[28:29], v[16:17], v[16:17], v[12:13]
	v_rcp_f64_e32 v[28:29], v[22:23]
	v_div_fmas_f64 v[4:5], v[4:5], v[6:7], v[26:27]
	v_div_fixup_f64 v[4:5], v[4:5], v[2:3], s[26:27]
	v_fma_f64 v[6:7], -v[22:23], v[28:29], 1.0
	v_fmac_f64_e32 v[28:29], v[28:29], v[6:7]
	v_fma_f64 v[6:7], -v[22:23], v[28:29], 1.0
	v_fmac_f64_e32 v[28:29], v[28:29], v[6:7]
	v_div_scale_f64 v[6:7], vcc, v[12:13], v[16:17], v[12:13]
	v_mul_f64 v[26:27], v[6:7], v[28:29]
	v_fma_f64 v[6:7], -v[22:23], v[26:27], v[6:7]
	s_nop 1
	v_div_fmas_f64 v[6:7], v[6:7], v[28:29], v[26:27]
	v_div_fixup_f64 v[6:7], v[6:7], v[16:17], v[12:13]
	v_mul_f64 v[4:5], v[4:5], v[6:7]
	v_mul_f64 v[6:7], v[8:9], v[8:9]
	v_mul_f64 v[12:13], v[6:7], 0.5
	v_fmac_f64_e32 v[18:19], s[6:7], v[6:7]
	v_add_f64 v[16:17], -v[12:13], 1.0
	v_fma_f64 v[18:19], v[6:7], v[18:19], s[8:9]
	v_add_f64 v[22:23], -v[16:17], 1.0
	v_fma_f64 v[18:19], v[6:7], v[18:19], s[10:11]
	v_add_f64 v[12:13], v[22:23], -v[12:13]
	v_fma_f64 v[18:19], v[6:7], v[18:19], s[12:13]
	v_mul_f64 v[22:23], v[6:7], v[6:7]
	v_fma_f64 v[18:19], v[6:7], v[18:19], s[14:15]
	v_fma_f64 v[12:13], v[8:9], -v[10:11], v[12:13]
	v_fmac_f64_e32 v[12:13], v[22:23], v[18:19]
	v_fmac_f64_e32 v[20:21], s[16:17], v[6:7]
	v_add_f64 v[12:13], v[16:17], v[12:13]
	v_fma_f64 v[16:17], v[6:7], v[20:21], s[18:19]
	v_fma_f64 v[16:17], v[6:7], v[16:17], s[20:21]
	;; [unrolled: 1-line block ×3, first 2 shown]
	v_mul_f64 v[18:19], v[8:9], -v[6:7]
	v_mul_f64 v[20:21], v[10:11], 0.5
	v_fmac_f64_e32 v[20:21], v[18:19], v[16:17]
	v_fma_f64 v[6:7], v[6:7], v[20:21], -v[10:11]
	v_fmac_f64_e32 v[6:7], s[24:25], v[18:19]
	v_add_f64 v[6:7], v[8:9], -v[6:7]
	v_and_b32_e32 v8, 1, v25
	v_xor_b32_e32 v7, 0x80000000, v7
	v_cmp_eq_u32_e32 vcc, 0, v8
	v_lshlrev_b32_e32 v8, 30, v25
	v_and_b32_e32 v8, 0x80000000, v8
	v_cndmask_b32_e32 v7, v7, v13, vcc
	v_cndmask_b32_e32 v6, v6, v12, vcc
	v_xor_b32_e32 v7, v7, v8
	v_cndmask_b32_e64 v6, 0, v6, s[0:1]
	v_cndmask_b32_e64 v7, v24, v7, s[0:1]
	s_mov_b32 s0, 0
	s_brev_b32 s1, 8
	v_mul_f64 v[4:5], v[4:5], v[6:7]
	v_cmp_gt_f64_e32 vcc, s[0:1], v[2:3]
	v_fmac_f64_e32 v[4:5], v[14:15], v[0:1]
	s_mov_b32 s0, 0x33d43651
	v_cndmask_b32_e64 v0, 0, 1, vcc
	v_lshlrev_b32_e32 v0, 8, v0
	v_ldexp_f64 v[0:1], v[2:3], v0
	v_rsq_f64_e32 v[2:3], v[0:1]
	s_mov_b32 s1, 0x3fe98845
	v_mul_f64 v[4:5], v[4:5], s[0:1]
	v_mul_f64 v[6:7], v[0:1], v[2:3]
	v_mul_f64 v[2:3], v[2:3], 0.5
	v_fma_f64 v[8:9], -v[2:3], v[6:7], 0.5
	v_fmac_f64_e32 v[6:7], v[6:7], v[8:9]
	v_fma_f64 v[10:11], -v[6:7], v[6:7], v[0:1]
	v_fmac_f64_e32 v[2:3], v[2:3], v[8:9]
	v_fmac_f64_e32 v[6:7], v[10:11], v[2:3]
	v_fma_f64 v[8:9], -v[6:7], v[6:7], v[0:1]
	v_fmac_f64_e32 v[6:7], v[8:9], v[2:3]
	v_mov_b32_e32 v2, 0xffffff80
	v_cndmask_b32_e32 v2, 0, v2, vcc
	v_ldexp_f64 v[2:3], v[6:7], v2
	v_mov_b32_e32 v6, 0x260
	v_cmp_class_f64_e32 vcc, v[0:1], v6
	s_nop 1
	v_cndmask_b32_e32 v1, v3, v1, vcc
	v_cndmask_b32_e32 v0, v2, v0, vcc
	v_div_scale_f64 v[2:3], s[0:1], v[0:1], v[0:1], v[4:5]
	v_rcp_f64_e32 v[6:7], v[2:3]
	s_nop 0
	v_fma_f64 v[8:9], -v[2:3], v[6:7], 1.0
	v_fmac_f64_e32 v[6:7], v[6:7], v[8:9]
	v_fma_f64 v[8:9], -v[2:3], v[6:7], 1.0
	v_fmac_f64_e32 v[6:7], v[6:7], v[8:9]
	v_div_scale_f64 v[8:9], vcc, v[4:5], v[0:1], v[4:5]
	v_mul_f64 v[10:11], v[8:9], v[6:7]
	v_fma_f64 v[2:3], -v[2:3], v[10:11], v[8:9]
	s_nop 1
	v_div_fmas_f64 v[2:3], v[2:3], v[6:7], v[10:11]
	v_div_fixup_f64 v[0:1], v[2:3], v[0:1], v[4:5]
.LBB11_130:
	s_or_b64 exec, exec, s[4:5]
	s_or_b64 exec, exec, s[2:3]
	s_setpc_b64 s[30:31]
.LBB11_131:
	s_or_saveexec_b64 s[18:19], s[18:19]
	v_mov_b64_e32 v[2:3], s[16:17]
	s_xor_b64 exec, exec, s[18:19]
	s_cbranch_execz .LBB11_30
.LBB11_132:
	v_cmp_ne_u16_e32 vcc, 0, v4
	s_andn2_b64 s[14:15], s[14:15], exec
	s_and_b64 s[16:17], vcc, exec
	v_mov_b64_e32 v[2:3], 0
	s_or_b64 s[14:15], s[14:15], s[16:17]
	s_or_b64 exec, exec, s[18:19]
	s_and_saveexec_b64 s[16:17], s[14:15]
	s_cbranch_execnz .LBB11_31
	s_branch .LBB11_32
.LBB11_133:
	s_or_saveexec_b64 s[18:19], s[18:19]
	v_mov_b64_e32 v[2:3], s[16:17]
	s_xor_b64 exec, exec, s[18:19]
	s_cbranch_execz .LBB11_104
.LBB11_134:
	v_cmp_ne_u16_e32 vcc, 0, v4
	s_andn2_b64 s[14:15], s[14:15], exec
	s_and_b64 s[16:17], vcc, exec
	v_mov_b64_e32 v[2:3], 0
	s_or_b64 s[14:15], s[14:15], s[16:17]
	s_or_b64 exec, exec, s[18:19]
	s_and_saveexec_b64 s[16:17], s[14:15]
	s_cbranch_execnz .LBB11_105
	s_branch .LBB11_106
.Lfunc_end11:
	.size	_ZN2at6native6invokeIZZZNS0_12_GLOBAL__N_121bessel_y0_kernel_cudaERNS_18TensorIteratorBaseEENKUlvE_clEvENKUlvE_clEvEUldE_j15function_traitsIS7_EEENT1_11result_typeERKT_PrKPcPKT0_PKN3c1010ScalarTypeEi, .Lfunc_end11-_ZN2at6native6invokeIZZZNS0_12_GLOBAL__N_121bessel_y0_kernel_cudaERNS_18TensorIteratorBaseEENKUlvE_clEvENKUlvE_clEvEUldE_j15function_traitsIS7_EEENT1_11result_typeERKT_PrKPcPKT0_PKN3c1010ScalarTypeEi
                                        ; -- End function
	.section	.AMDGPU.csdata,"",@progbits
; Function info:
; codeLenInByte = 7712
; NumSgprs: 38
; NumVgprs: 34
; NumAgprs: 0
; TotalNumVgprs: 34
; ScratchSize: 0
; MemoryBound: 1
	.section	.text._ZN2at6native32elementwise_kernel_manual_unrollILi128ELi4EZNS0_15gpu_kernel_implIZZZNS0_12_GLOBAL__N_121bessel_y0_kernel_cudaERNS_18TensorIteratorBaseEENKUlvE_clEvENKUlvE_clEvEUldE_EEvS5_RKT_EUlibE0_EEviT1_,"axG",@progbits,_ZN2at6native32elementwise_kernel_manual_unrollILi128ELi4EZNS0_15gpu_kernel_implIZZZNS0_12_GLOBAL__N_121bessel_y0_kernel_cudaERNS_18TensorIteratorBaseEENKUlvE_clEvENKUlvE_clEvEUldE_EEvS5_RKT_EUlibE0_EEviT1_,comdat
	.globl	_ZN2at6native32elementwise_kernel_manual_unrollILi128ELi4EZNS0_15gpu_kernel_implIZZZNS0_12_GLOBAL__N_121bessel_y0_kernel_cudaERNS_18TensorIteratorBaseEENKUlvE_clEvENKUlvE_clEvEUldE_EEvS5_RKT_EUlibE0_EEviT1_ ; -- Begin function _ZN2at6native32elementwise_kernel_manual_unrollILi128ELi4EZNS0_15gpu_kernel_implIZZZNS0_12_GLOBAL__N_121bessel_y0_kernel_cudaERNS_18TensorIteratorBaseEENKUlvE_clEvENKUlvE_clEvEUldE_EEvS5_RKT_EUlibE0_EEviT1_
	.p2align	8
	.type	_ZN2at6native32elementwise_kernel_manual_unrollILi128ELi4EZNS0_15gpu_kernel_implIZZZNS0_12_GLOBAL__N_121bessel_y0_kernel_cudaERNS_18TensorIteratorBaseEENKUlvE_clEvENKUlvE_clEvEUldE_EEvS5_RKT_EUlibE0_EEviT1_,@function
_ZN2at6native32elementwise_kernel_manual_unrollILi128ELi4EZNS0_15gpu_kernel_implIZZZNS0_12_GLOBAL__N_121bessel_y0_kernel_cudaERNS_18TensorIteratorBaseEENKUlvE_clEvENKUlvE_clEvEUldE_EEvS5_RKT_EUlibE0_EEviT1_: ; @_ZN2at6native32elementwise_kernel_manual_unrollILi128ELi4EZNS0_15gpu_kernel_implIZZZNS0_12_GLOBAL__N_121bessel_y0_kernel_cudaERNS_18TensorIteratorBaseEENKUlvE_clEvENKUlvE_clEvEUldE_EEvS5_RKT_EUlibE0_EEviT1_
; %bb.0:
	s_load_dword s76, s[0:1], 0x0
	s_load_dword s33, s[0:1], 0x8
	s_mov_b64 s[34:35], s[0:1]
	s_or_b32 s48, s34, 8
	v_lshl_or_b32 v38, s2, 9, v0
	v_or_b32_e32 v6, 0x180, v38
	s_waitcnt lgkmcnt(0)
	s_add_i32 s78, s33, -1
	s_cmp_gt_u32 s78, 1
	s_mov_b32 s49, s1
	v_cmp_le_i32_e32 vcc, s76, v6
	s_cselect_b64 s[52:53], -1, 0
	s_mov_b64 s[50:51], 0
	s_mov_b64 s[40:41], 0
	s_mov_b32 s32, 0
	s_and_saveexec_b64 s[0:1], vcc
	s_xor_b64 s[54:55], exec, s[0:1]
	s_cbranch_execz .LBB12_574
; %bb.1:
	v_mov_b32_e32 v0, 0
	global_load_ushort v35, v0, s[48:49] offset:345
	s_load_dwordx4 s[44:47], s[48:49], 0x4
	s_load_dwordx2 s[56:57], s[48:49], 0x14
	s_load_dwordx4 s[40:43], s[48:49], 0xc4
	s_load_dwordx4 s[36:39], s[48:49], 0x148
	s_cmp_lg_u32 s33, 0
	s_cselect_b64 s[62:63], -1, 0
	s_add_u32 s60, s48, 0xc4
	s_addc_u32 s61, s49, 0
	s_min_u32 s79, s78, 15
	s_cmp_gt_u32 s33, 1
	v_cmp_gt_i32_e32 vcc, s76, v38
	s_mov_b64 s[0:1], -1
	s_mov_b64 s[70:71], 0
	s_cselect_b64 s[58:59], -1, 0
	s_mov_b64 s[64:65], 0
	s_waitcnt vmcnt(0)
	v_lshrrev_b16_e32 v34, 8, v35
	s_and_saveexec_b64 s[66:67], vcc
                                        ; implicit-def: $vgpr2_vgpr3
	s_cbranch_execz .LBB12_139
; %bb.2:
	s_andn2_b64 vcc, exec, s[52:53]
	s_cbranch_vccnz .LBB12_8
; %bb.3:
	s_mov_b32 s20, 0
	s_andn2_b64 vcc, exec, s[62:63]
	v_mov_b32_e32 v2, 0
	v_mov_b32_e32 v36, 0
	s_cbranch_vccnz .LBB12_14
; %bb.4:
	s_add_i32 s26, s79, 1
	s_cmp_eq_u32 s78, 2
	s_cbranch_scc1 .LBB12_9
; %bb.5:
	s_and_b32 s20, s26, 28
	s_mov_b32 s21, 0
	v_mov_b32_e32 v36, 0
	s_mov_b64 s[22:23], s[48:49]
	s_mov_b64 s[24:25], s[60:61]
	v_mov_b32_e32 v0, v38
	v_mov_b32_e32 v2, 0
.LBB12_6:                               ; =>This Inner Loop Header: Depth=1
	s_load_dwordx8 s[8:15], s[22:23], 0x4
	s_load_dwordx4 s[16:19], s[22:23], 0x24
	s_load_dwordx8 s[0:7], s[24:25], 0x0
	s_add_u32 s22, s22, 48
	s_addc_u32 s23, s23, 0
	s_waitcnt lgkmcnt(0)
	v_mul_hi_u32 v1, s9, v0
	v_add_u32_e32 v1, v0, v1
	v_lshrrev_b32_e32 v1, s10, v1
	v_mul_lo_u32 v3, v1, s8
	v_mul_hi_u32 v4, s12, v1
	v_sub_u32_e32 v0, v0, v3
	v_add_u32_e32 v3, v1, v4
	v_lshrrev_b32_e32 v3, s13, v3
	v_mul_lo_u32 v5, v3, s11
	v_mul_hi_u32 v6, s15, v3
	v_sub_u32_e32 v1, v1, v5
	v_add_u32_e32 v5, v3, v6
	v_mul_lo_u32 v4, v0, s1
	v_mul_lo_u32 v0, v0, s0
	;; [unrolled: 1-line block ×4, first 2 shown]
	v_lshrrev_b32_e32 v5, s16, v5
	v_add3_u32 v1, v0, v36, v1
	v_add3_u32 v2, v4, v2, v6
	v_mul_lo_u32 v0, v5, s14
	v_mul_hi_u32 v4, s18, v5
	v_sub_u32_e32 v0, v3, v0
	v_add_u32_e32 v3, v5, v4
	v_mul_lo_u32 v4, v0, s4
	v_mul_lo_u32 v6, v0, s5
	v_lshrrev_b32_e32 v0, s19, v3
	s_add_i32 s21, s21, 4
	v_mul_lo_u32 v3, v0, s17
	s_add_u32 s24, s24, 32
	v_sub_u32_e32 v3, v5, v3
	s_addc_u32 s25, s25, 0
	v_mul_lo_u32 v5, v3, s6
	v_mul_lo_u32 v3, v3, s7
	s_cmp_lg_u32 s20, s21
	v_add3_u32 v2, v6, v2, v3
	v_add3_u32 v36, v4, v1, v5
	s_cbranch_scc1 .LBB12_6
; %bb.7:
	v_mov_b32_e32 v37, v2
	s_branch .LBB12_10
.LBB12_8:
                                        ; implicit-def: $vgpr2
                                        ; implicit-def: $vgpr36
	s_andn2_b64 vcc, exec, s[0:1]
	s_cbranch_vccz .LBB12_15
	s_branch .LBB12_17
.LBB12_9:
	s_mov_b32 s21, s20
	v_mov_b64_e32 v[36:37], s[20:21]
                                        ; implicit-def: $vgpr2
	v_mov_b32_e32 v0, v38
.LBB12_10:
	s_and_b32 s4, s26, 3
	s_cmp_eq_u32 s4, 0
	s_cbranch_scc1 .LBB12_14
; %bb.11:
	s_lshl_b32 s0, s20, 3
	s_add_u32 s0, s0, s48
	s_addc_u32 s1, s49, 0
	s_add_u32 s0, s0, 0xc4
	s_addc_u32 s1, s1, 0
	s_mul_i32 s2, s20, 12
	s_add_u32 s2, s48, s2
	s_addc_u32 s3, s49, 0
.LBB12_12:                              ; =>This Inner Loop Header: Depth=1
	s_load_dwordx2 s[6:7], s[2:3], 0x4
	s_load_dword s5, s[2:3], 0xc
	s_load_dwordx2 s[8:9], s[0:1], 0x0
	s_add_u32 s2, s2, 12
	s_addc_u32 s3, s3, 0
	s_waitcnt lgkmcnt(0)
	v_mul_hi_u32 v1, s7, v0
	v_add_u32_e32 v1, v0, v1
	v_lshrrev_b32_e32 v1, s5, v1
	v_mul_lo_u32 v3, v1, s6
	v_mov_b32_e32 v2, v37
	s_add_u32 s0, s0, 8
	v_sub_u32_e32 v4, v0, v3
	s_addc_u32 s1, s1, 0
	s_add_i32 s4, s4, -1
	v_mad_u64_u32 v[2:3], s[6:7], v4, s9, v[2:3]
	v_mad_u64_u32 v[36:37], s[6:7], v4, s8, v[36:37]
	s_cmp_lg_u32 s4, 0
	v_mov_b32_e32 v0, v1
	v_mov_b32_e32 v37, v2
	s_cbranch_scc1 .LBB12_12
; %bb.13:
	v_mov_b32_e32 v2, v37
.LBB12_14:
	s_cbranch_execnz .LBB12_17
.LBB12_15:
	s_waitcnt lgkmcnt(0)
	v_mul_hi_u32 v0, s45, v38
	v_add_u32_e32 v0, v38, v0
	v_lshrrev_b32_e32 v0, s46, v0
	v_mul_lo_u32 v1, v0, s44
	v_sub_u32_e32 v1, v38, v1
	v_mul_lo_u32 v2, v1, s41
	s_andn2_b64 vcc, exec, s[58:59]
	v_mul_lo_u32 v36, v1, s40
	s_cbranch_vccnz .LBB12_17
; %bb.16:
	v_mul_hi_u32 v1, s56, v0
	v_add_u32_e32 v1, v0, v1
	v_lshrrev_b32_e32 v1, s57, v1
	v_mul_lo_u32 v1, v1, s47
	v_sub_u32_e32 v0, v0, v1
	v_mad_u64_u32 v[36:37], s[0:1], v0, s42, v[36:37]
	v_mad_u64_u32 v[2:3], s[0:1], v0, s43, v[2:3]
.LBB12_17:
	s_waitcnt lgkmcnt(0)
	v_mov_b32_e32 v0, s38
	v_mov_b32_e32 v1, s39
	;; [unrolled: 1-line block ×3, first 2 shown]
	s_getpc_b64 s[0:1]
	s_add_u32 s0, s0, _ZN2at6native6invokeIZZZNS0_12_GLOBAL__N_121bessel_y0_kernel_cudaERNS_18TensorIteratorBaseEENKUlvE_clEvENKUlvE_clEvEUldE_j15function_traitsIS7_EEENT1_11result_typeERKT_PrKPcPKT0_PKN3c1010ScalarTypeEi@rel32@lo+4
	s_addc_u32 s1, s1, _ZN2at6native6invokeIZZZNS0_12_GLOBAL__N_121bessel_y0_kernel_cudaERNS_18TensorIteratorBaseEENKUlvE_clEvENKUlvE_clEvEUldE_j15function_traitsIS7_EEENT1_11result_typeERKT_PrKPcPKT0_PKN3c1010ScalarTypeEi@rel32@hi+12
	s_swappc_b64 s[30:31], s[0:1]
	v_mov_b32_e32 v2, 11
	v_mov_b32_e32 v37, 0
	v_cmp_lt_i16_sdwa s[0:1], v35, v2 src0_sel:BYTE_0 src1_sel:DWORD
	v_lshl_add_u64 v[4:5], s[36:37], 0, v[36:37]
	s_and_b64 vcc, exec, s[0:1]
	s_cbranch_vccnz .LBB12_24
; %bb.18:
	v_mov_b32_e32 v2, 25
	v_cmp_gt_i16_sdwa s[0:1], v35, v2 src0_sel:BYTE_0 src1_sel:DWORD
	s_and_b64 vcc, exec, s[0:1]
	s_cbranch_vccz .LBB12_27
; %bb.19:
	v_mov_b32_e32 v2, 28
	v_cmp_gt_i16_sdwa s[0:1], v35, v2 src0_sel:BYTE_0 src1_sel:DWORD
	s_and_b64 vcc, exec, s[0:1]
	s_cbranch_vccz .LBB12_28
	;; [unrolled: 5-line block ×4, first 2 shown]
; %bb.22:
	v_mov_b32_e32 v2, 46
	v_cmp_eq_u16_sdwa s[2:3], v35, v2 src0_sel:BYTE_0 src1_sel:DWORD
	s_mov_b64 s[4:5], 0
	s_mov_b64 s[0:1], -1
	s_and_b64 vcc, exec, s[2:3]
	s_mov_b64 s[2:3], 0
	s_cbranch_vccz .LBB12_31
; %bb.23:
	v_cvt_f32_f64_e32 v2, v[0:1]
	v_bfe_u32 v3, v2, 16, 1
	s_movk_i32 s0, 0x7fff
	v_add3_u32 v3, v2, v3, s0
	v_lshrrev_b32_e32 v3, 16, v3
	v_mov_b32_e32 v6, 0x7fc0
	v_cmp_o_f32_e32 vcc, v2, v2
	s_mov_b64 s[2:3], -1
	s_mov_b64 s[0:1], 0
	v_cndmask_b32_e32 v2, v6, v3, vcc
	global_store_dword v[4:5], v2, off
	s_branch .LBB12_31
.LBB12_24:
	s_mov_b64 s[0:1], 0
	s_mov_b64 s[2:3], 0
	s_cbranch_execnz .LBB12_99
.LBB12_25:
	s_andn2_b64 vcc, exec, s[2:3]
	s_cbranch_vccnz .LBB12_137
.LBB12_26:
	v_add_u32_e32 v38, 0x80, v38
	s_mov_b64 s[2:3], -1
	s_branch .LBB12_138
.LBB12_27:
	s_mov_b64 s[0:1], 0
	s_mov_b64 s[2:3], 0
	s_cbranch_execnz .LBB12_58
	s_branch .LBB12_98
.LBB12_28:
	s_mov_b64 s[4:5], -1
	s_mov_b64 s[0:1], 0
	s_mov_b64 s[2:3], 0
	s_branch .LBB12_41
.LBB12_29:
	s_mov_b64 s[4:5], -1
	s_mov_b64 s[0:1], 0
	s_mov_b64 s[2:3], 0
	s_branch .LBB12_37
.LBB12_30:
	s_mov_b64 s[4:5], -1
	s_mov_b64 s[0:1], 0
	s_mov_b64 s[2:3], 0
.LBB12_31:
	s_and_b64 vcc, exec, s[4:5]
	s_cbranch_vccz .LBB12_36
; %bb.32:
	v_mov_b32_e32 v2, 44
	v_cmp_eq_u16_sdwa s[4:5], v35, v2 src0_sel:BYTE_0 src1_sel:DWORD
	s_mov_b64 s[0:1], -1
	s_and_b64 vcc, exec, s[4:5]
	s_cbranch_vccz .LBB12_36
; %bb.33:
	v_cvt_f32_f64_e32 v2, v[0:1]
	v_bfe_u32 v3, v2, 23, 8
	s_movk_i32 s0, 0xff
	v_cmp_ne_u32_e32 vcc, s0, v3
	v_mov_b32_e32 v6, 0xff
	s_and_saveexec_b64 s[2:3], vcc
; %bb.34:
	s_mov_b32 s0, 0x3fffff
	v_lshrrev_b32_e32 v6, 23, v2
	v_and_b32_e32 v7, 0x400000, v2
	v_and_or_b32 v2, v2, s0, v3
	v_cmp_ne_u32_e32 vcc, 0, v7
	v_cmp_ne_u32_e64 s[0:1], 0, v2
	s_and_b64 s[0:1], vcc, s[0:1]
	s_nop 0
	v_cndmask_b32_e64 v2, 0, 1, s[0:1]
	v_add_u32_e32 v6, v6, v2
; %bb.35:
	s_or_b64 exec, exec, s[2:3]
	s_mov_b64 s[2:3], -1
	s_mov_b64 s[0:1], 0
	global_store_byte v[4:5], v6, off
.LBB12_36:
	s_mov_b64 s[4:5], 0
.LBB12_37:
	s_and_b64 vcc, exec, s[4:5]
	s_cbranch_vccz .LBB12_40
; %bb.38:
	v_mov_b32_e32 v2, 29
	v_cmp_eq_u16_sdwa s[4:5], v35, v2 src0_sel:BYTE_0 src1_sel:DWORD
	s_mov_b64 s[0:1], -1
	s_and_b64 vcc, exec, s[4:5]
	s_cbranch_vccz .LBB12_40
; %bb.39:
	v_trunc_f64_e32 v[2:3], v[0:1]
	s_movk_i32 s0, 0xffe0
	v_ldexp_f64 v[6:7], v[2:3], s0
	v_floor_f64_e32 v[6:7], v[6:7]
	v_fmac_f64_e32 v[2:3], 0xc1f00000, v[6:7]
	v_cvt_u32_f64_e32 v9, v[6:7]
	v_cvt_u32_f64_e32 v8, v[2:3]
	global_store_dwordx2 v[4:5], v[8:9], off
	s_mov_b64 s[2:3], -1
	s_mov_b64 s[0:1], 0
.LBB12_40:
	s_mov_b64 s[4:5], 0
.LBB12_41:
	s_and_b64 vcc, exec, s[4:5]
	s_cbranch_vccz .LBB12_57
; %bb.42:
	v_mov_b32_e32 v2, 27
	v_cmp_lt_i16_sdwa s[4:5], v35, v2 src0_sel:BYTE_0 src1_sel:DWORD
	s_mov_b64 s[2:3], -1
	s_and_b64 vcc, exec, s[4:5]
	s_cbranch_vccnz .LBB12_48
; %bb.43:
	v_cmp_gt_i16_sdwa s[4:5], v35, v2 src0_sel:BYTE_0 src1_sel:DWORD
	s_and_b64 vcc, exec, s[4:5]
	s_cbranch_vccz .LBB12_45
; %bb.44:
	v_cvt_u32_f64_e32 v2, v[0:1]
	s_mov_b64 s[2:3], 0
	global_store_dword v[4:5], v2, off
.LBB12_45:
	s_andn2_b64 vcc, exec, s[2:3]
	s_cbranch_vccnz .LBB12_47
; %bb.46:
	v_cvt_u32_f64_e32 v2, v[0:1]
	global_store_short v[4:5], v2, off
.LBB12_47:
	s_mov_b64 s[2:3], 0
.LBB12_48:
	s_andn2_b64 vcc, exec, s[2:3]
	s_cbranch_vccnz .LBB12_56
; %bb.49:
	v_cvt_f32_f64_e32 v2, v[0:1]
	v_and_b32_e32 v3, 0x7fffffff, v2
	s_mov_b32 s2, 0x43800000
	v_cmp_gt_u32_e32 vcc, s2, v3
	v_mov_b32_e32 v6, 0x80
	s_and_saveexec_b64 s[2:3], vcc
	s_cbranch_execz .LBB12_55
; %bb.50:
	s_mov_b32 s4, 0x3bffffff
	v_cmp_lt_u32_e32 vcc, s4, v3
	s_mov_b64 s[4:5], 0
                                        ; implicit-def: $vgpr3
	s_and_saveexec_b64 s[6:7], vcc
	s_xor_b64 s[6:7], exec, s[6:7]
	s_cbranch_execz .LBB12_171
; %bb.51:
	v_bfe_u32 v3, v2, 20, 1
	s_mov_b32 s8, 0x487ffff
	v_add3_u32 v3, v2, v3, s8
	s_mov_b64 s[4:5], exec
	v_lshrrev_b32_e32 v3, 20, v3
	s_or_saveexec_b64 s[6:7], s[6:7]
                                        ; implicit-def: $sgpr8
	s_xor_b64 exec, exec, s[6:7]
	s_cbranch_execnz .LBB12_172
.LBB12_52:
	s_or_b64 exec, exec, s[6:7]
	v_mov_b32_e32 v6, s8
	s_and_saveexec_b64 s[6:7], s[4:5]
.LBB12_53:
	v_lshrrev_b32_e32 v2, 24, v2
	s_movk_i32 s4, 0x80
	v_and_or_b32 v6, v2, s4, v3
.LBB12_54:
	s_or_b64 exec, exec, s[6:7]
.LBB12_55:
	s_or_b64 exec, exec, s[2:3]
	global_store_byte v[4:5], v6, off
.LBB12_56:
	s_mov_b64 s[2:3], -1
.LBB12_57:
	s_branch .LBB12_98
.LBB12_58:
	v_mov_b32_e32 v2, 22
	v_cmp_gt_i16_sdwa s[6:7], v35, v2 src0_sel:BYTE_0 src1_sel:DWORD
	s_mov_b64 s[4:5], -1
	s_and_b64 vcc, exec, s[6:7]
	s_cbranch_vccz .LBB12_90
; %bb.59:
	v_mov_b32_e32 v2, 24
	v_cmp_lt_i16_sdwa s[4:5], v35, v2 src0_sel:BYTE_0 src1_sel:DWORD
	s_mov_b64 s[2:3], -1
	s_and_b64 vcc, exec, s[4:5]
	s_cbranch_vccnz .LBB12_79
; %bb.60:
	v_cmp_gt_i16_sdwa s[4:5], v35, v2 src0_sel:BYTE_0 src1_sel:DWORD
	s_and_b64 vcc, exec, s[4:5]
	s_cbranch_vccz .LBB12_68
; %bb.61:
	v_cvt_f32_f64_e32 v2, v[0:1]
	v_and_b32_e32 v3, 0x7fffffff, v2
	s_mov_b32 s2, 0x47800000
	v_cmp_gt_u32_e32 vcc, s2, v3
	v_mov_b32_e32 v6, 0x80
	s_and_saveexec_b64 s[2:3], vcc
	s_cbranch_execz .LBB12_67
; %bb.62:
	s_mov_b32 s4, 0x37ffffff
	v_cmp_lt_u32_e32 vcc, s4, v3
	s_mov_b64 s[4:5], 0
                                        ; implicit-def: $vgpr3
	s_and_saveexec_b64 s[6:7], vcc
	s_xor_b64 s[6:7], exec, s[6:7]
	s_cbranch_execz .LBB12_174
; %bb.63:
	v_bfe_u32 v3, v2, 21, 1
	s_mov_b32 s8, 0x88fffff
	v_add3_u32 v3, v2, v3, s8
	s_mov_b64 s[4:5], exec
	v_lshrrev_b32_e32 v3, 21, v3
	s_or_saveexec_b64 s[6:7], s[6:7]
                                        ; implicit-def: $sgpr8
	s_xor_b64 exec, exec, s[6:7]
	s_cbranch_execnz .LBB12_175
.LBB12_64:
	s_or_b64 exec, exec, s[6:7]
	v_mov_b32_e32 v6, s8
	s_and_saveexec_b64 s[6:7], s[4:5]
.LBB12_65:
	v_lshrrev_b32_e32 v2, 24, v2
	s_movk_i32 s4, 0x80
	v_and_or_b32 v6, v2, s4, v3
.LBB12_66:
	s_or_b64 exec, exec, s[6:7]
.LBB12_67:
	s_or_b64 exec, exec, s[2:3]
	s_mov_b64 s[2:3], 0
	global_store_byte v[4:5], v6, off
.LBB12_68:
	s_and_b64 vcc, exec, s[2:3]
	s_cbranch_vccz .LBB12_78
; %bb.69:
	v_cvt_f32_f64_e32 v2, v[0:1]
	v_and_b32_e32 v6, 0x7fffffff, v2
	s_mov_b32 s2, 0x43f00000
	v_cmp_gt_u32_e32 vcc, s2, v6
                                        ; implicit-def: $vgpr3
	s_and_saveexec_b64 s[2:3], vcc
	s_xor_b64 s[2:3], exec, s[2:3]
	s_cbranch_execz .LBB12_75
; %bb.70:
	s_mov_b32 s4, 0x3c7fffff
	v_cmp_lt_u32_e32 vcc, s4, v6
                                        ; implicit-def: $vgpr3
	s_and_saveexec_b64 s[4:5], vcc
	s_xor_b64 s[4:5], exec, s[4:5]
; %bb.71:
	v_bfe_u32 v3, v2, 20, 1
	s_mov_b32 s6, 0x407ffff
	v_add3_u32 v3, v2, v3, s6
	v_lshrrev_b32_e32 v6, 20, v3
	v_and_b32_e32 v3, 0xff00000, v3
	s_mov_b32 s6, 0x7f00000
	v_mov_b32_e32 v7, 0x7e
	v_cmp_ne_u32_e32 vcc, s6, v3
	s_nop 1
	v_cndmask_b32_e32 v3, v7, v6, vcc
; %bb.72:
	s_andn2_saveexec_b64 s[4:5], s[4:5]
; %bb.73:
	s_mov_b32 s6, 0x46800000
	v_add_f32_e64 v3, |v2|, s6
; %bb.74:
	s_or_b64 exec, exec, s[4:5]
                                        ; implicit-def: $vgpr6
.LBB12_75:
	s_andn2_saveexec_b64 s[2:3], s[2:3]
; %bb.76:
	s_mov_b32 s4, 0x7f800000
	v_mov_b32_e32 v3, 0x7e
	v_mov_b32_e32 v7, 0x7f
	v_cmp_lt_u32_e32 vcc, s4, v6
	s_nop 1
	v_cndmask_b32_e32 v3, v3, v7, vcc
; %bb.77:
	s_or_b64 exec, exec, s[2:3]
	v_lshrrev_b32_e32 v2, 24, v2
	s_movk_i32 s2, 0x80
	v_and_or_b32 v2, v2, s2, v3
	global_store_byte v[4:5], v2, off
.LBB12_78:
	s_mov_b64 s[2:3], 0
.LBB12_79:
	s_andn2_b64 vcc, exec, s[2:3]
	s_cbranch_vccnz .LBB12_89
; %bb.80:
	v_cvt_f32_f64_e32 v2, v[0:1]
	v_and_b32_e32 v6, 0x7fffffff, v2
	s_mov_b32 s2, 0x47800000
	v_cmp_gt_u32_e32 vcc, s2, v6
                                        ; implicit-def: $vgpr3
	s_and_saveexec_b64 s[2:3], vcc
	s_xor_b64 s[2:3], exec, s[2:3]
	s_cbranch_execz .LBB12_86
; %bb.81:
	s_mov_b32 s4, 0x387fffff
	v_cmp_lt_u32_e32 vcc, s4, v6
                                        ; implicit-def: $vgpr3
	s_and_saveexec_b64 s[4:5], vcc
	s_xor_b64 s[4:5], exec, s[4:5]
; %bb.82:
	v_bfe_u32 v3, v2, 21, 1
	s_mov_b32 s6, 0x80fffff
	v_add3_u32 v3, v2, v3, s6
	v_lshrrev_b32_e32 v3, 21, v3
; %bb.83:
	s_andn2_saveexec_b64 s[4:5], s[4:5]
; %bb.84:
	s_mov_b32 s6, 0x43000000
	v_add_f32_e64 v3, |v2|, s6
; %bb.85:
	s_or_b64 exec, exec, s[4:5]
                                        ; implicit-def: $vgpr6
.LBB12_86:
	s_andn2_saveexec_b64 s[2:3], s[2:3]
; %bb.87:
	s_mov_b32 s4, 0x7f800000
	v_mov_b32_e32 v3, 0x7c
	v_mov_b32_e32 v7, 0x7f
	v_cmp_lt_u32_e32 vcc, s4, v6
	s_nop 1
	v_cndmask_b32_e32 v3, v3, v7, vcc
; %bb.88:
	s_or_b64 exec, exec, s[2:3]
	v_lshrrev_b32_e32 v2, 24, v2
	s_movk_i32 s2, 0x80
	v_and_or_b32 v2, v2, s2, v3
	global_store_byte v[4:5], v2, off
.LBB12_89:
	s_mov_b64 s[4:5], 0
	s_mov_b64 s[2:3], -1
.LBB12_90:
	s_andn2_b64 vcc, exec, s[4:5]
	s_cbranch_vccnz .LBB12_98
; %bb.91:
	v_mov_b32_e32 v2, 14
	v_cmp_gt_i16_sdwa s[6:7], v35, v2 src0_sel:BYTE_0 src1_sel:DWORD
	s_mov_b64 s[4:5], -1
	s_and_b64 vcc, exec, s[6:7]
	s_cbranch_vccz .LBB12_95
; %bb.92:
	v_mov_b32_e32 v2, 15
	v_cmp_eq_u16_sdwa s[4:5], v35, v2 src0_sel:BYTE_0 src1_sel:DWORD
	s_mov_b64 s[0:1], -1
	s_and_b64 vcc, exec, s[4:5]
	s_cbranch_vccz .LBB12_94
; %bb.93:
	v_cvt_f32_f64_e32 v2, v[0:1]
	v_bfe_u32 v3, v2, 16, 1
	s_movk_i32 s0, 0x7fff
	v_add3_u32 v3, v2, v3, s0
	v_lshrrev_b32_e32 v3, 16, v3
	v_mov_b32_e32 v6, 0x7fc0
	v_cmp_o_f32_e32 vcc, v2, v2
	s_mov_b64 s[2:3], -1
	s_mov_b64 s[0:1], 0
	v_cndmask_b32_e32 v2, v6, v3, vcc
	global_store_short v[4:5], v2, off
.LBB12_94:
	s_mov_b64 s[4:5], 0
.LBB12_95:
	s_and_b64 vcc, exec, s[4:5]
	s_cbranch_vccz .LBB12_98
; %bb.96:
	v_mov_b32_e32 v2, 11
	v_cmp_eq_u16_sdwa s[4:5], v35, v2 src0_sel:BYTE_0 src1_sel:DWORD
	s_mov_b64 s[0:1], -1
	s_and_b64 vcc, exec, s[4:5]
	s_cbranch_vccz .LBB12_98
; %bb.97:
	v_cmp_neq_f64_e32 vcc, 0, v[0:1]
	s_mov_b64 s[0:1], 0
	s_mov_b64 s[2:3], -1
	v_cndmask_b32_e64 v2, 0, 1, vcc
	global_store_byte v[4:5], v2, off
.LBB12_98:
	s_branch .LBB12_25
.LBB12_99:
	v_mov_b32_e32 v2, 5
	v_cmp_lt_i16_sdwa s[4:5], v35, v2 src0_sel:BYTE_0 src1_sel:DWORD
	s_mov_b64 s[2:3], -1
	s_and_b64 vcc, exec, s[4:5]
	s_cbranch_vccnz .LBB12_120
; %bb.100:
	v_mov_b32_e32 v2, 8
	v_cmp_lt_i16_sdwa s[4:5], v35, v2 src0_sel:BYTE_0 src1_sel:DWORD
	s_and_b64 vcc, exec, s[4:5]
	s_cbranch_vccnz .LBB12_110
; %bb.101:
	v_mov_b32_e32 v2, 9
	v_cmp_lt_i16_sdwa s[4:5], v35, v2 src0_sel:BYTE_0 src1_sel:DWORD
	s_and_b64 vcc, exec, s[4:5]
	s_cbranch_vccnz .LBB12_107
; %bb.102:
	v_cmp_gt_i16_sdwa s[4:5], v35, v2 src0_sel:BYTE_0 src1_sel:DWORD
	s_and_b64 vcc, exec, s[4:5]
	s_cbranch_vccz .LBB12_104
; %bb.103:
	v_mov_b32_e32 v2, 0
	v_mov_b32_e32 v3, v2
	global_store_dwordx4 v[4:5], v[0:3], off
	s_mov_b64 s[2:3], 0
.LBB12_104:
	s_andn2_b64 vcc, exec, s[2:3]
	s_cbranch_vccnz .LBB12_106
; %bb.105:
	v_cvt_f32_f64_e32 v2, v[0:1]
	v_mov_b32_e32 v3, 0
	global_store_dwordx2 v[4:5], v[2:3], off
.LBB12_106:
	s_mov_b64 s[2:3], 0
.LBB12_107:
	s_andn2_b64 vcc, exec, s[2:3]
	s_cbranch_vccnz .LBB12_109
; %bb.108:
	v_cvt_f32_f64_e32 v2, v[0:1]
	v_cvt_f16_f32_e32 v2, v2
	global_store_dword v[4:5], v2, off
.LBB12_109:
	s_mov_b64 s[2:3], 0
.LBB12_110:
	s_andn2_b64 vcc, exec, s[2:3]
	s_cbranch_vccnz .LBB12_119
; %bb.111:
	v_mov_b32_e32 v2, 6
	v_cmp_lt_i16_sdwa s[4:5], v35, v2 src0_sel:BYTE_0 src1_sel:DWORD
	s_mov_b64 s[2:3], -1
	s_and_b64 vcc, exec, s[4:5]
	s_cbranch_vccnz .LBB12_117
; %bb.112:
	v_cmp_gt_i16_sdwa s[4:5], v35, v2 src0_sel:BYTE_0 src1_sel:DWORD
	s_and_b64 vcc, exec, s[4:5]
	s_cbranch_vccz .LBB12_114
; %bb.113:
	global_store_dwordx2 v[4:5], v[0:1], off
	s_mov_b64 s[2:3], 0
.LBB12_114:
	s_andn2_b64 vcc, exec, s[2:3]
	s_cbranch_vccnz .LBB12_116
; %bb.115:
	v_cvt_f32_f64_e32 v2, v[0:1]
	global_store_dword v[4:5], v2, off
.LBB12_116:
	s_mov_b64 s[2:3], 0
.LBB12_117:
	s_andn2_b64 vcc, exec, s[2:3]
	s_cbranch_vccnz .LBB12_119
; %bb.118:
	v_cvt_f32_f64_e32 v2, v[0:1]
	v_cvt_f16_f32_e32 v2, v2
	global_store_short v[4:5], v2, off
.LBB12_119:
	s_mov_b64 s[2:3], 0
.LBB12_120:
	s_andn2_b64 vcc, exec, s[2:3]
	s_cbranch_vccnz .LBB12_136
; %bb.121:
	v_mov_b32_e32 v2, 2
	v_cmp_lt_i16_sdwa s[4:5], v35, v2 src0_sel:BYTE_0 src1_sel:DWORD
	s_mov_b64 s[2:3], -1
	s_and_b64 vcc, exec, s[4:5]
	s_cbranch_vccnz .LBB12_131
; %bb.122:
	v_mov_b32_e32 v2, 3
	v_cmp_lt_i16_sdwa s[4:5], v35, v2 src0_sel:BYTE_0 src1_sel:DWORD
	s_and_b64 vcc, exec, s[4:5]
	s_cbranch_vccnz .LBB12_128
; %bb.123:
	v_cmp_gt_i16_sdwa s[4:5], v35, v2 src0_sel:BYTE_0 src1_sel:DWORD
	s_and_b64 vcc, exec, s[4:5]
	s_cbranch_vccz .LBB12_125
; %bb.124:
	v_trunc_f64_e32 v[2:3], v[0:1]
	s_movk_i32 s2, 0xffe0
	v_ldexp_f64 v[6:7], v[2:3], s2
	v_floor_f64_e32 v[6:7], v[6:7]
	v_fmac_f64_e32 v[2:3], 0xc1f00000, v[6:7]
	v_cvt_i32_f64_e32 v9, v[6:7]
	v_cvt_u32_f64_e32 v8, v[2:3]
	global_store_dwordx2 v[4:5], v[8:9], off
	s_mov_b64 s[2:3], 0
.LBB12_125:
	s_andn2_b64 vcc, exec, s[2:3]
	s_cbranch_vccnz .LBB12_127
; %bb.126:
	v_cvt_i32_f64_e32 v2, v[0:1]
	global_store_dword v[4:5], v2, off
.LBB12_127:
	s_mov_b64 s[2:3], 0
.LBB12_128:
	s_andn2_b64 vcc, exec, s[2:3]
	s_cbranch_vccnz .LBB12_130
; %bb.129:
	v_cvt_i32_f64_e32 v2, v[0:1]
	global_store_short v[4:5], v2, off
.LBB12_130:
	s_mov_b64 s[2:3], 0
.LBB12_131:
	s_andn2_b64 vcc, exec, s[2:3]
	s_cbranch_vccnz .LBB12_136
; %bb.132:
	v_mov_b32_e32 v2, 0
	v_cmp_gt_i16_sdwa s[4:5], v35, v2 src0_sel:BYTE_0 src1_sel:DWORD
	s_mov_b64 s[2:3], -1
	s_and_b64 vcc, exec, s[4:5]
	s_cbranch_vccz .LBB12_134
; %bb.133:
	v_cvt_i32_f64_e32 v2, v[0:1]
	global_store_byte v[4:5], v2, off
	s_mov_b64 s[2:3], 0
.LBB12_134:
	s_andn2_b64 vcc, exec, s[2:3]
	s_cbranch_vccnz .LBB12_136
; %bb.135:
	v_trunc_f64_e32 v[0:1], v[0:1]
	s_movk_i32 s2, 0xffe0
	v_ldexp_f64 v[2:3], v[0:1], s2
	v_floor_f64_e32 v[2:3], v[2:3]
	v_fmac_f64_e32 v[0:1], 0xc1f00000, v[2:3]
	v_cvt_u32_f64_e32 v0, v[0:1]
	global_store_byte v[4:5], v0, off
.LBB12_136:
	s_branch .LBB12_26
.LBB12_137:
	s_mov_b64 s[2:3], 0
                                        ; implicit-def: $vgpr38
.LBB12_138:
	s_and_b64 s[64:65], s[0:1], exec
	s_orn2_b64 s[0:1], s[2:3], exec
.LBB12_139:
	s_or_b64 exec, exec, s[66:67]
	s_mov_b64 s[2:3], 0
                                        ; implicit-def: $vgpr6
                                        ; implicit-def: $vgpr4_vgpr5
                                        ; implicit-def: $vgpr0_vgpr1
	s_and_saveexec_b64 s[66:67], s[0:1]
	s_cbranch_execz .LBB12_147
; %bb.140:
	v_cmp_gt_i32_e32 vcc, s76, v38
	s_mov_b64 s[4:5], -1
	s_mov_b64 s[68:69], s[64:65]
	s_and_saveexec_b64 s[70:71], vcc
	s_cbranch_execz .LBB12_286
; %bb.141:
	s_andn2_b64 vcc, exec, s[52:53]
	s_cbranch_vccnz .LBB12_150
; %bb.142:
	s_mov_b32 s20, 0
	s_andn2_b64 vcc, exec, s[62:63]
	v_mov_b32_e32 v2, 0
	v_mov_b32_e32 v36, 0
	s_cbranch_vccnz .LBB12_156
; %bb.143:
	s_add_i32 s26, s79, 1
	s_cmp_eq_u32 s78, 2
	s_cbranch_scc1 .LBB12_151
; %bb.144:
	s_and_b32 s20, s26, 28
	s_mov_b32 s21, 0
	v_mov_b32_e32 v36, 0
	s_mov_b64 s[22:23], s[48:49]
	s_mov_b64 s[24:25], s[60:61]
	v_mov_b32_e32 v0, v38
	v_mov_b32_e32 v2, 0
.LBB12_145:                             ; =>This Inner Loop Header: Depth=1
	s_load_dwordx8 s[8:15], s[22:23], 0x4
	s_load_dwordx4 s[16:19], s[22:23], 0x24
	s_load_dwordx8 s[0:7], s[24:25], 0x0
	s_add_u32 s22, s22, 48
	s_addc_u32 s23, s23, 0
	s_waitcnt lgkmcnt(0)
	v_mul_hi_u32 v1, s9, v0
	v_add_u32_e32 v1, v0, v1
	v_lshrrev_b32_e32 v1, s10, v1
	v_mul_lo_u32 v3, v1, s8
	v_mul_hi_u32 v4, s12, v1
	v_sub_u32_e32 v0, v0, v3
	v_add_u32_e32 v3, v1, v4
	v_lshrrev_b32_e32 v3, s13, v3
	v_mul_lo_u32 v5, v3, s11
	v_mul_hi_u32 v6, s15, v3
	v_sub_u32_e32 v1, v1, v5
	v_add_u32_e32 v5, v3, v6
	v_mul_lo_u32 v4, v0, s1
	v_mul_lo_u32 v0, v0, s0
	;; [unrolled: 1-line block ×4, first 2 shown]
	v_lshrrev_b32_e32 v5, s16, v5
	v_add3_u32 v1, v0, v36, v1
	v_add3_u32 v2, v4, v2, v6
	v_mul_lo_u32 v0, v5, s14
	v_mul_hi_u32 v4, s18, v5
	v_sub_u32_e32 v0, v3, v0
	v_add_u32_e32 v3, v5, v4
	v_mul_lo_u32 v4, v0, s4
	v_mul_lo_u32 v6, v0, s5
	v_lshrrev_b32_e32 v0, s19, v3
	s_add_i32 s21, s21, 4
	v_mul_lo_u32 v3, v0, s17
	s_add_u32 s24, s24, 32
	v_sub_u32_e32 v3, v5, v3
	s_addc_u32 s25, s25, 0
	v_mul_lo_u32 v5, v3, s6
	v_mul_lo_u32 v3, v3, s7
	s_cmp_eq_u32 s20, s21
	v_add3_u32 v2, v6, v2, v3
	v_add3_u32 v36, v4, v1, v5
	s_cbranch_scc0 .LBB12_145
; %bb.146:
	v_mov_b32_e32 v37, v2
	s_branch .LBB12_152
.LBB12_147:
	s_or_b64 exec, exec, s[66:67]
	s_mov_b64 s[0:1], 0
	s_and_saveexec_b64 s[4:5], s[64:65]
	s_cbranch_execnz .LBB12_534
.LBB12_148:
	s_or_b64 exec, exec, s[4:5]
	s_and_saveexec_b64 s[4:5], s[70:71]
	s_xor_b64 s[4:5], exec, s[4:5]
	s_cbranch_execz .LBB12_535
.LBB12_149:
	v_cmp_neq_f64_e32 vcc, 0, v[0:1]
	s_nop 1
	v_cndmask_b32_e64 v2, 0, 1, vcc
	global_store_byte v[4:5], v2, off
	s_or_b64 exec, exec, s[4:5]
	s_and_saveexec_b64 s[4:5], s[2:3]
	s_xor_b64 s[2:3], exec, s[4:5]
	s_cbranch_execz .LBB12_573
	s_branch .LBB12_536
.LBB12_150:
                                        ; implicit-def: $vgpr2
                                        ; implicit-def: $vgpr36
	s_branch .LBB12_157
.LBB12_151:
	s_mov_b32 s21, s20
	v_mov_b64_e32 v[36:37], s[20:21]
                                        ; implicit-def: $vgpr2
	v_mov_b32_e32 v0, v38
.LBB12_152:
	s_and_b32 s4, s26, 3
	s_cmp_eq_u32 s4, 0
	s_cbranch_scc1 .LBB12_156
; %bb.153:
	s_lshl_b32 s0, s20, 3
	s_add_u32 s0, s0, s48
	s_addc_u32 s1, s49, 0
	s_add_u32 s0, s0, 0xc4
	s_addc_u32 s1, s1, 0
	s_mul_i32 s2, s20, 12
	s_add_u32 s2, s48, s2
	s_addc_u32 s3, s49, 0
.LBB12_154:                             ; =>This Inner Loop Header: Depth=1
	s_load_dwordx2 s[6:7], s[2:3], 0x4
	s_load_dword s5, s[2:3], 0xc
	s_load_dwordx2 s[8:9], s[0:1], 0x0
	s_add_u32 s2, s2, 12
	s_addc_u32 s3, s3, 0
	s_waitcnt lgkmcnt(0)
	v_mul_hi_u32 v1, s7, v0
	v_add_u32_e32 v1, v0, v1
	v_lshrrev_b32_e32 v1, s5, v1
	v_mul_lo_u32 v3, v1, s6
	v_mov_b32_e32 v2, v37
	s_add_u32 s0, s0, 8
	v_sub_u32_e32 v4, v0, v3
	s_addc_u32 s1, s1, 0
	s_add_i32 s4, s4, -1
	v_mad_u64_u32 v[2:3], s[6:7], v4, s9, v[2:3]
	v_mad_u64_u32 v[36:37], s[6:7], v4, s8, v[36:37]
	s_cmp_lg_u32 s4, 0
	v_mov_b32_e32 v0, v1
	v_mov_b32_e32 v37, v2
	s_cbranch_scc1 .LBB12_154
; %bb.155:
	v_mov_b32_e32 v2, v37
.LBB12_156:
	s_cbranch_execnz .LBB12_159
.LBB12_157:
	s_waitcnt lgkmcnt(0)
	v_mul_hi_u32 v0, s45, v38
	v_add_u32_e32 v0, v38, v0
	v_lshrrev_b32_e32 v0, s46, v0
	v_mul_lo_u32 v1, v0, s44
	v_sub_u32_e32 v1, v38, v1
	v_mul_lo_u32 v2, v1, s41
	s_andn2_b64 vcc, exec, s[58:59]
	v_mul_lo_u32 v36, v1, s40
	s_cbranch_vccnz .LBB12_159
; %bb.158:
	v_mul_hi_u32 v1, s56, v0
	v_add_u32_e32 v1, v0, v1
	v_lshrrev_b32_e32 v1, s57, v1
	v_mul_lo_u32 v1, v1, s47
	v_sub_u32_e32 v0, v0, v1
	v_mad_u64_u32 v[36:37], s[0:1], v0, s42, v[36:37]
	v_mad_u64_u32 v[2:3], s[0:1], v0, s43, v[2:3]
.LBB12_159:
	s_waitcnt lgkmcnt(0)
	v_mov_b32_e32 v0, s38
	v_mov_b32_e32 v1, s39
	;; [unrolled: 1-line block ×3, first 2 shown]
	s_getpc_b64 s[0:1]
	s_add_u32 s0, s0, _ZN2at6native6invokeIZZZNS0_12_GLOBAL__N_121bessel_y0_kernel_cudaERNS_18TensorIteratorBaseEENKUlvE_clEvENKUlvE_clEvEUldE_j15function_traitsIS7_EEENT1_11result_typeERKT_PrKPcPKT0_PKN3c1010ScalarTypeEi@rel32@lo+4
	s_addc_u32 s1, s1, _ZN2at6native6invokeIZZZNS0_12_GLOBAL__N_121bessel_y0_kernel_cudaERNS_18TensorIteratorBaseEENKUlvE_clEvENKUlvE_clEvEUldE_j15function_traitsIS7_EEENT1_11result_typeERKT_PrKPcPKT0_PKN3c1010ScalarTypeEi@rel32@hi+12
	s_swappc_b64 s[30:31], s[0:1]
	v_mov_b32_e32 v2, 11
	v_mov_b32_e32 v37, 0
	v_cmp_lt_i16_sdwa s[0:1], v35, v2 src0_sel:BYTE_0 src1_sel:DWORD
	v_lshl_add_u64 v[4:5], s[36:37], 0, v[36:37]
	s_and_b64 vcc, exec, s[0:1]
	s_cbranch_vccnz .LBB12_166
; %bb.160:
	v_mov_b32_e32 v2, 25
	v_cmp_gt_i16_sdwa s[0:1], v35, v2 src0_sel:BYTE_0 src1_sel:DWORD
	s_and_b64 vcc, exec, s[0:1]
	s_cbranch_vccz .LBB12_169
; %bb.161:
	v_mov_b32_e32 v2, 28
	v_cmp_gt_i16_sdwa s[0:1], v35, v2 src0_sel:BYTE_0 src1_sel:DWORD
	s_and_b64 vcc, exec, s[0:1]
	s_cbranch_vccz .LBB12_170
	;; [unrolled: 5-line block ×4, first 2 shown]
; %bb.164:
	v_mov_b32_e32 v2, 46
	v_cmp_eq_u16_sdwa s[2:3], v35, v2 src0_sel:BYTE_0 src1_sel:DWORD
	s_mov_b64 s[4:5], 0
	s_mov_b64 s[0:1], -1
	s_and_b64 vcc, exec, s[2:3]
	s_mov_b64 s[2:3], 0
	s_cbranch_vccz .LBB12_177
; %bb.165:
	v_cvt_f32_f64_e32 v2, v[0:1]
	v_bfe_u32 v3, v2, 16, 1
	s_movk_i32 s0, 0x7fff
	v_add3_u32 v3, v2, v3, s0
	v_lshrrev_b32_e32 v3, 16, v3
	v_mov_b32_e32 v6, 0x7fc0
	v_cmp_o_f32_e32 vcc, v2, v2
	s_mov_b64 s[2:3], -1
	s_mov_b64 s[0:1], 0
	v_cndmask_b32_e32 v2, v6, v3, vcc
	global_store_dword v[4:5], v2, off
	s_branch .LBB12_177
.LBB12_166:
	s_mov_b64 s[2:3], 0
	s_mov_b64 s[0:1], s[64:65]
	s_cbranch_execnz .LBB12_246
.LBB12_167:
	s_andn2_b64 vcc, exec, s[2:3]
	s_cbranch_vccnz .LBB12_284
.LBB12_168:
	v_add_u32_e32 v38, 0x80, v38
	s_mov_b64 s[2:3], -1
	s_branch .LBB12_285
.LBB12_169:
	s_mov_b64 s[4:5], -1
	s_mov_b64 s[2:3], 0
	s_mov_b64 s[0:1], s[64:65]
	s_branch .LBB12_204
.LBB12_170:
	s_mov_b64 s[4:5], -1
	s_mov_b64 s[2:3], 0
	s_mov_b64 s[0:1], s[64:65]
	s_branch .LBB12_187
.LBB12_171:
	s_or_saveexec_b64 s[6:7], s[6:7]
                                        ; implicit-def: $sgpr8
	s_xor_b64 exec, exec, s[6:7]
	s_cbranch_execz .LBB12_52
.LBB12_172:
	s_mov_b32 s8, 0x46000000
	v_add_f32_e64 v3, |v2|, s8
	v_and_b32_e32 v3, 0xff, v3
	v_cmp_ne_u32_e32 vcc, 0, v3
	s_andn2_b64 s[4:5], s[4:5], exec
	s_and_b64 s[10:11], vcc, exec
	s_mov_b32 s8, 0
	s_or_b64 s[4:5], s[4:5], s[10:11]
	s_or_b64 exec, exec, s[6:7]
	v_mov_b32_e32 v6, s8
	s_and_saveexec_b64 s[6:7], s[4:5]
	s_cbranch_execnz .LBB12_53
	s_branch .LBB12_54
.LBB12_173:
	s_mov_b64 s[4:5], -1
	s_mov_b64 s[2:3], 0
	s_mov_b64 s[0:1], s[64:65]
	s_branch .LBB12_183
.LBB12_174:
	s_or_saveexec_b64 s[6:7], s[6:7]
                                        ; implicit-def: $sgpr8
	s_xor_b64 exec, exec, s[6:7]
	s_cbranch_execz .LBB12_64
.LBB12_175:
	s_mov_b32 s8, 0x42800000
	v_add_f32_e64 v3, |v2|, s8
	v_and_b32_e32 v3, 0xff, v3
	v_cmp_ne_u32_e32 vcc, 0, v3
	s_andn2_b64 s[4:5], s[4:5], exec
	s_and_b64 s[10:11], vcc, exec
	s_mov_b32 s8, 0
	s_or_b64 s[4:5], s[4:5], s[10:11]
	s_or_b64 exec, exec, s[6:7]
	v_mov_b32_e32 v6, s8
	s_and_saveexec_b64 s[6:7], s[4:5]
	s_cbranch_execnz .LBB12_65
	s_branch .LBB12_66
.LBB12_176:
	s_mov_b64 s[4:5], -1
	s_mov_b64 s[2:3], 0
	s_mov_b64 s[0:1], s[64:65]
.LBB12_177:
	s_and_b64 vcc, exec, s[4:5]
	s_cbranch_vccz .LBB12_182
; %bb.178:
	v_mov_b32_e32 v2, 44
	v_cmp_eq_u16_sdwa s[4:5], v35, v2 src0_sel:BYTE_0 src1_sel:DWORD
	s_mov_b64 s[0:1], -1
	s_and_b64 vcc, exec, s[4:5]
	s_cbranch_vccz .LBB12_182
; %bb.179:
	v_cvt_f32_f64_e32 v2, v[0:1]
	v_bfe_u32 v3, v2, 23, 8
	s_movk_i32 s0, 0xff
	v_cmp_ne_u32_e32 vcc, s0, v3
	v_mov_b32_e32 v6, 0xff
	s_and_saveexec_b64 s[2:3], vcc
; %bb.180:
	s_mov_b32 s0, 0x3fffff
	v_lshrrev_b32_e32 v6, 23, v2
	v_and_b32_e32 v7, 0x400000, v2
	v_and_or_b32 v2, v2, s0, v3
	v_cmp_ne_u32_e32 vcc, 0, v7
	v_cmp_ne_u32_e64 s[0:1], 0, v2
	s_and_b64 s[0:1], vcc, s[0:1]
	s_nop 0
	v_cndmask_b32_e64 v2, 0, 1, s[0:1]
	v_add_u32_e32 v6, v6, v2
; %bb.181:
	s_or_b64 exec, exec, s[2:3]
	s_mov_b64 s[2:3], -1
	s_mov_b64 s[0:1], 0
	global_store_byte v[4:5], v6, off
.LBB12_182:
	s_mov_b64 s[4:5], 0
.LBB12_183:
	s_and_b64 vcc, exec, s[4:5]
	s_cbranch_vccz .LBB12_186
; %bb.184:
	v_mov_b32_e32 v2, 29
	v_cmp_eq_u16_sdwa s[4:5], v35, v2 src0_sel:BYTE_0 src1_sel:DWORD
	s_mov_b64 s[0:1], -1
	s_and_b64 vcc, exec, s[4:5]
	s_cbranch_vccz .LBB12_186
; %bb.185:
	v_trunc_f64_e32 v[2:3], v[0:1]
	s_movk_i32 s0, 0xffe0
	v_ldexp_f64 v[6:7], v[2:3], s0
	v_floor_f64_e32 v[6:7], v[6:7]
	v_fmac_f64_e32 v[2:3], 0xc1f00000, v[6:7]
	v_cvt_u32_f64_e32 v9, v[6:7]
	v_cvt_u32_f64_e32 v8, v[2:3]
	global_store_dwordx2 v[4:5], v[8:9], off
	s_mov_b64 s[2:3], -1
	s_mov_b64 s[0:1], 0
.LBB12_186:
	s_mov_b64 s[4:5], 0
.LBB12_187:
	s_and_b64 vcc, exec, s[4:5]
	s_cbranch_vccz .LBB12_203
; %bb.188:
	v_mov_b32_e32 v2, 27
	v_cmp_lt_i16_sdwa s[4:5], v35, v2 src0_sel:BYTE_0 src1_sel:DWORD
	s_mov_b64 s[2:3], -1
	s_and_b64 vcc, exec, s[4:5]
	s_cbranch_vccnz .LBB12_194
; %bb.189:
	v_cmp_gt_i16_sdwa s[4:5], v35, v2 src0_sel:BYTE_0 src1_sel:DWORD
	s_and_b64 vcc, exec, s[4:5]
	v_cvt_u32_f64_e32 v2, v[0:1]
	s_cbranch_vccz .LBB12_191
; %bb.190:
	s_mov_b64 s[2:3], 0
	global_store_dword v[4:5], v2, off
.LBB12_191:
	s_andn2_b64 vcc, exec, s[2:3]
	s_cbranch_vccnz .LBB12_193
; %bb.192:
	global_store_short v[4:5], v2, off
.LBB12_193:
	s_mov_b64 s[2:3], 0
.LBB12_194:
	s_andn2_b64 vcc, exec, s[2:3]
	s_cbranch_vccnz .LBB12_202
; %bb.195:
	v_cvt_f32_f64_e32 v2, v[0:1]
	v_and_b32_e32 v3, 0x7fffffff, v2
	s_mov_b32 s2, 0x43800000
	v_cmp_gt_u32_e32 vcc, s2, v3
	v_mov_b32_e32 v6, 0x80
	s_and_saveexec_b64 s[2:3], vcc
	s_cbranch_execz .LBB12_201
; %bb.196:
	s_mov_b32 s4, 0x3bffffff
	v_cmp_lt_u32_e32 vcc, s4, v3
	s_mov_b64 s[4:5], 0
                                        ; implicit-def: $vgpr3
	s_and_saveexec_b64 s[6:7], vcc
	s_xor_b64 s[6:7], exec, s[6:7]
	s_cbranch_execz .LBB12_314
; %bb.197:
	v_bfe_u32 v3, v2, 20, 1
	s_mov_b32 s8, 0x487ffff
	v_add3_u32 v3, v2, v3, s8
	s_mov_b64 s[4:5], exec
	v_lshrrev_b32_e32 v3, 20, v3
	s_or_saveexec_b64 s[6:7], s[6:7]
                                        ; implicit-def: $sgpr8
	s_xor_b64 exec, exec, s[6:7]
	s_cbranch_execnz .LBB12_315
.LBB12_198:
	s_or_b64 exec, exec, s[6:7]
	v_mov_b32_e32 v6, s8
	s_and_saveexec_b64 s[6:7], s[4:5]
.LBB12_199:
	v_lshrrev_b32_e32 v2, 24, v2
	s_movk_i32 s4, 0x80
	v_and_or_b32 v6, v2, s4, v3
.LBB12_200:
	s_or_b64 exec, exec, s[6:7]
.LBB12_201:
	s_or_b64 exec, exec, s[2:3]
	global_store_byte v[4:5], v6, off
.LBB12_202:
	s_mov_b64 s[2:3], -1
.LBB12_203:
	s_mov_b64 s[4:5], 0
.LBB12_204:
	s_and_b64 vcc, exec, s[4:5]
	s_cbranch_vccz .LBB12_245
; %bb.205:
	v_mov_b32_e32 v2, 22
	v_cmp_gt_i16_sdwa s[6:7], v35, v2 src0_sel:BYTE_0 src1_sel:DWORD
	s_mov_b64 s[4:5], -1
	s_and_b64 vcc, exec, s[6:7]
	s_cbranch_vccz .LBB12_237
; %bb.206:
	v_mov_b32_e32 v2, 24
	v_cmp_lt_i16_sdwa s[4:5], v35, v2 src0_sel:BYTE_0 src1_sel:DWORD
	s_mov_b64 s[2:3], -1
	s_and_b64 vcc, exec, s[4:5]
	s_cbranch_vccnz .LBB12_226
; %bb.207:
	v_cmp_gt_i16_sdwa s[4:5], v35, v2 src0_sel:BYTE_0 src1_sel:DWORD
	s_and_b64 vcc, exec, s[4:5]
	s_cbranch_vccz .LBB12_215
; %bb.208:
	v_cvt_f32_f64_e32 v2, v[0:1]
	v_and_b32_e32 v3, 0x7fffffff, v2
	s_mov_b32 s2, 0x47800000
	v_cmp_gt_u32_e32 vcc, s2, v3
	v_mov_b32_e32 v6, 0x80
	s_and_saveexec_b64 s[2:3], vcc
	s_cbranch_execz .LBB12_214
; %bb.209:
	s_mov_b32 s4, 0x37ffffff
	v_cmp_lt_u32_e32 vcc, s4, v3
	s_mov_b64 s[4:5], 0
                                        ; implicit-def: $vgpr3
	s_and_saveexec_b64 s[6:7], vcc
	s_xor_b64 s[6:7], exec, s[6:7]
	s_cbranch_execz .LBB12_317
; %bb.210:
	v_bfe_u32 v3, v2, 21, 1
	s_mov_b32 s8, 0x88fffff
	v_add3_u32 v3, v2, v3, s8
	s_mov_b64 s[4:5], exec
	v_lshrrev_b32_e32 v3, 21, v3
	s_or_saveexec_b64 s[6:7], s[6:7]
                                        ; implicit-def: $sgpr8
	s_xor_b64 exec, exec, s[6:7]
	s_cbranch_execnz .LBB12_318
.LBB12_211:
	s_or_b64 exec, exec, s[6:7]
	v_mov_b32_e32 v6, s8
	s_and_saveexec_b64 s[6:7], s[4:5]
.LBB12_212:
	v_lshrrev_b32_e32 v2, 24, v2
	s_movk_i32 s4, 0x80
	v_and_or_b32 v6, v2, s4, v3
.LBB12_213:
	s_or_b64 exec, exec, s[6:7]
.LBB12_214:
	s_or_b64 exec, exec, s[2:3]
	s_mov_b64 s[2:3], 0
	global_store_byte v[4:5], v6, off
.LBB12_215:
	s_and_b64 vcc, exec, s[2:3]
	s_cbranch_vccz .LBB12_225
; %bb.216:
	v_cvt_f32_f64_e32 v2, v[0:1]
	v_and_b32_e32 v6, 0x7fffffff, v2
	s_mov_b32 s2, 0x43f00000
	v_cmp_gt_u32_e32 vcc, s2, v6
                                        ; implicit-def: $vgpr3
	s_and_saveexec_b64 s[2:3], vcc
	s_xor_b64 s[2:3], exec, s[2:3]
	s_cbranch_execz .LBB12_222
; %bb.217:
	s_mov_b32 s4, 0x3c7fffff
	v_cmp_lt_u32_e32 vcc, s4, v6
                                        ; implicit-def: $vgpr3
	s_and_saveexec_b64 s[4:5], vcc
	s_xor_b64 s[4:5], exec, s[4:5]
; %bb.218:
	v_bfe_u32 v3, v2, 20, 1
	s_mov_b32 s6, 0x407ffff
	v_add3_u32 v3, v2, v3, s6
	v_lshrrev_b32_e32 v6, 20, v3
	v_and_b32_e32 v3, 0xff00000, v3
	s_mov_b32 s6, 0x7f00000
	v_mov_b32_e32 v7, 0x7e
	v_cmp_ne_u32_e32 vcc, s6, v3
	s_nop 1
	v_cndmask_b32_e32 v3, v7, v6, vcc
; %bb.219:
	s_andn2_saveexec_b64 s[4:5], s[4:5]
; %bb.220:
	s_mov_b32 s6, 0x46800000
	v_add_f32_e64 v3, |v2|, s6
; %bb.221:
	s_or_b64 exec, exec, s[4:5]
                                        ; implicit-def: $vgpr6
.LBB12_222:
	s_andn2_saveexec_b64 s[2:3], s[2:3]
; %bb.223:
	s_mov_b32 s4, 0x7f800000
	v_mov_b32_e32 v3, 0x7e
	v_mov_b32_e32 v7, 0x7f
	v_cmp_lt_u32_e32 vcc, s4, v6
	s_nop 1
	v_cndmask_b32_e32 v3, v3, v7, vcc
; %bb.224:
	s_or_b64 exec, exec, s[2:3]
	v_lshrrev_b32_e32 v2, 24, v2
	s_movk_i32 s2, 0x80
	v_and_or_b32 v2, v2, s2, v3
	global_store_byte v[4:5], v2, off
.LBB12_225:
	s_mov_b64 s[2:3], 0
.LBB12_226:
	s_andn2_b64 vcc, exec, s[2:3]
	s_cbranch_vccnz .LBB12_236
; %bb.227:
	v_cvt_f32_f64_e32 v2, v[0:1]
	v_and_b32_e32 v6, 0x7fffffff, v2
	s_mov_b32 s2, 0x47800000
	v_cmp_gt_u32_e32 vcc, s2, v6
                                        ; implicit-def: $vgpr3
	s_and_saveexec_b64 s[2:3], vcc
	s_xor_b64 s[2:3], exec, s[2:3]
	s_cbranch_execz .LBB12_233
; %bb.228:
	s_mov_b32 s4, 0x387fffff
	v_cmp_lt_u32_e32 vcc, s4, v6
                                        ; implicit-def: $vgpr3
	s_and_saveexec_b64 s[4:5], vcc
	s_xor_b64 s[4:5], exec, s[4:5]
; %bb.229:
	v_bfe_u32 v3, v2, 21, 1
	s_mov_b32 s6, 0x80fffff
	v_add3_u32 v3, v2, v3, s6
	v_lshrrev_b32_e32 v3, 21, v3
; %bb.230:
	s_andn2_saveexec_b64 s[4:5], s[4:5]
; %bb.231:
	s_mov_b32 s6, 0x43000000
	v_add_f32_e64 v3, |v2|, s6
; %bb.232:
	s_or_b64 exec, exec, s[4:5]
                                        ; implicit-def: $vgpr6
.LBB12_233:
	s_andn2_saveexec_b64 s[2:3], s[2:3]
; %bb.234:
	s_mov_b32 s4, 0x7f800000
	v_mov_b32_e32 v3, 0x7c
	v_mov_b32_e32 v7, 0x7f
	v_cmp_lt_u32_e32 vcc, s4, v6
	s_nop 1
	v_cndmask_b32_e32 v3, v3, v7, vcc
; %bb.235:
	s_or_b64 exec, exec, s[2:3]
	v_lshrrev_b32_e32 v2, 24, v2
	s_movk_i32 s2, 0x80
	v_and_or_b32 v2, v2, s2, v3
	global_store_byte v[4:5], v2, off
.LBB12_236:
	s_mov_b64 s[4:5], 0
	s_mov_b64 s[2:3], -1
.LBB12_237:
	s_andn2_b64 vcc, exec, s[4:5]
	s_cbranch_vccnz .LBB12_245
; %bb.238:
	v_mov_b32_e32 v2, 14
	v_cmp_gt_i16_sdwa s[6:7], v35, v2 src0_sel:BYTE_0 src1_sel:DWORD
	s_mov_b64 s[4:5], -1
	s_and_b64 vcc, exec, s[6:7]
	s_cbranch_vccz .LBB12_242
; %bb.239:
	v_mov_b32_e32 v2, 15
	v_cmp_eq_u16_sdwa s[4:5], v35, v2 src0_sel:BYTE_0 src1_sel:DWORD
	s_mov_b64 s[0:1], -1
	s_and_b64 vcc, exec, s[4:5]
	s_cbranch_vccz .LBB12_241
; %bb.240:
	v_cvt_f32_f64_e32 v2, v[0:1]
	v_bfe_u32 v3, v2, 16, 1
	s_movk_i32 s0, 0x7fff
	v_add3_u32 v3, v2, v3, s0
	v_lshrrev_b32_e32 v3, 16, v3
	v_mov_b32_e32 v6, 0x7fc0
	v_cmp_o_f32_e32 vcc, v2, v2
	s_mov_b64 s[2:3], -1
	s_mov_b64 s[0:1], 0
	v_cndmask_b32_e32 v2, v6, v3, vcc
	global_store_short v[4:5], v2, off
.LBB12_241:
	s_mov_b64 s[4:5], 0
.LBB12_242:
	s_and_b64 vcc, exec, s[4:5]
	s_cbranch_vccz .LBB12_245
; %bb.243:
	v_mov_b32_e32 v2, 11
	v_cmp_eq_u16_sdwa s[4:5], v35, v2 src0_sel:BYTE_0 src1_sel:DWORD
	s_mov_b64 s[0:1], -1
	s_and_b64 vcc, exec, s[4:5]
	s_cbranch_vccz .LBB12_245
; %bb.244:
	v_cmp_neq_f64_e32 vcc, 0, v[0:1]
	s_mov_b64 s[0:1], 0
	s_mov_b64 s[2:3], -1
	v_cndmask_b32_e64 v2, 0, 1, vcc
	global_store_byte v[4:5], v2, off
.LBB12_245:
	s_branch .LBB12_167
.LBB12_246:
	v_mov_b32_e32 v2, 5
	v_cmp_lt_i16_sdwa s[4:5], v35, v2 src0_sel:BYTE_0 src1_sel:DWORD
	s_mov_b64 s[2:3], -1
	s_and_b64 vcc, exec, s[4:5]
	s_cbranch_vccnz .LBB12_267
; %bb.247:
	v_mov_b32_e32 v2, 8
	v_cmp_lt_i16_sdwa s[4:5], v35, v2 src0_sel:BYTE_0 src1_sel:DWORD
	s_and_b64 vcc, exec, s[4:5]
	s_cbranch_vccnz .LBB12_257
; %bb.248:
	v_mov_b32_e32 v2, 9
	v_cmp_lt_i16_sdwa s[4:5], v35, v2 src0_sel:BYTE_0 src1_sel:DWORD
	s_and_b64 vcc, exec, s[4:5]
	s_cbranch_vccnz .LBB12_254
; %bb.249:
	v_cmp_gt_i16_sdwa s[4:5], v35, v2 src0_sel:BYTE_0 src1_sel:DWORD
	s_and_b64 vcc, exec, s[4:5]
	s_cbranch_vccz .LBB12_251
; %bb.250:
	v_mov_b32_e32 v2, 0
	v_mov_b32_e32 v3, v2
	s_mov_b64 s[2:3], 0
	global_store_dwordx4 v[4:5], v[0:3], off
.LBB12_251:
	s_andn2_b64 vcc, exec, s[2:3]
	s_cbranch_vccnz .LBB12_253
; %bb.252:
	v_cvt_f32_f64_e32 v2, v[0:1]
	v_mov_b32_e32 v3, 0
	global_store_dwordx2 v[4:5], v[2:3], off
.LBB12_253:
	s_mov_b64 s[2:3], 0
.LBB12_254:
	s_andn2_b64 vcc, exec, s[2:3]
	s_cbranch_vccnz .LBB12_256
; %bb.255:
	v_cvt_f32_f64_e32 v2, v[0:1]
	v_cvt_f16_f32_e32 v2, v2
	global_store_dword v[4:5], v2, off
.LBB12_256:
	s_mov_b64 s[2:3], 0
.LBB12_257:
	s_andn2_b64 vcc, exec, s[2:3]
	s_cbranch_vccnz .LBB12_266
; %bb.258:
	v_mov_b32_e32 v2, 6
	v_cmp_lt_i16_sdwa s[4:5], v35, v2 src0_sel:BYTE_0 src1_sel:DWORD
	s_mov_b64 s[2:3], -1
	s_and_b64 vcc, exec, s[4:5]
	s_cbranch_vccnz .LBB12_264
; %bb.259:
	v_cmp_gt_i16_sdwa s[4:5], v35, v2 src0_sel:BYTE_0 src1_sel:DWORD
	s_and_b64 vcc, exec, s[4:5]
	s_cbranch_vccz .LBB12_261
; %bb.260:
	s_mov_b64 s[2:3], 0
	global_store_dwordx2 v[4:5], v[0:1], off
.LBB12_261:
	s_andn2_b64 vcc, exec, s[2:3]
	s_cbranch_vccnz .LBB12_263
; %bb.262:
	v_cvt_f32_f64_e32 v2, v[0:1]
	global_store_dword v[4:5], v2, off
.LBB12_263:
	s_mov_b64 s[2:3], 0
.LBB12_264:
	s_andn2_b64 vcc, exec, s[2:3]
	s_cbranch_vccnz .LBB12_266
; %bb.265:
	v_cvt_f32_f64_e32 v2, v[0:1]
	v_cvt_f16_f32_e32 v2, v2
	global_store_short v[4:5], v2, off
.LBB12_266:
	s_mov_b64 s[2:3], 0
.LBB12_267:
	s_andn2_b64 vcc, exec, s[2:3]
	s_cbranch_vccnz .LBB12_283
; %bb.268:
	v_mov_b32_e32 v2, 2
	v_cmp_lt_i16_sdwa s[4:5], v35, v2 src0_sel:BYTE_0 src1_sel:DWORD
	s_mov_b64 s[2:3], -1
	s_and_b64 vcc, exec, s[4:5]
	s_cbranch_vccnz .LBB12_278
; %bb.269:
	v_mov_b32_e32 v2, 3
	v_cmp_lt_i16_sdwa s[4:5], v35, v2 src0_sel:BYTE_0 src1_sel:DWORD
	s_and_b64 vcc, exec, s[4:5]
	s_cbranch_vccnz .LBB12_275
; %bb.270:
	v_cmp_gt_i16_sdwa s[4:5], v35, v2 src0_sel:BYTE_0 src1_sel:DWORD
	s_and_b64 vcc, exec, s[4:5]
	s_cbranch_vccz .LBB12_272
; %bb.271:
	v_trunc_f64_e32 v[2:3], v[0:1]
	s_movk_i32 s2, 0xffe0
	v_ldexp_f64 v[6:7], v[2:3], s2
	v_floor_f64_e32 v[6:7], v[6:7]
	v_fmac_f64_e32 v[2:3], 0xc1f00000, v[6:7]
	v_cvt_i32_f64_e32 v9, v[6:7]
	v_cvt_u32_f64_e32 v8, v[2:3]
	s_mov_b64 s[2:3], 0
	global_store_dwordx2 v[4:5], v[8:9], off
.LBB12_272:
	s_andn2_b64 vcc, exec, s[2:3]
	s_cbranch_vccnz .LBB12_274
; %bb.273:
	v_cvt_i32_f64_e32 v2, v[0:1]
	global_store_dword v[4:5], v2, off
.LBB12_274:
	s_mov_b64 s[2:3], 0
.LBB12_275:
	s_andn2_b64 vcc, exec, s[2:3]
	s_cbranch_vccnz .LBB12_277
; %bb.276:
	v_cvt_i32_f64_e32 v2, v[0:1]
	global_store_short v[4:5], v2, off
.LBB12_277:
	s_mov_b64 s[2:3], 0
.LBB12_278:
	s_andn2_b64 vcc, exec, s[2:3]
	s_cbranch_vccnz .LBB12_283
; %bb.279:
	v_mov_b32_e32 v2, 0
	v_cmp_gt_i16_sdwa s[4:5], v35, v2 src0_sel:BYTE_0 src1_sel:DWORD
	s_mov_b64 s[2:3], -1
	s_and_b64 vcc, exec, s[4:5]
	s_cbranch_vccz .LBB12_281
; %bb.280:
	v_cvt_i32_f64_e32 v2, v[0:1]
	s_mov_b64 s[2:3], 0
	global_store_byte v[4:5], v2, off
.LBB12_281:
	s_andn2_b64 vcc, exec, s[2:3]
	s_cbranch_vccnz .LBB12_283
; %bb.282:
	v_trunc_f64_e32 v[0:1], v[0:1]
	s_movk_i32 s2, 0xffe0
	v_ldexp_f64 v[2:3], v[0:1], s2
	v_floor_f64_e32 v[2:3], v[2:3]
	v_fmac_f64_e32 v[0:1], 0xc1f00000, v[2:3]
	v_cvt_u32_f64_e32 v0, v[0:1]
	global_store_byte v[4:5], v0, off
.LBB12_283:
	s_branch .LBB12_168
.LBB12_284:
	s_mov_b64 s[2:3], 0
                                        ; implicit-def: $vgpr38
.LBB12_285:
	s_andn2_b64 s[4:5], s[64:65], exec
	s_and_b64 s[0:1], s[0:1], exec
	s_or_b64 s[68:69], s[4:5], s[0:1]
	s_orn2_b64 s[4:5], s[2:3], exec
.LBB12_286:
	s_or_b64 exec, exec, s[70:71]
	s_mov_b64 s[0:1], 0
	s_mov_b64 s[2:3], 0
                                        ; implicit-def: $vgpr6
                                        ; implicit-def: $vgpr4_vgpr5
                                        ; implicit-def: $vgpr0_vgpr1
	s_and_saveexec_b64 s[70:71], s[4:5]
	s_cbranch_execz .LBB12_533
; %bb.287:
	v_cmp_gt_i32_e32 vcc, s76, v38
	s_mov_b64 s[2:3], -1
	s_mov_b64 s[74:75], s[68:69]
	s_and_saveexec_b64 s[72:73], vcc
	s_cbranch_execz .LBB12_432
; %bb.288:
	s_andn2_b64 vcc, exec, s[52:53]
	s_cbranch_vccnz .LBB12_294
; %bb.289:
	s_mov_b32 s20, 0
	s_andn2_b64 vcc, exec, s[62:63]
	v_mov_b32_e32 v2, 0
	v_mov_b32_e32 v36, 0
	s_cbranch_vccnz .LBB12_300
; %bb.290:
	s_add_i32 s26, s79, 1
	s_cmp_eq_u32 s78, 2
	s_cbranch_scc1 .LBB12_295
; %bb.291:
	s_and_b32 s20, s26, 28
	s_mov_b32 s21, 0
	v_mov_b32_e32 v36, 0
	s_mov_b64 s[22:23], s[48:49]
	s_mov_b64 s[24:25], s[60:61]
	v_mov_b32_e32 v0, v38
	v_mov_b32_e32 v2, 0
.LBB12_292:                             ; =>This Inner Loop Header: Depth=1
	s_load_dwordx8 s[8:15], s[22:23], 0x4
	s_load_dwordx4 s[16:19], s[22:23], 0x24
	s_load_dwordx8 s[0:7], s[24:25], 0x0
	s_add_u32 s22, s22, 48
	s_addc_u32 s23, s23, 0
	s_waitcnt lgkmcnt(0)
	v_mul_hi_u32 v1, s9, v0
	v_add_u32_e32 v1, v0, v1
	v_lshrrev_b32_e32 v1, s10, v1
	v_mul_lo_u32 v3, v1, s8
	v_mul_hi_u32 v4, s12, v1
	v_sub_u32_e32 v0, v0, v3
	v_add_u32_e32 v3, v1, v4
	v_lshrrev_b32_e32 v3, s13, v3
	v_mul_lo_u32 v5, v3, s11
	v_mul_hi_u32 v6, s15, v3
	v_sub_u32_e32 v1, v1, v5
	v_add_u32_e32 v5, v3, v6
	v_mul_lo_u32 v4, v0, s1
	v_mul_lo_u32 v0, v0, s0
	v_mul_lo_u32 v6, v1, s3
	v_mul_lo_u32 v1, v1, s2
	v_lshrrev_b32_e32 v5, s16, v5
	v_add3_u32 v1, v0, v36, v1
	v_add3_u32 v2, v4, v2, v6
	v_mul_lo_u32 v0, v5, s14
	v_mul_hi_u32 v4, s18, v5
	v_sub_u32_e32 v0, v3, v0
	v_add_u32_e32 v3, v5, v4
	v_mul_lo_u32 v4, v0, s4
	v_mul_lo_u32 v6, v0, s5
	v_lshrrev_b32_e32 v0, s19, v3
	s_add_i32 s21, s21, 4
	v_mul_lo_u32 v3, v0, s17
	s_add_u32 s24, s24, 32
	v_sub_u32_e32 v3, v5, v3
	s_addc_u32 s25, s25, 0
	v_mul_lo_u32 v5, v3, s6
	v_mul_lo_u32 v3, v3, s7
	s_cmp_eq_u32 s20, s21
	v_add3_u32 v2, v6, v2, v3
	v_add3_u32 v36, v4, v1, v5
	s_cbranch_scc0 .LBB12_292
; %bb.293:
	v_mov_b32_e32 v37, v2
	s_branch .LBB12_296
.LBB12_294:
	s_mov_b64 s[0:1], -1
                                        ; implicit-def: $vgpr2
                                        ; implicit-def: $vgpr36
	s_branch .LBB12_301
.LBB12_295:
	s_mov_b32 s21, s20
	v_mov_b64_e32 v[36:37], s[20:21]
                                        ; implicit-def: $vgpr2
	v_mov_b32_e32 v0, v38
.LBB12_296:
	s_and_b32 s4, s26, 3
	s_cmp_eq_u32 s4, 0
	s_cbranch_scc1 .LBB12_300
; %bb.297:
	s_lshl_b32 s0, s20, 3
	s_add_u32 s0, s0, s48
	s_addc_u32 s1, s49, 0
	s_add_u32 s0, s0, 0xc4
	s_addc_u32 s1, s1, 0
	s_mul_i32 s2, s20, 12
	s_add_u32 s2, s48, s2
	s_addc_u32 s3, s49, 0
.LBB12_298:                             ; =>This Inner Loop Header: Depth=1
	s_load_dwordx2 s[6:7], s[2:3], 0x4
	s_load_dword s5, s[2:3], 0xc
	s_load_dwordx2 s[8:9], s[0:1], 0x0
	s_add_u32 s2, s2, 12
	s_addc_u32 s3, s3, 0
	s_waitcnt lgkmcnt(0)
	v_mul_hi_u32 v1, s7, v0
	v_add_u32_e32 v1, v0, v1
	v_lshrrev_b32_e32 v1, s5, v1
	v_mul_lo_u32 v3, v1, s6
	v_mov_b32_e32 v2, v37
	s_add_u32 s0, s0, 8
	v_sub_u32_e32 v4, v0, v3
	s_addc_u32 s1, s1, 0
	s_add_i32 s4, s4, -1
	v_mad_u64_u32 v[2:3], s[6:7], v4, s9, v[2:3]
	v_mad_u64_u32 v[36:37], s[6:7], v4, s8, v[36:37]
	s_cmp_lg_u32 s4, 0
	v_mov_b32_e32 v0, v1
	v_mov_b32_e32 v37, v2
	s_cbranch_scc1 .LBB12_298
; %bb.299:
	v_mov_b32_e32 v2, v37
.LBB12_300:
	s_mov_b64 s[0:1], 0
.LBB12_301:
	s_andn2_b64 vcc, exec, s[0:1]
	s_cbranch_vccnz .LBB12_304
; %bb.302:
	s_waitcnt lgkmcnt(0)
	v_mul_hi_u32 v0, s45, v38
	v_add_u32_e32 v0, v38, v0
	v_lshrrev_b32_e32 v0, s46, v0
	v_mul_lo_u32 v1, v0, s44
	v_sub_u32_e32 v1, v38, v1
	v_mul_lo_u32 v2, v1, s41
	s_andn2_b64 vcc, exec, s[58:59]
	v_mul_lo_u32 v36, v1, s40
	s_cbranch_vccnz .LBB12_304
; %bb.303:
	v_mul_hi_u32 v1, s56, v0
	v_add_u32_e32 v1, v0, v1
	v_lshrrev_b32_e32 v1, s57, v1
	v_mul_lo_u32 v1, v1, s47
	v_sub_u32_e32 v0, v0, v1
	v_mad_u64_u32 v[36:37], s[0:1], v0, s42, v[36:37]
	v_mad_u64_u32 v[2:3], s[0:1], v0, s43, v[2:3]
.LBB12_304:
	s_waitcnt lgkmcnt(0)
	v_mov_b32_e32 v0, s38
	v_mov_b32_e32 v1, s39
	v_mov_b32_e32 v3, v34
	s_getpc_b64 s[0:1]
	s_add_u32 s0, s0, _ZN2at6native6invokeIZZZNS0_12_GLOBAL__N_121bessel_y0_kernel_cudaERNS_18TensorIteratorBaseEENKUlvE_clEvENKUlvE_clEvEUldE_j15function_traitsIS7_EEENT1_11result_typeERKT_PrKPcPKT0_PKN3c1010ScalarTypeEi@rel32@lo+4
	s_addc_u32 s1, s1, _ZN2at6native6invokeIZZZNS0_12_GLOBAL__N_121bessel_y0_kernel_cudaERNS_18TensorIteratorBaseEENKUlvE_clEvENKUlvE_clEvEUldE_j15function_traitsIS7_EEENT1_11result_typeERKT_PrKPcPKT0_PKN3c1010ScalarTypeEi@rel32@hi+12
	s_swappc_b64 s[30:31], s[0:1]
	v_mov_b32_e32 v2, 11
	v_mov_b32_e32 v37, 0
	v_cmp_lt_i16_sdwa s[0:1], v35, v2 src0_sel:BYTE_0 src1_sel:DWORD
	v_lshl_add_u64 v[4:5], s[36:37], 0, v[36:37]
	s_and_b64 vcc, exec, s[0:1]
	s_cbranch_vccnz .LBB12_311
; %bb.305:
	v_mov_b32_e32 v2, 25
	v_cmp_gt_i16_sdwa s[0:1], v35, v2 src0_sel:BYTE_0 src1_sel:DWORD
	s_and_b64 vcc, exec, s[0:1]
	s_cbranch_vccz .LBB12_312
; %bb.306:
	v_mov_b32_e32 v2, 28
	v_cmp_gt_i16_sdwa s[0:1], v35, v2 src0_sel:BYTE_0 src1_sel:DWORD
	s_and_b64 vcc, exec, s[0:1]
	s_cbranch_vccz .LBB12_313
	;; [unrolled: 5-line block ×4, first 2 shown]
; %bb.309:
	v_mov_b32_e32 v2, 46
	v_cmp_eq_u16_sdwa s[2:3], v35, v2 src0_sel:BYTE_0 src1_sel:DWORD
	s_mov_b64 s[4:5], 0
	s_mov_b64 s[0:1], -1
	s_and_b64 vcc, exec, s[2:3]
	s_mov_b64 s[2:3], 0
	s_cbranch_vccz .LBB12_320
; %bb.310:
	v_cvt_f32_f64_e32 v2, v[0:1]
	v_bfe_u32 v3, v2, 16, 1
	s_movk_i32 s0, 0x7fff
	v_add3_u32 v3, v2, v3, s0
	v_lshrrev_b32_e32 v3, 16, v3
	v_mov_b32_e32 v6, 0x7fc0
	v_cmp_o_f32_e32 vcc, v2, v2
	s_mov_b64 s[2:3], -1
	s_mov_b64 s[0:1], 0
	v_cndmask_b32_e32 v2, v6, v3, vcc
	global_store_dword v[4:5], v2, off
	s_branch .LBB12_320
.LBB12_311:
	s_mov_b64 s[4:5], -1
	s_mov_b64 s[2:3], 0
	s_mov_b64 s[0:1], s[68:69]
	s_branch .LBB12_389
.LBB12_312:
	s_mov_b64 s[4:5], -1
	s_mov_b64 s[2:3], 0
	s_mov_b64 s[0:1], s[68:69]
	s_branch .LBB12_347
.LBB12_313:
	s_mov_b64 s[4:5], -1
	s_mov_b64 s[2:3], 0
	s_mov_b64 s[0:1], s[68:69]
	s_branch .LBB12_330
.LBB12_314:
	s_or_saveexec_b64 s[6:7], s[6:7]
                                        ; implicit-def: $sgpr8
	s_xor_b64 exec, exec, s[6:7]
	s_cbranch_execz .LBB12_198
.LBB12_315:
	s_mov_b32 s8, 0x46000000
	v_add_f32_e64 v3, |v2|, s8
	v_and_b32_e32 v3, 0xff, v3
	v_cmp_ne_u32_e32 vcc, 0, v3
	s_andn2_b64 s[4:5], s[4:5], exec
	s_and_b64 s[10:11], vcc, exec
	s_mov_b32 s8, 0
	s_or_b64 s[4:5], s[4:5], s[10:11]
	s_or_b64 exec, exec, s[6:7]
	v_mov_b32_e32 v6, s8
	s_and_saveexec_b64 s[6:7], s[4:5]
	s_cbranch_execnz .LBB12_199
	s_branch .LBB12_200
.LBB12_316:
	s_mov_b64 s[4:5], -1
	s_mov_b64 s[2:3], 0
	s_mov_b64 s[0:1], s[68:69]
	s_branch .LBB12_326
.LBB12_317:
	s_or_saveexec_b64 s[6:7], s[6:7]
                                        ; implicit-def: $sgpr8
	s_xor_b64 exec, exec, s[6:7]
	s_cbranch_execz .LBB12_211
.LBB12_318:
	s_mov_b32 s8, 0x42800000
	v_add_f32_e64 v3, |v2|, s8
	v_and_b32_e32 v3, 0xff, v3
	v_cmp_ne_u32_e32 vcc, 0, v3
	s_andn2_b64 s[4:5], s[4:5], exec
	s_and_b64 s[10:11], vcc, exec
	s_mov_b32 s8, 0
	s_or_b64 s[4:5], s[4:5], s[10:11]
	s_or_b64 exec, exec, s[6:7]
	v_mov_b32_e32 v6, s8
	s_and_saveexec_b64 s[6:7], s[4:5]
	s_cbranch_execnz .LBB12_212
	s_branch .LBB12_213
.LBB12_319:
	s_mov_b64 s[4:5], -1
	s_mov_b64 s[2:3], 0
	s_mov_b64 s[0:1], s[68:69]
.LBB12_320:
	s_and_b64 vcc, exec, s[4:5]
	s_cbranch_vccz .LBB12_325
; %bb.321:
	v_mov_b32_e32 v2, 44
	v_cmp_eq_u16_sdwa s[4:5], v35, v2 src0_sel:BYTE_0 src1_sel:DWORD
	s_mov_b64 s[0:1], -1
	s_and_b64 vcc, exec, s[4:5]
	s_cbranch_vccz .LBB12_325
; %bb.322:
	v_cvt_f32_f64_e32 v2, v[0:1]
	v_bfe_u32 v3, v2, 23, 8
	s_movk_i32 s0, 0xff
	v_cmp_ne_u32_e32 vcc, s0, v3
	v_mov_b32_e32 v6, 0xff
	s_and_saveexec_b64 s[2:3], vcc
; %bb.323:
	s_mov_b32 s0, 0x3fffff
	v_lshrrev_b32_e32 v6, 23, v2
	v_and_b32_e32 v7, 0x400000, v2
	v_and_or_b32 v2, v2, s0, v3
	v_cmp_ne_u32_e32 vcc, 0, v7
	v_cmp_ne_u32_e64 s[0:1], 0, v2
	s_and_b64 s[0:1], vcc, s[0:1]
	s_nop 0
	v_cndmask_b32_e64 v2, 0, 1, s[0:1]
	v_add_u32_e32 v6, v6, v2
; %bb.324:
	s_or_b64 exec, exec, s[2:3]
	s_mov_b64 s[2:3], -1
	s_mov_b64 s[0:1], 0
	global_store_byte v[4:5], v6, off
.LBB12_325:
	s_mov_b64 s[4:5], 0
.LBB12_326:
	s_and_b64 vcc, exec, s[4:5]
	s_cbranch_vccz .LBB12_329
; %bb.327:
	v_mov_b32_e32 v2, 29
	v_cmp_eq_u16_sdwa s[4:5], v35, v2 src0_sel:BYTE_0 src1_sel:DWORD
	s_mov_b64 s[0:1], -1
	s_and_b64 vcc, exec, s[4:5]
	s_cbranch_vccz .LBB12_329
; %bb.328:
	v_trunc_f64_e32 v[2:3], v[0:1]
	s_movk_i32 s0, 0xffe0
	v_ldexp_f64 v[6:7], v[2:3], s0
	v_floor_f64_e32 v[6:7], v[6:7]
	v_fmac_f64_e32 v[2:3], 0xc1f00000, v[6:7]
	v_cvt_u32_f64_e32 v9, v[6:7]
	v_cvt_u32_f64_e32 v8, v[2:3]
	global_store_dwordx2 v[4:5], v[8:9], off
	s_mov_b64 s[2:3], -1
	s_mov_b64 s[0:1], 0
.LBB12_329:
	s_mov_b64 s[4:5], 0
.LBB12_330:
	s_and_b64 vcc, exec, s[4:5]
	s_cbranch_vccz .LBB12_346
; %bb.331:
	v_mov_b32_e32 v2, 27
	v_cmp_lt_i16_sdwa s[4:5], v35, v2 src0_sel:BYTE_0 src1_sel:DWORD
	s_mov_b64 s[2:3], -1
	s_and_b64 vcc, exec, s[4:5]
	s_cbranch_vccnz .LBB12_337
; %bb.332:
	v_cmp_gt_i16_sdwa s[4:5], v35, v2 src0_sel:BYTE_0 src1_sel:DWORD
	s_and_b64 vcc, exec, s[4:5]
	v_cvt_u32_f64_e32 v2, v[0:1]
	s_cbranch_vccz .LBB12_334
; %bb.333:
	s_mov_b64 s[2:3], 0
	global_store_dword v[4:5], v2, off
.LBB12_334:
	s_andn2_b64 vcc, exec, s[2:3]
	s_cbranch_vccnz .LBB12_336
; %bb.335:
	global_store_short v[4:5], v2, off
.LBB12_336:
	s_mov_b64 s[2:3], 0
.LBB12_337:
	s_andn2_b64 vcc, exec, s[2:3]
	s_cbranch_vccnz .LBB12_345
; %bb.338:
	v_cvt_f32_f64_e32 v2, v[0:1]
	v_and_b32_e32 v3, 0x7fffffff, v2
	s_mov_b32 s2, 0x43800000
	v_cmp_gt_u32_e32 vcc, s2, v3
	v_mov_b32_e32 v6, 0x80
	s_and_saveexec_b64 s[2:3], vcc
	s_cbranch_execz .LBB12_344
; %bb.339:
	s_mov_b32 s4, 0x3bffffff
	v_cmp_lt_u32_e32 vcc, s4, v3
	s_mov_b64 s[4:5], 0
                                        ; implicit-def: $vgpr3
	s_and_saveexec_b64 s[6:7], vcc
	s_xor_b64 s[6:7], exec, s[6:7]
	s_cbranch_execz .LBB12_458
; %bb.340:
	v_bfe_u32 v3, v2, 20, 1
	s_mov_b32 s8, 0x487ffff
	v_add3_u32 v3, v2, v3, s8
	s_mov_b64 s[4:5], exec
	v_lshrrev_b32_e32 v3, 20, v3
	s_or_saveexec_b64 s[6:7], s[6:7]
                                        ; implicit-def: $sgpr8
	s_xor_b64 exec, exec, s[6:7]
	s_cbranch_execnz .LBB12_459
.LBB12_341:
	s_or_b64 exec, exec, s[6:7]
	v_mov_b32_e32 v6, s8
	s_and_saveexec_b64 s[6:7], s[4:5]
.LBB12_342:
	v_lshrrev_b32_e32 v2, 24, v2
	s_movk_i32 s4, 0x80
	v_and_or_b32 v6, v2, s4, v3
.LBB12_343:
	s_or_b64 exec, exec, s[6:7]
.LBB12_344:
	s_or_b64 exec, exec, s[2:3]
	global_store_byte v[4:5], v6, off
.LBB12_345:
	s_mov_b64 s[2:3], -1
.LBB12_346:
	s_mov_b64 s[4:5], 0
.LBB12_347:
	s_and_b64 vcc, exec, s[4:5]
	s_cbranch_vccz .LBB12_388
; %bb.348:
	v_mov_b32_e32 v2, 22
	v_cmp_gt_i16_sdwa s[6:7], v35, v2 src0_sel:BYTE_0 src1_sel:DWORD
	s_mov_b64 s[4:5], -1
	s_and_b64 vcc, exec, s[6:7]
	s_cbranch_vccz .LBB12_380
; %bb.349:
	v_mov_b32_e32 v2, 24
	v_cmp_lt_i16_sdwa s[4:5], v35, v2 src0_sel:BYTE_0 src1_sel:DWORD
	s_mov_b64 s[2:3], -1
	s_and_b64 vcc, exec, s[4:5]
	s_cbranch_vccnz .LBB12_369
; %bb.350:
	v_cmp_gt_i16_sdwa s[4:5], v35, v2 src0_sel:BYTE_0 src1_sel:DWORD
	s_and_b64 vcc, exec, s[4:5]
	s_cbranch_vccz .LBB12_358
; %bb.351:
	v_cvt_f32_f64_e32 v2, v[0:1]
	v_and_b32_e32 v3, 0x7fffffff, v2
	s_mov_b32 s2, 0x47800000
	v_cmp_gt_u32_e32 vcc, s2, v3
	v_mov_b32_e32 v6, 0x80
	s_and_saveexec_b64 s[2:3], vcc
	s_cbranch_execz .LBB12_357
; %bb.352:
	s_mov_b32 s4, 0x37ffffff
	v_cmp_lt_u32_e32 vcc, s4, v3
	s_mov_b64 s[4:5], 0
                                        ; implicit-def: $vgpr3
	s_and_saveexec_b64 s[6:7], vcc
	s_xor_b64 s[6:7], exec, s[6:7]
	s_cbranch_execz .LBB12_460
; %bb.353:
	v_bfe_u32 v3, v2, 21, 1
	s_mov_b32 s8, 0x88fffff
	v_add3_u32 v3, v2, v3, s8
	s_mov_b64 s[4:5], exec
	v_lshrrev_b32_e32 v3, 21, v3
	s_or_saveexec_b64 s[6:7], s[6:7]
                                        ; implicit-def: $sgpr8
	s_xor_b64 exec, exec, s[6:7]
	s_cbranch_execnz .LBB12_461
.LBB12_354:
	s_or_b64 exec, exec, s[6:7]
	v_mov_b32_e32 v6, s8
	s_and_saveexec_b64 s[6:7], s[4:5]
.LBB12_355:
	v_lshrrev_b32_e32 v2, 24, v2
	s_movk_i32 s4, 0x80
	v_and_or_b32 v6, v2, s4, v3
.LBB12_356:
	s_or_b64 exec, exec, s[6:7]
.LBB12_357:
	s_or_b64 exec, exec, s[2:3]
	s_mov_b64 s[2:3], 0
	global_store_byte v[4:5], v6, off
.LBB12_358:
	s_and_b64 vcc, exec, s[2:3]
	s_cbranch_vccz .LBB12_368
; %bb.359:
	v_cvt_f32_f64_e32 v2, v[0:1]
	v_and_b32_e32 v6, 0x7fffffff, v2
	s_mov_b32 s2, 0x43f00000
	v_cmp_gt_u32_e32 vcc, s2, v6
                                        ; implicit-def: $vgpr3
	s_and_saveexec_b64 s[2:3], vcc
	s_xor_b64 s[2:3], exec, s[2:3]
	s_cbranch_execz .LBB12_365
; %bb.360:
	s_mov_b32 s4, 0x3c7fffff
	v_cmp_lt_u32_e32 vcc, s4, v6
                                        ; implicit-def: $vgpr3
	s_and_saveexec_b64 s[4:5], vcc
	s_xor_b64 s[4:5], exec, s[4:5]
; %bb.361:
	v_bfe_u32 v3, v2, 20, 1
	s_mov_b32 s6, 0x407ffff
	v_add3_u32 v3, v2, v3, s6
	v_lshrrev_b32_e32 v6, 20, v3
	v_and_b32_e32 v3, 0xff00000, v3
	s_mov_b32 s6, 0x7f00000
	v_mov_b32_e32 v7, 0x7e
	v_cmp_ne_u32_e32 vcc, s6, v3
	s_nop 1
	v_cndmask_b32_e32 v3, v7, v6, vcc
; %bb.362:
	s_andn2_saveexec_b64 s[4:5], s[4:5]
; %bb.363:
	s_mov_b32 s6, 0x46800000
	v_add_f32_e64 v3, |v2|, s6
; %bb.364:
	s_or_b64 exec, exec, s[4:5]
                                        ; implicit-def: $vgpr6
.LBB12_365:
	s_andn2_saveexec_b64 s[2:3], s[2:3]
; %bb.366:
	s_mov_b32 s4, 0x7f800000
	v_mov_b32_e32 v3, 0x7e
	v_mov_b32_e32 v7, 0x7f
	v_cmp_lt_u32_e32 vcc, s4, v6
	s_nop 1
	v_cndmask_b32_e32 v3, v3, v7, vcc
; %bb.367:
	s_or_b64 exec, exec, s[2:3]
	v_lshrrev_b32_e32 v2, 24, v2
	s_movk_i32 s2, 0x80
	v_and_or_b32 v2, v2, s2, v3
	global_store_byte v[4:5], v2, off
.LBB12_368:
	s_mov_b64 s[2:3], 0
.LBB12_369:
	s_andn2_b64 vcc, exec, s[2:3]
	s_cbranch_vccnz .LBB12_379
; %bb.370:
	v_cvt_f32_f64_e32 v2, v[0:1]
	v_and_b32_e32 v6, 0x7fffffff, v2
	s_mov_b32 s2, 0x47800000
	v_cmp_gt_u32_e32 vcc, s2, v6
                                        ; implicit-def: $vgpr3
	s_and_saveexec_b64 s[2:3], vcc
	s_xor_b64 s[2:3], exec, s[2:3]
	s_cbranch_execz .LBB12_376
; %bb.371:
	s_mov_b32 s4, 0x387fffff
	v_cmp_lt_u32_e32 vcc, s4, v6
                                        ; implicit-def: $vgpr3
	s_and_saveexec_b64 s[4:5], vcc
	s_xor_b64 s[4:5], exec, s[4:5]
; %bb.372:
	v_bfe_u32 v3, v2, 21, 1
	s_mov_b32 s6, 0x80fffff
	v_add3_u32 v3, v2, v3, s6
	v_lshrrev_b32_e32 v3, 21, v3
; %bb.373:
	s_andn2_saveexec_b64 s[4:5], s[4:5]
; %bb.374:
	s_mov_b32 s6, 0x43000000
	v_add_f32_e64 v3, |v2|, s6
; %bb.375:
	s_or_b64 exec, exec, s[4:5]
                                        ; implicit-def: $vgpr6
.LBB12_376:
	s_andn2_saveexec_b64 s[2:3], s[2:3]
; %bb.377:
	s_mov_b32 s4, 0x7f800000
	v_mov_b32_e32 v3, 0x7c
	v_mov_b32_e32 v7, 0x7f
	v_cmp_lt_u32_e32 vcc, s4, v6
	s_nop 1
	v_cndmask_b32_e32 v3, v3, v7, vcc
; %bb.378:
	s_or_b64 exec, exec, s[2:3]
	v_lshrrev_b32_e32 v2, 24, v2
	s_movk_i32 s2, 0x80
	v_and_or_b32 v2, v2, s2, v3
	global_store_byte v[4:5], v2, off
.LBB12_379:
	s_mov_b64 s[4:5], 0
	s_mov_b64 s[2:3], -1
.LBB12_380:
	s_andn2_b64 vcc, exec, s[4:5]
	s_cbranch_vccnz .LBB12_388
; %bb.381:
	v_mov_b32_e32 v2, 14
	v_cmp_gt_i16_sdwa s[6:7], v35, v2 src0_sel:BYTE_0 src1_sel:DWORD
	s_mov_b64 s[4:5], -1
	s_and_b64 vcc, exec, s[6:7]
	s_cbranch_vccz .LBB12_385
; %bb.382:
	v_mov_b32_e32 v2, 15
	v_cmp_eq_u16_sdwa s[4:5], v35, v2 src0_sel:BYTE_0 src1_sel:DWORD
	s_mov_b64 s[0:1], -1
	s_and_b64 vcc, exec, s[4:5]
	s_cbranch_vccz .LBB12_384
; %bb.383:
	v_cvt_f32_f64_e32 v2, v[0:1]
	v_bfe_u32 v3, v2, 16, 1
	s_movk_i32 s0, 0x7fff
	v_add3_u32 v3, v2, v3, s0
	v_lshrrev_b32_e32 v3, 16, v3
	v_mov_b32_e32 v6, 0x7fc0
	v_cmp_o_f32_e32 vcc, v2, v2
	s_mov_b64 s[2:3], -1
	s_mov_b64 s[0:1], 0
	v_cndmask_b32_e32 v2, v6, v3, vcc
	global_store_short v[4:5], v2, off
.LBB12_384:
	s_mov_b64 s[4:5], 0
.LBB12_385:
	s_and_b64 vcc, exec, s[4:5]
	s_cbranch_vccz .LBB12_388
; %bb.386:
	v_mov_b32_e32 v2, 11
	v_cmp_eq_u16_sdwa s[4:5], v35, v2 src0_sel:BYTE_0 src1_sel:DWORD
	s_mov_b64 s[0:1], -1
	s_and_b64 vcc, exec, s[4:5]
	s_cbranch_vccz .LBB12_388
; %bb.387:
	v_cmp_neq_f64_e32 vcc, 0, v[0:1]
	s_mov_b64 s[0:1], 0
	s_mov_b64 s[2:3], -1
	v_cndmask_b32_e64 v2, 0, 1, vcc
	global_store_byte v[4:5], v2, off
.LBB12_388:
	s_mov_b64 s[4:5], 0
.LBB12_389:
	s_and_b64 vcc, exec, s[4:5]
	s_cbranch_vccz .LBB12_428
; %bb.390:
	v_mov_b32_e32 v2, 5
	v_cmp_lt_i16_sdwa s[4:5], v35, v2 src0_sel:BYTE_0 src1_sel:DWORD
	s_mov_b64 s[2:3], -1
	s_and_b64 vcc, exec, s[4:5]
	s_cbranch_vccnz .LBB12_411
; %bb.391:
	v_mov_b32_e32 v2, 8
	v_cmp_lt_i16_sdwa s[4:5], v35, v2 src0_sel:BYTE_0 src1_sel:DWORD
	s_and_b64 vcc, exec, s[4:5]
	s_cbranch_vccnz .LBB12_401
; %bb.392:
	v_mov_b32_e32 v2, 9
	v_cmp_lt_i16_sdwa s[4:5], v35, v2 src0_sel:BYTE_0 src1_sel:DWORD
	s_and_b64 vcc, exec, s[4:5]
	s_cbranch_vccnz .LBB12_398
; %bb.393:
	v_cmp_gt_i16_sdwa s[4:5], v35, v2 src0_sel:BYTE_0 src1_sel:DWORD
	s_and_b64 vcc, exec, s[4:5]
	s_cbranch_vccz .LBB12_395
; %bb.394:
	v_mov_b32_e32 v2, 0
	v_mov_b32_e32 v3, v2
	s_mov_b64 s[2:3], 0
	global_store_dwordx4 v[4:5], v[0:3], off
.LBB12_395:
	s_andn2_b64 vcc, exec, s[2:3]
	s_cbranch_vccnz .LBB12_397
; %bb.396:
	v_cvt_f32_f64_e32 v2, v[0:1]
	v_mov_b32_e32 v3, 0
	global_store_dwordx2 v[4:5], v[2:3], off
.LBB12_397:
	s_mov_b64 s[2:3], 0
.LBB12_398:
	s_andn2_b64 vcc, exec, s[2:3]
	s_cbranch_vccnz .LBB12_400
; %bb.399:
	v_cvt_f32_f64_e32 v2, v[0:1]
	v_cvt_f16_f32_e32 v2, v2
	global_store_dword v[4:5], v2, off
.LBB12_400:
	s_mov_b64 s[2:3], 0
.LBB12_401:
	s_andn2_b64 vcc, exec, s[2:3]
	s_cbranch_vccnz .LBB12_410
; %bb.402:
	v_mov_b32_e32 v2, 6
	v_cmp_lt_i16_sdwa s[4:5], v35, v2 src0_sel:BYTE_0 src1_sel:DWORD
	s_mov_b64 s[2:3], -1
	s_and_b64 vcc, exec, s[4:5]
	s_cbranch_vccnz .LBB12_408
; %bb.403:
	v_cmp_gt_i16_sdwa s[4:5], v35, v2 src0_sel:BYTE_0 src1_sel:DWORD
	s_and_b64 vcc, exec, s[4:5]
	s_cbranch_vccz .LBB12_405
; %bb.404:
	s_mov_b64 s[2:3], 0
	global_store_dwordx2 v[4:5], v[0:1], off
.LBB12_405:
	s_andn2_b64 vcc, exec, s[2:3]
	s_cbranch_vccnz .LBB12_407
; %bb.406:
	v_cvt_f32_f64_e32 v2, v[0:1]
	global_store_dword v[4:5], v2, off
.LBB12_407:
	s_mov_b64 s[2:3], 0
.LBB12_408:
	s_andn2_b64 vcc, exec, s[2:3]
	s_cbranch_vccnz .LBB12_410
; %bb.409:
	v_cvt_f32_f64_e32 v2, v[0:1]
	v_cvt_f16_f32_e32 v2, v2
	global_store_short v[4:5], v2, off
.LBB12_410:
	s_mov_b64 s[2:3], 0
.LBB12_411:
	s_andn2_b64 vcc, exec, s[2:3]
	s_cbranch_vccnz .LBB12_427
; %bb.412:
	v_mov_b32_e32 v2, 2
	v_cmp_lt_i16_sdwa s[4:5], v35, v2 src0_sel:BYTE_0 src1_sel:DWORD
	s_mov_b64 s[2:3], -1
	s_and_b64 vcc, exec, s[4:5]
	s_cbranch_vccnz .LBB12_422
; %bb.413:
	v_mov_b32_e32 v2, 3
	v_cmp_lt_i16_sdwa s[4:5], v35, v2 src0_sel:BYTE_0 src1_sel:DWORD
	s_and_b64 vcc, exec, s[4:5]
	s_cbranch_vccnz .LBB12_419
; %bb.414:
	v_cmp_gt_i16_sdwa s[4:5], v35, v2 src0_sel:BYTE_0 src1_sel:DWORD
	s_and_b64 vcc, exec, s[4:5]
	s_cbranch_vccz .LBB12_416
; %bb.415:
	v_trunc_f64_e32 v[2:3], v[0:1]
	s_movk_i32 s2, 0xffe0
	v_ldexp_f64 v[6:7], v[2:3], s2
	v_floor_f64_e32 v[6:7], v[6:7]
	v_fmac_f64_e32 v[2:3], 0xc1f00000, v[6:7]
	v_cvt_i32_f64_e32 v9, v[6:7]
	v_cvt_u32_f64_e32 v8, v[2:3]
	s_mov_b64 s[2:3], 0
	global_store_dwordx2 v[4:5], v[8:9], off
.LBB12_416:
	s_andn2_b64 vcc, exec, s[2:3]
	s_cbranch_vccnz .LBB12_418
; %bb.417:
	v_cvt_i32_f64_e32 v2, v[0:1]
	global_store_dword v[4:5], v2, off
.LBB12_418:
	s_mov_b64 s[2:3], 0
.LBB12_419:
	s_andn2_b64 vcc, exec, s[2:3]
	s_cbranch_vccnz .LBB12_421
; %bb.420:
	v_cvt_i32_f64_e32 v2, v[0:1]
	global_store_short v[4:5], v2, off
.LBB12_421:
	s_mov_b64 s[2:3], 0
.LBB12_422:
	s_andn2_b64 vcc, exec, s[2:3]
	s_cbranch_vccnz .LBB12_427
; %bb.423:
	v_mov_b32_e32 v2, 0
	v_cmp_gt_i16_sdwa s[4:5], v35, v2 src0_sel:BYTE_0 src1_sel:DWORD
	s_mov_b64 s[2:3], -1
	s_and_b64 vcc, exec, s[4:5]
	s_cbranch_vccz .LBB12_425
; %bb.424:
	v_cvt_i32_f64_e32 v2, v[0:1]
	s_mov_b64 s[2:3], 0
	global_store_byte v[4:5], v2, off
.LBB12_425:
	s_andn2_b64 vcc, exec, s[2:3]
	s_cbranch_vccnz .LBB12_427
; %bb.426:
	v_trunc_f64_e32 v[0:1], v[0:1]
	s_movk_i32 s2, 0xffe0
	v_ldexp_f64 v[2:3], v[0:1], s2
	v_floor_f64_e32 v[2:3], v[2:3]
	v_fmac_f64_e32 v[0:1], 0xc1f00000, v[2:3]
	v_cvt_u32_f64_e32 v0, v[0:1]
	global_store_byte v[4:5], v0, off
.LBB12_427:
	s_mov_b64 s[2:3], -1
.LBB12_428:
	s_andn2_b64 vcc, exec, s[2:3]
	s_cbranch_vccnz .LBB12_430
; %bb.429:
	v_add_u32_e32 v38, 0x80, v38
	s_mov_b64 s[2:3], -1
	s_branch .LBB12_431
.LBB12_430:
	s_mov_b64 s[2:3], 0
                                        ; implicit-def: $vgpr38
.LBB12_431:
	s_andn2_b64 s[4:5], s[68:69], exec
	s_and_b64 s[0:1], s[0:1], exec
	s_or_b64 s[74:75], s[4:5], s[0:1]
	s_orn2_b64 s[2:3], s[2:3], exec
.LBB12_432:
	s_or_b64 exec, exec, s[72:73]
	s_mov_b64 s[0:1], 0
	s_mov_b64 s[6:7], 0
                                        ; implicit-def: $vgpr6
                                        ; implicit-def: $vgpr4_vgpr5
                                        ; implicit-def: $vgpr0_vgpr1
	s_and_saveexec_b64 s[72:73], s[2:3]
	s_cbranch_execz .LBB12_532
; %bb.433:
	v_cmp_gt_i32_e32 vcc, s76, v38
	s_mov_b64 s[2:3], 0
	s_mov_b64 s[4:5], s[74:75]
                                        ; implicit-def: $vgpr6
                                        ; implicit-def: $vgpr4_vgpr5
                                        ; implicit-def: $vgpr0_vgpr1
	s_and_saveexec_b64 s[76:77], vcc
	s_cbranch_execz .LBB12_531
; %bb.434:
	s_andn2_b64 vcc, exec, s[52:53]
	s_cbranch_vccnz .LBB12_440
; %bb.435:
	s_mov_b32 s20, 0
	s_andn2_b64 vcc, exec, s[62:63]
	v_mov_b32_e32 v2, 0
	v_mov_b32_e32 v36, 0
	s_cbranch_vccnz .LBB12_446
; %bb.436:
	s_add_i32 s79, s79, 1
	s_cmp_eq_u32 s78, 2
	s_cbranch_scc1 .LBB12_441
; %bb.437:
	s_and_b32 s20, s79, 28
	s_mov_b32 s21, 0
	v_mov_b32_e32 v36, 0
	s_mov_b64 s[22:23], s[48:49]
	v_mov_b32_e32 v0, v38
	v_mov_b32_e32 v2, 0
.LBB12_438:                             ; =>This Inner Loop Header: Depth=1
	s_load_dwordx8 s[8:15], s[22:23], 0x4
	s_load_dwordx4 s[16:19], s[22:23], 0x24
	s_load_dwordx8 s[0:7], s[60:61], 0x0
	s_add_u32 s22, s22, 48
	s_addc_u32 s23, s23, 0
	s_waitcnt lgkmcnt(0)
	v_mul_hi_u32 v1, s9, v0
	v_add_u32_e32 v1, v0, v1
	v_lshrrev_b32_e32 v1, s10, v1
	v_mul_lo_u32 v3, v1, s8
	v_mul_hi_u32 v4, s12, v1
	v_sub_u32_e32 v0, v0, v3
	v_add_u32_e32 v3, v1, v4
	v_lshrrev_b32_e32 v3, s13, v3
	v_mul_lo_u32 v5, v3, s11
	v_mul_hi_u32 v6, s15, v3
	v_sub_u32_e32 v1, v1, v5
	v_add_u32_e32 v5, v3, v6
	v_mul_lo_u32 v4, v0, s1
	v_mul_lo_u32 v0, v0, s0
	;; [unrolled: 1-line block ×4, first 2 shown]
	v_lshrrev_b32_e32 v5, s16, v5
	v_add3_u32 v1, v0, v36, v1
	v_add3_u32 v2, v4, v2, v6
	v_mul_lo_u32 v0, v5, s14
	v_mul_hi_u32 v4, s18, v5
	v_sub_u32_e32 v0, v3, v0
	v_add_u32_e32 v3, v5, v4
	v_mul_lo_u32 v4, v0, s4
	v_mul_lo_u32 v6, v0, s5
	v_lshrrev_b32_e32 v0, s19, v3
	s_add_i32 s21, s21, 4
	v_mul_lo_u32 v3, v0, s17
	s_add_u32 s60, s60, 32
	v_sub_u32_e32 v3, v5, v3
	s_addc_u32 s61, s61, 0
	v_mul_lo_u32 v5, v3, s6
	v_mul_lo_u32 v3, v3, s7
	s_cmp_eq_u32 s20, s21
	v_add3_u32 v2, v6, v2, v3
	v_add3_u32 v36, v4, v1, v5
	s_cbranch_scc0 .LBB12_438
; %bb.439:
	v_mov_b32_e32 v37, v2
	s_branch .LBB12_442
.LBB12_440:
	s_mov_b64 s[0:1], -1
                                        ; implicit-def: $vgpr2
                                        ; implicit-def: $vgpr36
	s_branch .LBB12_447
.LBB12_441:
	s_mov_b32 s21, s20
	v_mov_b64_e32 v[36:37], s[20:21]
                                        ; implicit-def: $vgpr2
	v_mov_b32_e32 v0, v38
.LBB12_442:
	s_and_b32 s4, s79, 3
	s_cmp_eq_u32 s4, 0
	s_cbranch_scc1 .LBB12_446
; %bb.443:
	s_lshl_b32 s0, s20, 3
	s_add_u32 s0, s0, s48
	s_addc_u32 s1, s49, 0
	s_add_u32 s0, s0, 0xc4
	s_addc_u32 s1, s1, 0
	s_mul_i32 s2, s20, 12
	s_add_u32 s2, s48, s2
	s_addc_u32 s3, s49, 0
.LBB12_444:                             ; =>This Inner Loop Header: Depth=1
	s_load_dwordx2 s[6:7], s[2:3], 0x4
	s_load_dword s5, s[2:3], 0xc
	s_load_dwordx2 s[8:9], s[0:1], 0x0
	s_add_u32 s2, s2, 12
	s_addc_u32 s3, s3, 0
	s_waitcnt lgkmcnt(0)
	v_mul_hi_u32 v1, s7, v0
	v_add_u32_e32 v1, v0, v1
	v_lshrrev_b32_e32 v1, s5, v1
	v_mul_lo_u32 v3, v1, s6
	v_mov_b32_e32 v2, v37
	s_add_u32 s0, s0, 8
	v_sub_u32_e32 v4, v0, v3
	s_addc_u32 s1, s1, 0
	s_add_i32 s4, s4, -1
	v_mad_u64_u32 v[2:3], s[6:7], v4, s9, v[2:3]
	v_mad_u64_u32 v[36:37], s[6:7], v4, s8, v[36:37]
	s_cmp_lg_u32 s4, 0
	v_mov_b32_e32 v0, v1
	v_mov_b32_e32 v37, v2
	s_cbranch_scc1 .LBB12_444
; %bb.445:
	v_mov_b32_e32 v2, v37
.LBB12_446:
	s_mov_b64 s[0:1], 0
.LBB12_447:
	s_andn2_b64 vcc, exec, s[0:1]
	s_cbranch_vccnz .LBB12_450
; %bb.448:
	s_waitcnt lgkmcnt(0)
	v_mul_hi_u32 v0, s45, v38
	v_add_u32_e32 v0, v38, v0
	v_lshrrev_b32_e32 v0, s46, v0
	v_mul_lo_u32 v1, v0, s44
	v_sub_u32_e32 v1, v38, v1
	v_mul_lo_u32 v2, v1, s41
	s_andn2_b64 vcc, exec, s[58:59]
	v_mul_lo_u32 v36, v1, s40
	s_cbranch_vccnz .LBB12_450
; %bb.449:
	v_mul_hi_u32 v1, s56, v0
	v_add_u32_e32 v1, v0, v1
	v_lshrrev_b32_e32 v1, s57, v1
	v_mul_lo_u32 v1, v1, s47
	v_sub_u32_e32 v0, v0, v1
	v_mad_u64_u32 v[36:37], s[0:1], v0, s42, v[36:37]
	v_mad_u64_u32 v[2:3], s[0:1], v0, s43, v[2:3]
.LBB12_450:
	s_waitcnt lgkmcnt(0)
	v_mov_b32_e32 v0, s38
	v_mov_b32_e32 v1, s39
	;; [unrolled: 1-line block ×3, first 2 shown]
	s_getpc_b64 s[0:1]
	s_add_u32 s0, s0, _ZN2at6native6invokeIZZZNS0_12_GLOBAL__N_121bessel_y0_kernel_cudaERNS_18TensorIteratorBaseEENKUlvE_clEvENKUlvE_clEvEUldE_j15function_traitsIS7_EEENT1_11result_typeERKT_PrKPcPKT0_PKN3c1010ScalarTypeEi@rel32@lo+4
	s_addc_u32 s1, s1, _ZN2at6native6invokeIZZZNS0_12_GLOBAL__N_121bessel_y0_kernel_cudaERNS_18TensorIteratorBaseEENKUlvE_clEvENKUlvE_clEvEUldE_j15function_traitsIS7_EEENT1_11result_typeERKT_PrKPcPKT0_PKN3c1010ScalarTypeEi@rel32@hi+12
	s_swappc_b64 s[30:31], s[0:1]
	v_and_b32_e32 v6, 0xff, v35
	v_mov_b32_e32 v37, 0
	v_cmp_gt_i16_e32 vcc, 11, v6
	v_lshl_add_u64 v[4:5], s[36:37], 0, v[36:37]
	s_cbranch_vccnz .LBB12_457
; %bb.451:
	v_cmp_lt_i16_e32 vcc, 25, v6
	s_mov_b64 s[4:5], -1
	s_mov_b64 s[0:1], s[74:75]
	s_cbranch_vccz .LBB12_489
; %bb.452:
	v_cmp_lt_i16_e32 vcc, 28, v6
	s_mov_b64 s[2:3], -1
	s_mov_b64 s[0:1], s[74:75]
	s_cbranch_vccz .LBB12_473
; %bb.453:
	v_cmp_lt_i16_e32 vcc, 43, v6
	s_mov_b64 s[0:1], s[74:75]
	s_cbranch_vccz .LBB12_469
; %bb.454:
	v_cmp_lt_i16_e32 vcc, 45, v6
	s_mov_b64 s[0:1], s[74:75]
	s_cbranch_vccz .LBB12_463
; %bb.455:
	v_cmp_eq_u16_e32 vcc, 46, v6
	s_mov_b64 s[0:1], -1
	s_cbranch_vccz .LBB12_462
; %bb.456:
	v_cvt_f32_f64_e32 v2, v[0:1]
	v_bfe_u32 v3, v2, 16, 1
	s_movk_i32 s0, 0x7fff
	v_add3_u32 v3, v2, v3, s0
	v_lshrrev_b32_e32 v3, 16, v3
	v_mov_b32_e32 v7, 0x7fc0
	v_cmp_o_f32_e32 vcc, v2, v2
	s_mov_b64 s[0:1], 0
	s_mov_b64 s[2:3], 0
	v_cndmask_b32_e32 v2, v7, v3, vcc
	global_store_dword v[4:5], v2, off
	s_branch .LBB12_463
.LBB12_457:
	s_mov_b64 s[4:5], 0
	s_mov_b64 s[2:3], -1
	s_mov_b64 s[0:1], s[74:75]
	s_branch .LBB12_530
.LBB12_458:
	s_or_saveexec_b64 s[6:7], s[6:7]
                                        ; implicit-def: $sgpr8
	s_xor_b64 exec, exec, s[6:7]
	s_cbranch_execz .LBB12_341
.LBB12_459:
	s_mov_b32 s8, 0x46000000
	v_add_f32_e64 v3, |v2|, s8
	v_and_b32_e32 v3, 0xff, v3
	v_cmp_ne_u32_e32 vcc, 0, v3
	s_andn2_b64 s[4:5], s[4:5], exec
	s_and_b64 s[10:11], vcc, exec
	s_mov_b32 s8, 0
	s_or_b64 s[4:5], s[4:5], s[10:11]
	s_or_b64 exec, exec, s[6:7]
	v_mov_b32_e32 v6, s8
	s_and_saveexec_b64 s[6:7], s[4:5]
	s_cbranch_execnz .LBB12_342
	s_branch .LBB12_343
.LBB12_460:
	s_or_saveexec_b64 s[6:7], s[6:7]
                                        ; implicit-def: $sgpr8
	s_xor_b64 exec, exec, s[6:7]
	s_cbranch_execz .LBB12_354
.LBB12_461:
	s_mov_b32 s8, 0x42800000
	v_add_f32_e64 v3, |v2|, s8
	v_and_b32_e32 v3, 0xff, v3
	v_cmp_ne_u32_e32 vcc, 0, v3
	s_andn2_b64 s[4:5], s[4:5], exec
	s_and_b64 s[10:11], vcc, exec
	s_mov_b32 s8, 0
	s_or_b64 s[4:5], s[4:5], s[10:11]
	s_or_b64 exec, exec, s[6:7]
	v_mov_b32_e32 v6, s8
	s_and_saveexec_b64 s[6:7], s[4:5]
	s_cbranch_execnz .LBB12_355
	s_branch .LBB12_356
.LBB12_462:
	s_mov_b64 s[2:3], 0
.LBB12_463:
	s_and_b64 vcc, exec, s[2:3]
	s_cbranch_vccz .LBB12_468
; %bb.464:
	v_cmp_eq_u16_e32 vcc, 44, v6
	s_mov_b64 s[0:1], -1
	s_cbranch_vccz .LBB12_468
; %bb.465:
	v_cvt_f32_f64_e32 v2, v[0:1]
	v_bfe_u32 v3, v2, 23, 8
	s_movk_i32 s0, 0xff
	v_cmp_ne_u32_e32 vcc, s0, v3
	v_mov_b32_e32 v7, 0xff
	s_and_saveexec_b64 s[2:3], vcc
; %bb.466:
	s_mov_b32 s0, 0x3fffff
	v_lshrrev_b32_e32 v7, 23, v2
	v_and_b32_e32 v8, 0x400000, v2
	v_and_or_b32 v2, v2, s0, v3
	v_cmp_ne_u32_e32 vcc, 0, v8
	v_cmp_ne_u32_e64 s[0:1], 0, v2
	s_and_b64 s[0:1], vcc, s[0:1]
	s_nop 0
	v_cndmask_b32_e64 v2, 0, 1, s[0:1]
	v_add_u32_e32 v7, v7, v2
; %bb.467:
	s_or_b64 exec, exec, s[2:3]
	s_mov_b64 s[0:1], 0
	global_store_byte v[4:5], v7, off
.LBB12_468:
	s_mov_b64 s[2:3], 0
.LBB12_469:
	s_and_b64 vcc, exec, s[2:3]
	s_cbranch_vccz .LBB12_472
; %bb.470:
	v_cmp_eq_u16_e32 vcc, 29, v6
	s_mov_b64 s[0:1], -1
	s_cbranch_vccz .LBB12_472
; %bb.471:
	v_trunc_f64_e32 v[2:3], v[0:1]
	s_movk_i32 s0, 0xffe0
	v_ldexp_f64 v[8:9], v[2:3], s0
	v_floor_f64_e32 v[8:9], v[8:9]
	v_fmac_f64_e32 v[2:3], 0xc1f00000, v[8:9]
	v_cvt_u32_f64_e32 v11, v[8:9]
	v_cvt_u32_f64_e32 v10, v[2:3]
	global_store_dwordx2 v[4:5], v[10:11], off
	s_mov_b64 s[0:1], 0
.LBB12_472:
	s_mov_b64 s[2:3], 0
.LBB12_473:
	s_and_b64 vcc, exec, s[2:3]
	s_cbranch_vccz .LBB12_488
; %bb.474:
	v_cmp_gt_i16_e32 vcc, 27, v6
	s_mov_b64 s[2:3], -1
	s_cbranch_vccnz .LBB12_480
; %bb.475:
	v_cmp_lt_i16_e32 vcc, 27, v6
	v_cvt_u32_f64_e32 v2, v[0:1]
	s_cbranch_vccz .LBB12_477
; %bb.476:
	s_mov_b64 s[2:3], 0
	global_store_dword v[4:5], v2, off
.LBB12_477:
	s_andn2_b64 vcc, exec, s[2:3]
	s_cbranch_vccnz .LBB12_479
; %bb.478:
	global_store_short v[4:5], v2, off
.LBB12_479:
	s_mov_b64 s[2:3], 0
.LBB12_480:
	s_andn2_b64 vcc, exec, s[2:3]
	s_cbranch_vccnz .LBB12_488
; %bb.481:
	v_cvt_f32_f64_e32 v2, v[0:1]
	v_and_b32_e32 v3, 0x7fffffff, v2
	s_mov_b32 s2, 0x43800000
	v_cmp_gt_u32_e32 vcc, s2, v3
	v_mov_b32_e32 v7, 0x80
	s_and_saveexec_b64 s[2:3], vcc
	s_cbranch_execz .LBB12_487
; %bb.482:
	s_mov_b32 s4, 0x3bffffff
	v_cmp_lt_u32_e32 vcc, s4, v3
	s_mov_b64 s[4:5], 0
                                        ; implicit-def: $vgpr3
	s_and_saveexec_b64 s[6:7], vcc
	s_xor_b64 s[6:7], exec, s[6:7]
	s_cbranch_execz .LBB12_1132
; %bb.483:
	v_bfe_u32 v3, v2, 20, 1
	s_mov_b32 s8, 0x487ffff
	v_add3_u32 v3, v2, v3, s8
	s_mov_b64 s[4:5], exec
	v_lshrrev_b32_e32 v3, 20, v3
	s_or_saveexec_b64 s[6:7], s[6:7]
                                        ; implicit-def: $sgpr8
	s_xor_b64 exec, exec, s[6:7]
	s_cbranch_execnz .LBB12_1133
.LBB12_484:
	s_or_b64 exec, exec, s[6:7]
	v_mov_b32_e32 v7, s8
	s_and_saveexec_b64 s[6:7], s[4:5]
.LBB12_485:
	v_lshrrev_b32_e32 v2, 24, v2
	s_movk_i32 s4, 0x80
	v_and_or_b32 v7, v2, s4, v3
.LBB12_486:
	s_or_b64 exec, exec, s[6:7]
.LBB12_487:
	s_or_b64 exec, exec, s[2:3]
	global_store_byte v[4:5], v7, off
.LBB12_488:
	s_mov_b64 s[4:5], 0
.LBB12_489:
	s_mov_b64 s[2:3], 0
	s_and_b64 vcc, exec, s[4:5]
	s_cbranch_vccz .LBB12_529
; %bb.490:
	v_cmp_lt_i16_e32 vcc, 22, v6
	s_mov_b64 s[4:5], -1
	s_cbranch_vccz .LBB12_522
; %bb.491:
	v_cmp_gt_i16_e32 vcc, 24, v6
	s_cbranch_vccnz .LBB12_511
; %bb.492:
	v_cmp_lt_i16_e32 vcc, 24, v6
	s_cbranch_vccz .LBB12_500
; %bb.493:
	v_cvt_f32_f64_e32 v2, v[0:1]
	v_and_b32_e32 v3, 0x7fffffff, v2
	s_mov_b32 s4, 0x47800000
	v_cmp_gt_u32_e32 vcc, s4, v3
	v_mov_b32_e32 v7, 0x80
	s_and_saveexec_b64 s[4:5], vcc
	s_cbranch_execz .LBB12_499
; %bb.494:
	s_mov_b32 s6, 0x37ffffff
	v_cmp_lt_u32_e32 vcc, s6, v3
	s_mov_b64 s[6:7], 0
                                        ; implicit-def: $vgpr3
	s_and_saveexec_b64 s[8:9], vcc
	s_xor_b64 s[8:9], exec, s[8:9]
	s_cbranch_execz .LBB12_1136
; %bb.495:
	v_bfe_u32 v3, v2, 21, 1
	s_mov_b32 s10, 0x88fffff
	v_add3_u32 v3, v2, v3, s10
	s_mov_b64 s[6:7], exec
	v_lshrrev_b32_e32 v3, 21, v3
	s_or_saveexec_b64 s[8:9], s[8:9]
                                        ; implicit-def: $sgpr10
	s_xor_b64 exec, exec, s[8:9]
	s_cbranch_execnz .LBB12_1137
.LBB12_496:
	s_or_b64 exec, exec, s[8:9]
	v_mov_b32_e32 v7, s10
	s_and_saveexec_b64 s[8:9], s[6:7]
.LBB12_497:
	v_lshrrev_b32_e32 v2, 24, v2
	s_movk_i32 s6, 0x80
	v_and_or_b32 v7, v2, s6, v3
.LBB12_498:
	s_or_b64 exec, exec, s[8:9]
.LBB12_499:
	s_or_b64 exec, exec, s[4:5]
	s_mov_b64 s[4:5], 0
	global_store_byte v[4:5], v7, off
.LBB12_500:
	s_and_b64 vcc, exec, s[4:5]
	s_cbranch_vccz .LBB12_510
; %bb.501:
	v_cvt_f32_f64_e32 v2, v[0:1]
	v_and_b32_e32 v7, 0x7fffffff, v2
	s_mov_b32 s4, 0x43f00000
	v_cmp_gt_u32_e32 vcc, s4, v7
                                        ; implicit-def: $vgpr3
	s_and_saveexec_b64 s[4:5], vcc
	s_xor_b64 s[4:5], exec, s[4:5]
	s_cbranch_execz .LBB12_507
; %bb.502:
	s_mov_b32 s6, 0x3c7fffff
	v_cmp_lt_u32_e32 vcc, s6, v7
                                        ; implicit-def: $vgpr3
	s_and_saveexec_b64 s[6:7], vcc
	s_xor_b64 s[6:7], exec, s[6:7]
; %bb.503:
	v_bfe_u32 v3, v2, 20, 1
	s_mov_b32 s8, 0x407ffff
	v_add3_u32 v3, v2, v3, s8
	v_lshrrev_b32_e32 v7, 20, v3
	v_and_b32_e32 v3, 0xff00000, v3
	s_mov_b32 s8, 0x7f00000
	v_mov_b32_e32 v8, 0x7e
	v_cmp_ne_u32_e32 vcc, s8, v3
	s_nop 1
	v_cndmask_b32_e32 v3, v8, v7, vcc
; %bb.504:
	s_andn2_saveexec_b64 s[6:7], s[6:7]
; %bb.505:
	s_mov_b32 s8, 0x46800000
	v_add_f32_e64 v3, |v2|, s8
; %bb.506:
	s_or_b64 exec, exec, s[6:7]
                                        ; implicit-def: $vgpr7
.LBB12_507:
	s_andn2_saveexec_b64 s[4:5], s[4:5]
; %bb.508:
	s_mov_b32 s6, 0x7f800000
	v_mov_b32_e32 v3, 0x7e
	v_mov_b32_e32 v8, 0x7f
	v_cmp_lt_u32_e32 vcc, s6, v7
	s_nop 1
	v_cndmask_b32_e32 v3, v3, v8, vcc
; %bb.509:
	s_or_b64 exec, exec, s[4:5]
	v_lshrrev_b32_e32 v2, 24, v2
	s_movk_i32 s4, 0x80
	v_and_or_b32 v2, v2, s4, v3
	global_store_byte v[4:5], v2, off
.LBB12_510:
	s_mov_b64 s[4:5], 0
.LBB12_511:
	s_andn2_b64 vcc, exec, s[4:5]
	s_cbranch_vccnz .LBB12_521
; %bb.512:
	v_cvt_f32_f64_e32 v2, v[0:1]
	v_and_b32_e32 v7, 0x7fffffff, v2
	s_mov_b32 s4, 0x47800000
	v_cmp_gt_u32_e32 vcc, s4, v7
                                        ; implicit-def: $vgpr3
	s_and_saveexec_b64 s[4:5], vcc
	s_xor_b64 s[4:5], exec, s[4:5]
	s_cbranch_execz .LBB12_518
; %bb.513:
	s_mov_b32 s6, 0x387fffff
	v_cmp_lt_u32_e32 vcc, s6, v7
                                        ; implicit-def: $vgpr3
	s_and_saveexec_b64 s[6:7], vcc
	s_xor_b64 s[6:7], exec, s[6:7]
; %bb.514:
	v_bfe_u32 v3, v2, 21, 1
	s_mov_b32 s8, 0x80fffff
	v_add3_u32 v3, v2, v3, s8
	v_lshrrev_b32_e32 v3, 21, v3
; %bb.515:
	s_andn2_saveexec_b64 s[6:7], s[6:7]
; %bb.516:
	s_mov_b32 s8, 0x43000000
	v_add_f32_e64 v3, |v2|, s8
; %bb.517:
	s_or_b64 exec, exec, s[6:7]
                                        ; implicit-def: $vgpr7
.LBB12_518:
	s_andn2_saveexec_b64 s[4:5], s[4:5]
; %bb.519:
	s_mov_b32 s6, 0x7f800000
	v_mov_b32_e32 v3, 0x7c
	v_mov_b32_e32 v8, 0x7f
	v_cmp_lt_u32_e32 vcc, s6, v7
	s_nop 1
	v_cndmask_b32_e32 v3, v3, v8, vcc
; %bb.520:
	s_or_b64 exec, exec, s[4:5]
	v_lshrrev_b32_e32 v2, 24, v2
	s_movk_i32 s4, 0x80
	v_and_or_b32 v2, v2, s4, v3
	global_store_byte v[4:5], v2, off
.LBB12_521:
	s_mov_b64 s[4:5], 0
.LBB12_522:
	s_andn2_b64 vcc, exec, s[4:5]
	s_mov_b64 s[4:5], 0
	s_cbranch_vccnz .LBB12_530
; %bb.523:
	v_cmp_lt_i16_e32 vcc, 14, v6
	s_mov_b64 s[6:7], -1
	s_cbranch_vccz .LBB12_527
; %bb.524:
	v_cmp_eq_u16_e32 vcc, 15, v6
	s_mov_b64 s[0:1], -1
	s_cbranch_vccz .LBB12_526
; %bb.525:
	v_cvt_f32_f64_e32 v2, v[0:1]
	v_bfe_u32 v3, v2, 16, 1
	s_movk_i32 s0, 0x7fff
	v_add3_u32 v3, v2, v3, s0
	v_lshrrev_b32_e32 v3, 16, v3
	v_mov_b32_e32 v7, 0x7fc0
	v_cmp_o_f32_e32 vcc, v2, v2
	s_mov_b64 s[0:1], 0
	s_nop 0
	v_cndmask_b32_e32 v2, v7, v3, vcc
	global_store_short v[4:5], v2, off
.LBB12_526:
	s_mov_b64 s[6:7], 0
.LBB12_527:
	s_and_b64 vcc, exec, s[6:7]
	s_cbranch_vccz .LBB12_530
; %bb.528:
	v_cmp_ne_u16_e32 vcc, 11, v6
	s_andn2_b64 s[0:1], s[0:1], exec
	s_and_b64 s[6:7], vcc, exec
	s_mov_b64 s[4:5], -1
	s_or_b64 s[0:1], s[0:1], s[6:7]
	s_branch .LBB12_530
.LBB12_529:
	s_mov_b64 s[4:5], 0
.LBB12_530:
	s_and_b64 s[6:7], s[2:3], exec
	s_and_b64 s[2:3], s[4:5], exec
	s_andn2_b64 s[4:5], s[74:75], exec
	s_and_b64 s[0:1], s[0:1], exec
	s_or_b64 s[4:5], s[4:5], s[0:1]
.LBB12_531:
	s_or_b64 exec, exec, s[76:77]
	s_and_b64 s[0:1], s[2:3], exec
	s_andn2_b64 s[2:3], s[74:75], exec
	s_and_b64 s[4:5], s[4:5], exec
	s_and_b64 s[6:7], s[6:7], exec
	s_or_b64 s[74:75], s[2:3], s[4:5]
.LBB12_532:
	s_or_b64 exec, exec, s[72:73]
	s_and_b64 s[2:3], s[6:7], exec
	s_andn2_b64 s[4:5], s[68:69], exec
	s_and_b64 s[6:7], s[74:75], exec
	s_and_b64 s[0:1], s[0:1], exec
	s_or_b64 s[68:69], s[4:5], s[6:7]
.LBB12_533:
	s_or_b64 exec, exec, s[70:71]
	s_and_b64 s[70:71], s[0:1], exec
	s_andn2_b64 s[0:1], s[64:65], exec
	s_and_b64 s[4:5], s[68:69], exec
	s_and_b64 s[2:3], s[2:3], exec
	s_or_b64 s[64:65], s[0:1], s[4:5]
	s_or_b64 exec, exec, s[66:67]
	s_mov_b64 s[0:1], 0
	s_and_saveexec_b64 s[4:5], s[64:65]
	s_cbranch_execz .LBB12_148
.LBB12_534:
	s_mov_b64 s[0:1], exec
	s_andn2_b64 s[70:71], s[70:71], exec
	s_trap 2
	s_or_b64 exec, exec, s[4:5]
	s_and_saveexec_b64 s[4:5], s[70:71]
	s_xor_b64 s[4:5], exec, s[4:5]
	s_cbranch_execnz .LBB12_149
.LBB12_535:
	s_or_b64 exec, exec, s[4:5]
	s_and_saveexec_b64 s[4:5], s[2:3]
	s_xor_b64 s[2:3], exec, s[4:5]
	s_cbranch_execz .LBB12_573
.LBB12_536:
	v_cmp_gt_i16_e32 vcc, 5, v6
	s_mov_b64 s[4:5], -1
	s_cbranch_vccnz .LBB12_557
; %bb.537:
	v_cmp_gt_i16_e32 vcc, 8, v6
	s_cbranch_vccnz .LBB12_547
; %bb.538:
	v_cmp_gt_i16_e32 vcc, 9, v6
	s_cbranch_vccnz .LBB12_544
; %bb.539:
	v_cmp_lt_i16_e32 vcc, 9, v6
	s_cbranch_vccz .LBB12_541
; %bb.540:
	v_mov_b32_e32 v2, 0
	v_mov_b32_e32 v3, v2
	s_mov_b64 s[4:5], 0
	global_store_dwordx4 v[4:5], v[0:3], off
.LBB12_541:
	s_andn2_b64 vcc, exec, s[4:5]
	s_cbranch_vccnz .LBB12_543
; %bb.542:
	v_cvt_f32_f64_e32 v2, v[0:1]
	v_mov_b32_e32 v3, 0
	global_store_dwordx2 v[4:5], v[2:3], off
.LBB12_543:
	s_mov_b64 s[4:5], 0
.LBB12_544:
	s_andn2_b64 vcc, exec, s[4:5]
	s_cbranch_vccnz .LBB12_546
; %bb.545:
	v_cvt_f32_f64_e32 v2, v[0:1]
	v_cvt_f16_f32_e32 v2, v2
	global_store_dword v[4:5], v2, off
.LBB12_546:
	s_mov_b64 s[4:5], 0
.LBB12_547:
	s_andn2_b64 vcc, exec, s[4:5]
	s_cbranch_vccnz .LBB12_556
; %bb.548:
	v_cmp_gt_i16_e32 vcc, 6, v6
	s_mov_b64 s[4:5], -1
	s_cbranch_vccnz .LBB12_554
; %bb.549:
	v_cmp_lt_i16_e32 vcc, 6, v6
	s_cbranch_vccz .LBB12_551
; %bb.550:
	s_mov_b64 s[4:5], 0
	global_store_dwordx2 v[4:5], v[0:1], off
.LBB12_551:
	s_andn2_b64 vcc, exec, s[4:5]
	s_cbranch_vccnz .LBB12_553
; %bb.552:
	v_cvt_f32_f64_e32 v2, v[0:1]
	global_store_dword v[4:5], v2, off
.LBB12_553:
	s_mov_b64 s[4:5], 0
.LBB12_554:
	s_andn2_b64 vcc, exec, s[4:5]
	s_cbranch_vccnz .LBB12_556
; %bb.555:
	v_cvt_f32_f64_e32 v2, v[0:1]
	v_cvt_f16_f32_e32 v2, v2
	global_store_short v[4:5], v2, off
.LBB12_556:
	s_mov_b64 s[4:5], 0
.LBB12_557:
	s_andn2_b64 vcc, exec, s[4:5]
	s_cbranch_vccnz .LBB12_573
; %bb.558:
	v_cmp_gt_i16_e32 vcc, 2, v6
	s_mov_b64 s[4:5], -1
	s_cbranch_vccnz .LBB12_568
; %bb.559:
	v_cmp_gt_i16_e32 vcc, 3, v6
	s_cbranch_vccnz .LBB12_565
; %bb.560:
	v_cmp_lt_i16_e32 vcc, 3, v6
	s_cbranch_vccz .LBB12_562
; %bb.561:
	v_trunc_f64_e32 v[2:3], v[0:1]
	s_movk_i32 s4, 0xffe0
	v_ldexp_f64 v[8:9], v[2:3], s4
	v_floor_f64_e32 v[8:9], v[8:9]
	v_fmac_f64_e32 v[2:3], 0xc1f00000, v[8:9]
	v_cvt_i32_f64_e32 v11, v[8:9]
	v_cvt_u32_f64_e32 v10, v[2:3]
	s_mov_b64 s[4:5], 0
	global_store_dwordx2 v[4:5], v[10:11], off
.LBB12_562:
	s_andn2_b64 vcc, exec, s[4:5]
	s_cbranch_vccnz .LBB12_564
; %bb.563:
	v_cvt_i32_f64_e32 v2, v[0:1]
	global_store_dword v[4:5], v2, off
.LBB12_564:
	s_mov_b64 s[4:5], 0
.LBB12_565:
	s_andn2_b64 vcc, exec, s[4:5]
	s_cbranch_vccnz .LBB12_567
; %bb.566:
	v_cvt_i32_f64_e32 v2, v[0:1]
	global_store_short v[4:5], v2, off
.LBB12_567:
	s_mov_b64 s[4:5], 0
.LBB12_568:
	s_andn2_b64 vcc, exec, s[4:5]
	s_cbranch_vccnz .LBB12_573
; %bb.569:
	v_cmp_lt_i16_e32 vcc, 0, v6
	s_mov_b64 s[4:5], -1
	s_cbranch_vccz .LBB12_571
; %bb.570:
	v_cvt_i32_f64_e32 v2, v[0:1]
	s_mov_b64 s[4:5], 0
	global_store_byte v[4:5], v2, off
.LBB12_571:
	s_andn2_b64 vcc, exec, s[4:5]
	s_cbranch_vccnz .LBB12_573
; %bb.572:
	v_trunc_f64_e32 v[0:1], v[0:1]
	s_movk_i32 s4, 0xffe0
	v_ldexp_f64 v[2:3], v[0:1], s4
	v_floor_f64_e32 v[2:3], v[2:3]
	v_fmac_f64_e32 v[0:1], 0xc1f00000, v[2:3]
	v_cvt_u32_f64_e32 v0, v[0:1]
	global_store_byte v[4:5], v0, off
.LBB12_573:
	s_or_b64 exec, exec, s[2:3]
	s_waitcnt lgkmcnt(0)
	s_and_b64 s[40:41], s[0:1], exec
                                        ; implicit-def: $vgpr6
                                        ; implicit-def: $vgpr38
.LBB12_574:
	s_or_saveexec_b64 s[42:43], s[54:55]
	s_mov_b64 s[0:1], 0
                                        ; implicit-def: $vgpr7
                                        ; implicit-def: $vgpr4_vgpr5
                                        ; implicit-def: $vgpr0_vgpr1
	s_xor_b64 exec, exec, s[42:43]
	s_cbranch_execz .LBB12_1081
; %bb.575:
	v_cndmask_b32_e64 v0, 0, 1, s[52:53]
	v_cmp_ne_u32_e64 s[0:1], 1, v0
	s_andn2_b64 vcc, exec, s[52:53]
	s_cbranch_vccnz .LBB12_582
; %bb.576:
	s_mov_b32 s2, 0
	s_cmp_lg_u32 s33, 0
	v_mov_b32_e32 v2, 0
	v_mov_b32_e32 v50, 0
	s_cbranch_scc0 .LBB12_581
; %bb.577:
	s_min_u32 s28, s78, 15
	s_add_i32 s28, s28, 1
	s_cmp_eq_u32 s78, 2
	s_cbranch_scc1 .LBB12_583
; %bb.578:
	s_add_u32 s24, s48, 0xc4
	s_addc_u32 s25, s49, 0
	s_and_b32 s2, s28, 28
	s_mov_b32 s3, 0
	v_mov_b32_e32 v50, 0
	s_mov_b64 s[26:27], s[48:49]
	v_mov_b32_e32 v0, v38
	v_mov_b32_e32 v2, 0
.LBB12_579:                             ; =>This Inner Loop Header: Depth=1
	s_load_dwordx8 s[12:19], s[26:27], 0x4
	s_load_dwordx4 s[20:23], s[26:27], 0x24
	s_load_dwordx8 s[4:11], s[24:25], 0x0
	s_add_u32 s26, s26, 48
	s_addc_u32 s27, s27, 0
	s_waitcnt lgkmcnt(0)
	v_mul_hi_u32 v1, s13, v0
	v_add_u32_e32 v1, v0, v1
	v_lshrrev_b32_e32 v1, s14, v1
	v_mul_lo_u32 v3, v1, s12
	v_mul_hi_u32 v4, s16, v1
	v_sub_u32_e32 v0, v0, v3
	v_add_u32_e32 v3, v1, v4
	v_lshrrev_b32_e32 v3, s17, v3
	v_mul_lo_u32 v5, v3, s15
	v_mul_hi_u32 v7, s19, v3
	v_sub_u32_e32 v1, v1, v5
	v_add_u32_e32 v5, v3, v7
	v_mul_lo_u32 v4, v0, s5
	v_mul_lo_u32 v0, v0, s4
	;; [unrolled: 1-line block ×4, first 2 shown]
	v_lshrrev_b32_e32 v5, s20, v5
	v_add3_u32 v1, v0, v50, v1
	v_add3_u32 v2, v4, v2, v7
	v_mul_lo_u32 v0, v5, s18
	v_mul_hi_u32 v4, s22, v5
	v_sub_u32_e32 v0, v3, v0
	v_add_u32_e32 v3, v5, v4
	v_mul_lo_u32 v4, v0, s8
	v_mul_lo_u32 v7, v0, s9
	v_lshrrev_b32_e32 v0, s23, v3
	s_add_i32 s3, s3, 4
	v_mul_lo_u32 v3, v0, s21
	s_add_u32 s24, s24, 32
	v_sub_u32_e32 v3, v5, v3
	s_addc_u32 s25, s25, 0
	v_mul_lo_u32 v5, v3, s10
	v_mul_lo_u32 v3, v3, s11
	s_cmp_lg_u32 s2, s3
	v_add3_u32 v2, v7, v2, v3
	v_add3_u32 v50, v4, v1, v5
	s_cbranch_scc1 .LBB12_579
; %bb.580:
	v_mov_b32_e32 v51, v2
	s_and_b32 s6, s28, 3
	s_cmp_eq_u32 s6, 0
	s_cbranch_scc0 .LBB12_584
.LBB12_581:
	s_cbranch_execz .LBB12_587
	s_branch .LBB12_589
.LBB12_582:
                                        ; implicit-def: $vgpr2
                                        ; implicit-def: $vgpr50
	s_branch .LBB12_587
.LBB12_583:
	s_mov_b32 s3, s2
	v_mov_b64_e32 v[50:51], s[2:3]
                                        ; implicit-def: $vgpr2
	v_mov_b32_e32 v0, v38
	s_and_b32 s6, s28, 3
	s_cmp_eq_u32 s6, 0
	s_cbranch_scc1 .LBB12_581
.LBB12_584:
	s_lshl_b32 s3, s2, 3
	s_add_u32 s3, s3, s48
	s_addc_u32 s5, 0, s49
	s_add_u32 s4, s3, 0xc4
	s_addc_u32 s5, s5, 0
	s_mul_i32 s2, s2, 12
	s_add_u32 s2, s48, s2
	s_addc_u32 s3, 0, s49
.LBB12_585:                             ; =>This Inner Loop Header: Depth=1
	s_load_dwordx2 s[8:9], s[2:3], 0x4
	s_load_dword s7, s[2:3], 0xc
	s_load_dwordx2 s[10:11], s[4:5], 0x0
	s_add_u32 s2, s2, 12
	s_addc_u32 s3, s3, 0
	s_waitcnt lgkmcnt(0)
	v_mul_hi_u32 v1, s9, v0
	v_add_u32_e32 v1, v0, v1
	v_lshrrev_b32_e32 v1, s7, v1
	v_mul_lo_u32 v3, v1, s8
	v_mov_b32_e32 v2, v51
	s_add_u32 s4, s4, 8
	v_sub_u32_e32 v4, v0, v3
	s_addc_u32 s5, s5, 0
	s_add_i32 s6, s6, -1
	v_mad_u64_u32 v[2:3], s[8:9], v4, s11, v[2:3]
	v_mad_u64_u32 v[50:51], s[8:9], v4, s10, v[50:51]
	s_cmp_lg_u32 s6, 0
	v_mov_b32_e32 v0, v1
	v_mov_b32_e32 v51, v2
	s_cbranch_scc1 .LBB12_585
; %bb.586:
	v_mov_b32_e32 v2, v51
	s_cbranch_execnz .LBB12_589
.LBB12_587:
	s_load_dwordx4 s[4:7], s[48:49], 0x4
	s_load_dwordx2 s[2:3], s[48:49], 0xc4
	s_cmp_lt_u32 s33, 2
	s_waitcnt lgkmcnt(0)
	v_mul_hi_u32 v0, s5, v38
	v_add_u32_e32 v0, v38, v0
	v_lshrrev_b32_e32 v0, s6, v0
	v_mul_lo_u32 v1, v0, s4
	v_sub_u32_e32 v1, v38, v1
	v_mul_lo_u32 v2, v1, s3
	v_mul_lo_u32 v50, v1, s2
	s_cbranch_scc1 .LBB12_589
; %bb.588:
	s_load_dwordx4 s[4:7], s[48:49], 0x10
	s_load_dwordx2 s[2:3], s[48:49], 0xcc
	s_waitcnt lgkmcnt(0)
	v_mul_hi_u32 v1, s5, v0
	v_add_u32_e32 v1, v0, v1
	v_lshrrev_b32_e32 v1, s6, v1
	v_mul_lo_u32 v1, v1, s4
	v_sub_u32_e32 v0, v0, v1
	v_mad_u64_u32 v[50:51], s[4:5], v0, s2, v[50:51]
	v_mad_u64_u32 v[2:3], s[2:3], v0, s3, v[2:3]
.LBB12_589:
	s_and_b64 vcc, exec, s[0:1]
	v_add_u32_e32 v0, 0x80, v38
	s_cbranch_vccnz .LBB12_596
; %bb.590:
	s_mov_b32 s2, 0
	s_cmp_lg_u32 s33, 0
	v_mov_b32_e32 v34, 0
	v_mov_b32_e32 v48, 0
	s_cbranch_scc0 .LBB12_595
; %bb.591:
	s_min_u32 s28, s78, 15
	s_add_i32 s28, s28, 1
	s_cmp_eq_u32 s78, 2
	s_cbranch_scc1 .LBB12_597
; %bb.592:
	s_add_u32 s24, s48, 0xc4
	s_addc_u32 s25, s49, 0
	s_and_b32 s2, s28, 28
	s_mov_b32 s3, 0
	v_mov_b32_e32 v48, 0
	s_mov_b64 s[26:27], s[48:49]
	v_mov_b32_e32 v1, v0
	v_mov_b32_e32 v34, 0
.LBB12_593:                             ; =>This Inner Loop Header: Depth=1
	s_load_dwordx8 s[12:19], s[26:27], 0x4
	s_load_dwordx4 s[20:23], s[26:27], 0x24
	s_load_dwordx8 s[4:11], s[24:25], 0x0
	s_add_u32 s26, s26, 48
	s_addc_u32 s27, s27, 0
	s_waitcnt lgkmcnt(0)
	v_mul_hi_u32 v3, s13, v1
	v_add_u32_e32 v3, v1, v3
	v_lshrrev_b32_e32 v3, s14, v3
	v_mul_lo_u32 v4, v3, s12
	v_mul_hi_u32 v5, s16, v3
	v_sub_u32_e32 v1, v1, v4
	v_add_u32_e32 v4, v3, v5
	v_lshrrev_b32_e32 v4, s17, v4
	v_mul_lo_u32 v7, v4, s15
	v_mul_hi_u32 v8, s19, v4
	v_sub_u32_e32 v3, v3, v7
	v_add_u32_e32 v7, v4, v8
	v_mul_lo_u32 v5, v1, s5
	v_mul_lo_u32 v1, v1, s4
	;; [unrolled: 1-line block ×4, first 2 shown]
	v_lshrrev_b32_e32 v7, s20, v7
	v_add3_u32 v3, v1, v48, v3
	v_add3_u32 v5, v5, v34, v8
	v_mul_lo_u32 v1, v7, s18
	v_mul_hi_u32 v8, s22, v7
	v_sub_u32_e32 v1, v4, v1
	v_add_u32_e32 v4, v7, v8
	v_mul_lo_u32 v8, v1, s8
	v_mul_lo_u32 v9, v1, s9
	v_lshrrev_b32_e32 v1, s23, v4
	s_add_i32 s3, s3, 4
	v_mul_lo_u32 v4, v1, s21
	s_add_u32 s24, s24, 32
	v_sub_u32_e32 v4, v7, v4
	s_addc_u32 s25, s25, 0
	v_mul_lo_u32 v7, v4, s10
	v_mul_lo_u32 v4, v4, s11
	s_cmp_lg_u32 s2, s3
	v_add3_u32 v34, v9, v5, v4
	v_add3_u32 v48, v8, v3, v7
	s_cbranch_scc1 .LBB12_593
; %bb.594:
	v_mov_b32_e32 v49, v34
	s_and_b32 s6, s28, 3
	s_cmp_eq_u32 s6, 0
	s_cbranch_scc0 .LBB12_598
.LBB12_595:
	s_cbranch_execz .LBB12_601
	s_branch .LBB12_603
.LBB12_596:
                                        ; implicit-def: $vgpr34
                                        ; implicit-def: $vgpr48
	s_branch .LBB12_601
.LBB12_597:
	s_mov_b32 s3, s2
	v_mov_b64_e32 v[48:49], s[2:3]
                                        ; implicit-def: $vgpr34
	v_mov_b32_e32 v1, v0
	s_and_b32 s6, s28, 3
	s_cmp_eq_u32 s6, 0
	s_cbranch_scc1 .LBB12_595
.LBB12_598:
	s_lshl_b32 s3, s2, 3
	s_add_u32 s3, s3, s48
	s_addc_u32 s5, 0, s49
	s_add_u32 s4, s3, 0xc4
	s_addc_u32 s5, s5, 0
	s_mul_i32 s2, s2, 12
	s_add_u32 s2, s48, s2
	s_addc_u32 s3, 0, s49
.LBB12_599:                             ; =>This Inner Loop Header: Depth=1
	s_load_dwordx2 s[8:9], s[2:3], 0x4
	s_load_dword s7, s[2:3], 0xc
	s_load_dwordx2 s[10:11], s[4:5], 0x0
	s_add_u32 s2, s2, 12
	s_addc_u32 s3, s3, 0
	s_waitcnt lgkmcnt(0)
	v_mul_hi_u32 v3, s9, v1
	v_add_u32_e32 v3, v1, v3
	v_lshrrev_b32_e32 v3, s7, v3
	v_mul_lo_u32 v5, v3, s8
	v_mov_b32_e32 v4, v49
	s_add_u32 s4, s4, 8
	v_sub_u32_e32 v7, v1, v5
	s_addc_u32 s5, s5, 0
	s_add_i32 s6, s6, -1
	v_mad_u64_u32 v[4:5], s[8:9], v7, s11, v[4:5]
	v_mad_u64_u32 v[48:49], s[8:9], v7, s10, v[48:49]
	s_cmp_lg_u32 s6, 0
	v_mov_b32_e32 v1, v3
	v_mov_b32_e32 v49, v4
	s_cbranch_scc1 .LBB12_599
; %bb.600:
	v_mov_b32_e32 v34, v49
	s_cbranch_execnz .LBB12_603
.LBB12_601:
	s_load_dwordx4 s[4:7], s[48:49], 0x4
	s_load_dwordx2 s[2:3], s[48:49], 0xc4
	s_cmp_lt_u32 s33, 2
	s_waitcnt lgkmcnt(0)
	v_mul_hi_u32 v1, s5, v0
	v_add_u32_e32 v1, v0, v1
	v_lshrrev_b32_e32 v1, s6, v1
	v_mul_lo_u32 v3, v1, s4
	v_sub_u32_e32 v0, v0, v3
	v_mul_lo_u32 v34, v0, s3
	v_mul_lo_u32 v48, v0, s2
	s_cbranch_scc1 .LBB12_603
; %bb.602:
	s_load_dwordx4 s[4:7], s[48:49], 0x10
	s_load_dwordx2 s[2:3], s[48:49], 0xcc
	s_waitcnt lgkmcnt(0)
	v_mul_hi_u32 v0, s5, v1
	v_add_u32_e32 v0, v1, v0
	v_lshrrev_b32_e32 v0, s6, v0
	v_mul_lo_u32 v0, v0, s4
	v_sub_u32_e32 v0, v1, v0
	v_mad_u64_u32 v[48:49], s[4:5], v0, s2, v[48:49]
	v_mad_u64_u32 v[34:35], s[2:3], v0, s3, v[34:35]
.LBB12_603:
	s_and_b64 vcc, exec, s[0:1]
	v_add_u32_e32 v0, 0x100, v38
	s_cbranch_vccnz .LBB12_610
; %bb.604:
	s_mov_b32 s2, 0
	s_cmp_lg_u32 s33, 0
	v_mov_b32_e32 v40, 0
	v_mov_b32_e32 v46, 0
	s_cbranch_scc0 .LBB12_609
; %bb.605:
	s_min_u32 s28, s78, 15
	s_add_i32 s28, s28, 1
	s_cmp_eq_u32 s78, 2
	s_cbranch_scc1 .LBB12_611
; %bb.606:
	s_add_u32 s24, s48, 0xc4
	s_addc_u32 s25, s49, 0
	s_and_b32 s2, s28, 28
	s_mov_b32 s3, 0
	v_mov_b32_e32 v46, 0
	s_mov_b64 s[26:27], s[48:49]
	v_mov_b32_e32 v1, v0
	v_mov_b32_e32 v40, 0
.LBB12_607:                             ; =>This Inner Loop Header: Depth=1
	s_load_dwordx8 s[12:19], s[26:27], 0x4
	s_load_dwordx4 s[20:23], s[26:27], 0x24
	s_load_dwordx8 s[4:11], s[24:25], 0x0
	s_add_u32 s26, s26, 48
	s_addc_u32 s27, s27, 0
	s_waitcnt lgkmcnt(0)
	v_mul_hi_u32 v3, s13, v1
	v_add_u32_e32 v3, v1, v3
	v_lshrrev_b32_e32 v3, s14, v3
	v_mul_lo_u32 v4, v3, s12
	v_mul_hi_u32 v5, s16, v3
	v_sub_u32_e32 v1, v1, v4
	v_add_u32_e32 v4, v3, v5
	v_lshrrev_b32_e32 v4, s17, v4
	v_mul_lo_u32 v7, v4, s15
	v_mul_hi_u32 v8, s19, v4
	v_sub_u32_e32 v3, v3, v7
	v_add_u32_e32 v7, v4, v8
	v_mul_lo_u32 v5, v1, s5
	v_mul_lo_u32 v1, v1, s4
	;; [unrolled: 1-line block ×4, first 2 shown]
	v_lshrrev_b32_e32 v7, s20, v7
	v_add3_u32 v3, v1, v46, v3
	v_add3_u32 v5, v5, v40, v8
	v_mul_lo_u32 v1, v7, s18
	v_mul_hi_u32 v8, s22, v7
	v_sub_u32_e32 v1, v4, v1
	v_add_u32_e32 v4, v7, v8
	v_mul_lo_u32 v8, v1, s8
	v_mul_lo_u32 v9, v1, s9
	v_lshrrev_b32_e32 v1, s23, v4
	s_add_i32 s3, s3, 4
	v_mul_lo_u32 v4, v1, s21
	s_add_u32 s24, s24, 32
	v_sub_u32_e32 v4, v7, v4
	s_addc_u32 s25, s25, 0
	v_mul_lo_u32 v7, v4, s10
	v_mul_lo_u32 v4, v4, s11
	s_cmp_lg_u32 s2, s3
	v_add3_u32 v40, v9, v5, v4
	v_add3_u32 v46, v8, v3, v7
	s_cbranch_scc1 .LBB12_607
; %bb.608:
	v_mov_b32_e32 v47, v40
	s_and_b32 s6, s28, 3
	s_cmp_eq_u32 s6, 0
	s_cbranch_scc0 .LBB12_612
.LBB12_609:
	s_cbranch_execz .LBB12_615
	s_branch .LBB12_617
.LBB12_610:
                                        ; implicit-def: $vgpr40
                                        ; implicit-def: $vgpr46
	s_branch .LBB12_615
.LBB12_611:
	s_mov_b32 s3, s2
	v_mov_b64_e32 v[46:47], s[2:3]
                                        ; implicit-def: $vgpr40
	v_mov_b32_e32 v1, v0
	s_and_b32 s6, s28, 3
	s_cmp_eq_u32 s6, 0
	s_cbranch_scc1 .LBB12_609
.LBB12_612:
	s_lshl_b32 s3, s2, 3
	s_add_u32 s3, s3, s48
	s_addc_u32 s5, 0, s49
	s_add_u32 s4, s3, 0xc4
	s_addc_u32 s5, s5, 0
	s_mul_i32 s2, s2, 12
	s_add_u32 s2, s48, s2
	s_addc_u32 s3, 0, s49
.LBB12_613:                             ; =>This Inner Loop Header: Depth=1
	s_load_dwordx2 s[8:9], s[2:3], 0x4
	s_load_dword s7, s[2:3], 0xc
	s_load_dwordx2 s[10:11], s[4:5], 0x0
	s_add_u32 s2, s2, 12
	s_addc_u32 s3, s3, 0
	s_waitcnt lgkmcnt(0)
	v_mul_hi_u32 v3, s9, v1
	v_add_u32_e32 v3, v1, v3
	v_lshrrev_b32_e32 v3, s7, v3
	v_mul_lo_u32 v5, v3, s8
	v_mov_b32_e32 v4, v47
	s_add_u32 s4, s4, 8
	v_sub_u32_e32 v7, v1, v5
	s_addc_u32 s5, s5, 0
	s_add_i32 s6, s6, -1
	v_mad_u64_u32 v[4:5], s[8:9], v7, s11, v[4:5]
	v_mad_u64_u32 v[46:47], s[8:9], v7, s10, v[46:47]
	s_cmp_lg_u32 s6, 0
	v_mov_b32_e32 v1, v3
	v_mov_b32_e32 v47, v4
	s_cbranch_scc1 .LBB12_613
; %bb.614:
	v_mov_b32_e32 v40, v47
	s_cbranch_execnz .LBB12_617
.LBB12_615:
	s_load_dwordx4 s[4:7], s[48:49], 0x4
	s_load_dwordx2 s[2:3], s[48:49], 0xc4
	s_cmp_lt_u32 s33, 2
	s_waitcnt lgkmcnt(0)
	v_mul_hi_u32 v1, s5, v0
	v_add_u32_e32 v1, v0, v1
	v_lshrrev_b32_e32 v1, s6, v1
	v_mul_lo_u32 v3, v1, s4
	v_sub_u32_e32 v0, v0, v3
	v_mul_lo_u32 v40, v0, s3
	v_mul_lo_u32 v46, v0, s2
	s_cbranch_scc1 .LBB12_617
; %bb.616:
	s_load_dwordx4 s[4:7], s[48:49], 0x10
	s_load_dwordx2 s[2:3], s[48:49], 0xcc
	s_waitcnt lgkmcnt(0)
	v_mul_hi_u32 v0, s5, v1
	v_add_u32_e32 v0, v1, v0
	v_lshrrev_b32_e32 v0, s6, v0
	v_mul_lo_u32 v0, v0, s4
	v_sub_u32_e32 v0, v1, v0
	v_mad_u64_u32 v[46:47], s[4:5], v0, s2, v[46:47]
	v_mad_u64_u32 v[40:41], s[2:3], v0, s3, v[40:41]
.LBB12_617:
	s_and_b64 vcc, exec, s[0:1]
	s_cbranch_vccnz .LBB12_624
; %bb.618:
	s_mov_b32 s20, 0
	s_cmp_lg_u32 s33, 0
	v_mov_b32_e32 v42, 0
	v_mov_b32_e32 v44, 0
	s_cbranch_scc0 .LBB12_623
; %bb.619:
	s_min_u32 s26, s78, 15
	s_add_i32 s26, s26, 1
	s_cmp_eq_u32 s78, 2
	s_cbranch_scc1 .LBB12_625
; %bb.620:
	s_add_u32 s22, s48, 0xc4
	s_addc_u32 s23, s49, 0
	s_and_b32 s20, s26, 28
	s_mov_b32 s21, 0
	v_mov_b32_e32 v44, 0
	s_mov_b64 s[24:25], s[48:49]
	v_mov_b32_e32 v0, v6
	v_mov_b32_e32 v42, 0
.LBB12_621:                             ; =>This Inner Loop Header: Depth=1
	s_load_dwordx8 s[8:15], s[24:25], 0x4
	s_load_dwordx4 s[16:19], s[24:25], 0x24
	s_load_dwordx8 s[0:7], s[22:23], 0x0
	s_add_u32 s24, s24, 48
	s_addc_u32 s25, s25, 0
	s_waitcnt lgkmcnt(0)
	v_mul_hi_u32 v1, s9, v0
	v_add_u32_e32 v1, v0, v1
	v_lshrrev_b32_e32 v1, s10, v1
	v_mul_lo_u32 v3, v1, s8
	v_mul_hi_u32 v4, s12, v1
	v_sub_u32_e32 v0, v0, v3
	v_add_u32_e32 v3, v1, v4
	v_lshrrev_b32_e32 v3, s13, v3
	v_mul_lo_u32 v5, v3, s11
	v_mul_hi_u32 v7, s15, v3
	v_sub_u32_e32 v1, v1, v5
	v_add_u32_e32 v5, v3, v7
	v_mul_lo_u32 v4, v0, s1
	v_mul_lo_u32 v0, v0, s0
	;; [unrolled: 1-line block ×4, first 2 shown]
	v_lshrrev_b32_e32 v5, s16, v5
	v_add3_u32 v1, v0, v44, v1
	v_add3_u32 v4, v4, v42, v7
	v_mul_lo_u32 v0, v5, s14
	v_mul_hi_u32 v7, s18, v5
	v_sub_u32_e32 v0, v3, v0
	v_add_u32_e32 v3, v5, v7
	v_mul_lo_u32 v7, v0, s4
	v_mul_lo_u32 v8, v0, s5
	v_lshrrev_b32_e32 v0, s19, v3
	s_add_i32 s21, s21, 4
	v_mul_lo_u32 v3, v0, s17
	s_add_u32 s22, s22, 32
	v_sub_u32_e32 v3, v5, v3
	s_addc_u32 s23, s23, 0
	v_mul_lo_u32 v5, v3, s6
	v_mul_lo_u32 v3, v3, s7
	s_cmp_lg_u32 s20, s21
	v_add3_u32 v42, v8, v4, v3
	v_add3_u32 v44, v7, v1, v5
	s_cbranch_scc1 .LBB12_621
; %bb.622:
	v_mov_b32_e32 v45, v42
	s_and_b32 s4, s26, 3
	s_cmp_eq_u32 s4, 0
	s_cbranch_scc0 .LBB12_626
.LBB12_623:
	s_cbranch_execz .LBB12_629
	s_branch .LBB12_631
.LBB12_624:
                                        ; implicit-def: $vgpr42
                                        ; implicit-def: $vgpr44
	s_branch .LBB12_629
.LBB12_625:
	s_mov_b32 s21, s20
	v_mov_b64_e32 v[44:45], s[20:21]
                                        ; implicit-def: $vgpr42
	v_mov_b32_e32 v0, v6
	s_and_b32 s4, s26, 3
	s_cmp_eq_u32 s4, 0
	s_cbranch_scc1 .LBB12_623
.LBB12_626:
	s_lshl_b32 s0, s20, 3
	s_add_u32 s0, s0, s48
	s_addc_u32 s1, 0, s49
	s_add_u32 s0, s0, 0xc4
	s_addc_u32 s1, s1, 0
	s_mul_i32 s2, s20, 12
	s_add_u32 s2, s48, s2
	s_addc_u32 s3, 0, s49
.LBB12_627:                             ; =>This Inner Loop Header: Depth=1
	s_load_dwordx2 s[6:7], s[2:3], 0x4
	s_load_dword s5, s[2:3], 0xc
	s_load_dwordx2 s[8:9], s[0:1], 0x0
	s_add_u32 s2, s2, 12
	s_addc_u32 s3, s3, 0
	s_waitcnt lgkmcnt(0)
	v_mul_hi_u32 v1, s7, v0
	v_add_u32_e32 v1, v0, v1
	v_lshrrev_b32_e32 v1, s5, v1
	v_mul_lo_u32 v3, v1, s6
	v_mov_b32_e32 v4, v45
	s_add_u32 s0, s0, 8
	v_sub_u32_e32 v3, v0, v3
	s_addc_u32 s1, s1, 0
	s_add_i32 s4, s4, -1
	v_mad_u64_u32 v[4:5], s[6:7], v3, s9, v[4:5]
	v_mad_u64_u32 v[44:45], s[6:7], v3, s8, v[44:45]
	s_cmp_lg_u32 s4, 0
	v_mov_b32_e32 v0, v1
	v_mov_b32_e32 v45, v4
	s_cbranch_scc1 .LBB12_627
; %bb.628:
	v_mov_b32_e32 v42, v45
	s_cbranch_execnz .LBB12_631
.LBB12_629:
	s_load_dwordx4 s[0:3], s[48:49], 0x4
	s_load_dwordx2 s[4:5], s[48:49], 0xc4
	s_cmp_lt_u32 s33, 2
	s_waitcnt lgkmcnt(0)
	v_mul_hi_u32 v0, s1, v6
	v_add_u32_e32 v0, v6, v0
	v_lshrrev_b32_e32 v0, s2, v0
	v_mul_lo_u32 v1, v0, s0
	v_sub_u32_e32 v1, v6, v1
	v_mul_lo_u32 v42, v1, s5
	v_mul_lo_u32 v44, v1, s4
	s_cbranch_scc1 .LBB12_631
; %bb.630:
	s_load_dwordx4 s[0:3], s[48:49], 0x10
	s_load_dwordx2 s[4:5], s[48:49], 0xcc
	s_waitcnt lgkmcnt(0)
	v_mul_hi_u32 v1, s1, v0
	v_add_u32_e32 v1, v0, v1
	v_lshrrev_b32_e32 v1, s2, v1
	v_mul_lo_u32 v1, v1, s0
	v_sub_u32_e32 v0, v0, v1
	v_mad_u64_u32 v[44:45], s[0:1], v0, s4, v[44:45]
	v_mad_u64_u32 v[42:43], s[0:1], v0, s5, v[42:43]
.LBB12_631:
	s_load_dword s33, s[34:35], 0x160
	s_load_dwordx4 s[36:39], s[48:49], 0x148
	s_getpc_b64 s[34:35]
	s_add_u32 s34, s34, _ZN2at6native6invokeIZZZNS0_12_GLOBAL__N_121bessel_y0_kernel_cudaERNS_18TensorIteratorBaseEENKUlvE_clEvENKUlvE_clEvEUldE_j15function_traitsIS7_EEENT1_11result_typeERKT_PrKPcPKT0_PKN3c1010ScalarTypeEi@rel32@lo+4
	s_addc_u32 s35, s35, _ZN2at6native6invokeIZZZNS0_12_GLOBAL__N_121bessel_y0_kernel_cudaERNS_18TensorIteratorBaseEENKUlvE_clEvENKUlvE_clEvEUldE_j15function_traitsIS7_EEENT1_11result_typeERKT_PrKPcPKT0_PKN3c1010ScalarTypeEi@rel32@hi+12
	s_waitcnt lgkmcnt(0)
	s_lshr_b32 s44, s33, 16
	v_mov_b32_e32 v0, s38
	v_mov_b32_e32 v1, s39
	v_mov_b32_e32 v3, s44
	s_swappc_b64 s[30:31], s[34:35]
	v_mov_b32_e32 v38, v0
	v_mov_b32_e32 v39, v1
	v_mov_b32_e32 v0, s38
	v_mov_b32_e32 v1, s39
	v_mov_b32_e32 v2, v34
	v_mov_b32_e32 v3, s44
	s_swappc_b64 s[30:31], s[34:35]
	v_mov_b32_e32 v36, v0
	v_mov_b32_e32 v37, v1
	v_mov_b32_e32 v0, s38
	;; [unrolled: 7-line block ×3, first 2 shown]
	v_mov_b32_e32 v1, s39
	v_mov_b32_e32 v2, v42
	;; [unrolled: 1-line block ×3, first 2 shown]
	s_swappc_b64 s[30:31], s[34:35]
	s_lshr_b32 s12, s33, 8
	v_mov_b32_e32 v4, 11
	v_mov_b32_e32 v51, 0
	v_cmp_lt_i16_sdwa s[0:1], s12, v4 src0_sel:BYTE_0 src1_sel:DWORD
	v_lshl_add_u64 v[2:3], s[36:37], 0, v[50:51]
	s_and_b64 vcc, exec, s[0:1]
	s_cbranch_vccnz .LBB12_638
; %bb.632:
	v_mov_b32_e32 v4, 25
	v_cmp_gt_i16_sdwa s[0:1], s12, v4 src0_sel:BYTE_0 src1_sel:DWORD
	s_mov_b64 s[2:3], -1
	s_mov_b64 s[4:5], 0
	s_and_b64 vcc, exec, s[0:1]
	s_mov_b64 s[6:7], 0
	s_mov_b64 s[0:1], 0
	s_cbranch_vccz .LBB12_668
; %bb.633:
	v_mov_b32_e32 v4, 28
	v_cmp_gt_i16_sdwa s[0:1], s12, v4 src0_sel:BYTE_0 src1_sel:DWORD
	s_and_b64 vcc, exec, s[0:1]
	s_cbranch_vccz .LBB12_640
; %bb.634:
	v_mov_b32_e32 v4, 43
	v_cmp_gt_i16_sdwa s[0:1], s12, v4 src0_sel:BYTE_0 src1_sel:DWORD
	s_and_b64 vcc, exec, s[0:1]
	;; [unrolled: 5-line block ×3, first 2 shown]
	s_cbranch_vccz .LBB12_642
; %bb.636:
	v_mov_b32_e32 v4, 46
	v_cmp_eq_u16_sdwa s[6:7], s12, v4 src0_sel:BYTE_0 src1_sel:DWORD
	s_mov_b64 s[0:1], -1
	s_mov_b64 s[2:3], 0
	s_and_b64 vcc, exec, s[6:7]
	s_mov_b64 s[6:7], 0
	s_cbranch_vccz .LBB12_643
; %bb.637:
	v_cvt_f32_f64_e32 v4, v[38:39]
	v_bfe_u32 v5, v4, 16, 1
	s_movk_i32 s0, 0x7fff
	v_add3_u32 v5, v4, v5, s0
	v_lshrrev_b32_e32 v5, 16, v5
	v_mov_b32_e32 v6, 0x7fc0
	v_cmp_o_f32_e32 vcc, v4, v4
	s_mov_b64 s[0:1], 0
	s_mov_b64 s[6:7], -1
	v_cndmask_b32_e32 v4, v6, v5, vcc
	global_store_dword v[2:3], v4, off
	s_branch .LBB12_643
.LBB12_638:
	s_mov_b64 s[6:7], 0
	s_mov_b64 s[2:3], s[40:41]
	s_cbranch_execnz .LBB12_712
.LBB12_639:
	s_andn2_b64 vcc, exec, s[6:7]
	s_cbranch_vccz .LBB12_750
	s_branch .LBB12_1079
.LBB12_640:
	s_mov_b64 s[0:1], 0
	s_and_b64 vcc, exec, s[2:3]
	s_cbranch_vccz .LBB12_667
	s_branch .LBB12_652
.LBB12_641:
	s_mov_b64 s[0:1], 0
	s_and_b64 vcc, exec, s[2:3]
	s_cbranch_vccnz .LBB12_649
	s_branch .LBB12_651
.LBB12_642:
	s_mov_b64 s[0:1], 0
.LBB12_643:
	s_and_b64 vcc, exec, s[2:3]
	s_cbranch_vccz .LBB12_648
; %bb.644:
	v_mov_b32_e32 v4, 44
	v_cmp_eq_u16_sdwa s[2:3], s12, v4 src0_sel:BYTE_0 src1_sel:DWORD
	s_mov_b64 s[0:1], -1
	s_and_b64 vcc, exec, s[2:3]
	s_cbranch_vccz .LBB12_648
; %bb.645:
	v_cvt_f32_f64_e32 v4, v[38:39]
	v_bfe_u32 v5, v4, 23, 8
	s_movk_i32 s0, 0xff
	v_cmp_ne_u32_e32 vcc, s0, v5
	v_mov_b32_e32 v6, 0xff
	s_and_saveexec_b64 s[2:3], vcc
; %bb.646:
	s_mov_b32 s0, 0x3fffff
	v_lshrrev_b32_e32 v6, 23, v4
	v_and_b32_e32 v7, 0x400000, v4
	v_and_or_b32 v4, v4, s0, v5
	v_cmp_ne_u32_e32 vcc, 0, v7
	v_cmp_ne_u32_e64 s[0:1], 0, v4
	s_and_b64 s[0:1], vcc, s[0:1]
	s_nop 0
	v_cndmask_b32_e64 v4, 0, 1, s[0:1]
	v_add_u32_e32 v6, v6, v4
; %bb.647:
	s_or_b64 exec, exec, s[2:3]
	s_mov_b64 s[0:1], 0
	s_mov_b64 s[6:7], -1
	global_store_byte v[2:3], v6, off
.LBB12_648:
	s_branch .LBB12_651
.LBB12_649:
	v_mov_b32_e32 v4, 29
	v_cmp_eq_u16_sdwa s[2:3], s12, v4 src0_sel:BYTE_0 src1_sel:DWORD
	s_mov_b64 s[0:1], -1
	s_and_b64 vcc, exec, s[2:3]
	s_cbranch_vccz .LBB12_651
; %bb.650:
	v_trunc_f64_e32 v[4:5], v[38:39]
	s_movk_i32 s0, 0xffe0
	v_ldexp_f64 v[6:7], v[4:5], s0
	v_floor_f64_e32 v[6:7], v[6:7]
	v_fmac_f64_e32 v[4:5], 0xc1f00000, v[6:7]
	v_cvt_u32_f64_e32 v9, v[6:7]
	v_cvt_u32_f64_e32 v8, v[4:5]
	global_store_dwordx2 v[2:3], v[8:9], off
	s_mov_b64 s[0:1], 0
	s_mov_b64 s[6:7], -1
.LBB12_651:
	s_branch .LBB12_667
.LBB12_652:
	v_mov_b32_e32 v4, 27
	v_cmp_lt_i16_sdwa s[6:7], s12, v4 src0_sel:BYTE_0 src1_sel:DWORD
	s_mov_b64 s[2:3], -1
	s_and_b64 vcc, exec, s[6:7]
	s_cbranch_vccnz .LBB12_658
; %bb.653:
	v_cmp_gt_i16_sdwa s[6:7], s12, v4 src0_sel:BYTE_0 src1_sel:DWORD
	s_and_b64 vcc, exec, s[6:7]
	s_cbranch_vccz .LBB12_655
; %bb.654:
	v_cvt_u32_f64_e32 v4, v[38:39]
	s_mov_b64 s[2:3], 0
	global_store_dword v[2:3], v4, off
.LBB12_655:
	s_andn2_b64 vcc, exec, s[2:3]
	s_cbranch_vccnz .LBB12_657
; %bb.656:
	v_cvt_u32_f64_e32 v4, v[38:39]
	global_store_short v[2:3], v4, off
.LBB12_657:
	s_mov_b64 s[2:3], 0
.LBB12_658:
	s_andn2_b64 vcc, exec, s[2:3]
	s_cbranch_vccnz .LBB12_666
; %bb.659:
	v_cvt_f32_f64_e32 v4, v[38:39]
	v_and_b32_e32 v5, 0x7fffffff, v4
	s_mov_b32 s2, 0x43800000
	v_cmp_gt_u32_e32 vcc, s2, v5
	v_mov_b32_e32 v6, 0x80
	s_and_saveexec_b64 s[2:3], vcc
	s_cbranch_execz .LBB12_665
; %bb.660:
	s_mov_b32 s6, 0x3bffffff
	v_cmp_lt_u32_e32 vcc, s6, v5
	s_mov_b64 s[6:7], 0
                                        ; implicit-def: $vgpr5
	s_and_saveexec_b64 s[8:9], vcc
	s_xor_b64 s[8:9], exec, s[8:9]
	s_cbranch_execz .LBB12_760
; %bb.661:
	v_bfe_u32 v5, v4, 20, 1
	s_mov_b32 s10, 0x487ffff
	v_add3_u32 v5, v4, v5, s10
	s_mov_b64 s[6:7], exec
	v_lshrrev_b32_e32 v5, 20, v5
	s_or_saveexec_b64 s[8:9], s[8:9]
                                        ; implicit-def: $sgpr10
	s_xor_b64 exec, exec, s[8:9]
	s_cbranch_execnz .LBB12_761
.LBB12_662:
	s_or_b64 exec, exec, s[8:9]
	v_mov_b32_e32 v6, s10
	s_and_saveexec_b64 s[8:9], s[6:7]
.LBB12_663:
	v_lshrrev_b32_e32 v4, 24, v4
	s_movk_i32 s6, 0x80
	v_and_or_b32 v6, v4, s6, v5
.LBB12_664:
	s_or_b64 exec, exec, s[8:9]
.LBB12_665:
	s_or_b64 exec, exec, s[2:3]
	global_store_byte v[2:3], v6, off
.LBB12_666:
	s_mov_b64 s[6:7], -1
.LBB12_667:
	s_mov_b64 s[2:3], 0
.LBB12_668:
	s_and_b64 vcc, exec, s[2:3]
	s_cbranch_vccz .LBB12_708
; %bb.669:
	v_mov_b32_e32 v4, 22
	v_cmp_gt_i16_sdwa s[4:5], s12, v4 src0_sel:BYTE_0 src1_sel:DWORD
	s_mov_b64 s[2:3], -1
	s_and_b64 vcc, exec, s[4:5]
	s_cbranch_vccz .LBB12_701
; %bb.670:
	v_mov_b32_e32 v4, 24
	v_cmp_lt_i16_sdwa s[4:5], s12, v4 src0_sel:BYTE_0 src1_sel:DWORD
	s_and_b64 vcc, exec, s[4:5]
	s_cbranch_vccnz .LBB12_690
; %bb.671:
	v_cmp_gt_i16_sdwa s[4:5], s12, v4 src0_sel:BYTE_0 src1_sel:DWORD
	s_and_b64 vcc, exec, s[4:5]
	s_cbranch_vccz .LBB12_679
; %bb.672:
	v_cvt_f32_f64_e32 v4, v[38:39]
	v_and_b32_e32 v5, 0x7fffffff, v4
	s_mov_b32 s2, 0x47800000
	v_cmp_gt_u32_e32 vcc, s2, v5
	v_mov_b32_e32 v6, 0x80
	s_and_saveexec_b64 s[2:3], vcc
	s_cbranch_execz .LBB12_678
; %bb.673:
	s_mov_b32 s4, 0x37ffffff
	v_cmp_lt_u32_e32 vcc, s4, v5
	s_mov_b64 s[4:5], 0
                                        ; implicit-def: $vgpr5
	s_and_saveexec_b64 s[6:7], vcc
	s_xor_b64 s[6:7], exec, s[6:7]
	s_cbranch_execz .LBB12_764
; %bb.674:
	v_bfe_u32 v5, v4, 21, 1
	s_mov_b32 s8, 0x88fffff
	v_add3_u32 v5, v4, v5, s8
	s_mov_b64 s[4:5], exec
	v_lshrrev_b32_e32 v5, 21, v5
	s_or_saveexec_b64 s[6:7], s[6:7]
                                        ; implicit-def: $sgpr8
	s_xor_b64 exec, exec, s[6:7]
	s_cbranch_execnz .LBB12_765
.LBB12_675:
	s_or_b64 exec, exec, s[6:7]
	v_mov_b32_e32 v6, s8
	s_and_saveexec_b64 s[6:7], s[4:5]
.LBB12_676:
	v_lshrrev_b32_e32 v4, 24, v4
	s_movk_i32 s4, 0x80
	v_and_or_b32 v6, v4, s4, v5
.LBB12_677:
	s_or_b64 exec, exec, s[6:7]
.LBB12_678:
	s_or_b64 exec, exec, s[2:3]
	s_mov_b64 s[2:3], 0
	global_store_byte v[2:3], v6, off
.LBB12_679:
	s_and_b64 vcc, exec, s[2:3]
	s_cbranch_vccz .LBB12_689
; %bb.680:
	v_cvt_f32_f64_e32 v4, v[38:39]
	v_and_b32_e32 v6, 0x7fffffff, v4
	s_mov_b32 s2, 0x43f00000
	v_cmp_gt_u32_e32 vcc, s2, v6
                                        ; implicit-def: $vgpr5
	s_and_saveexec_b64 s[2:3], vcc
	s_xor_b64 s[2:3], exec, s[2:3]
	s_cbranch_execz .LBB12_686
; %bb.681:
	s_mov_b32 s4, 0x3c7fffff
	v_cmp_lt_u32_e32 vcc, s4, v6
                                        ; implicit-def: $vgpr5
	s_and_saveexec_b64 s[4:5], vcc
	s_xor_b64 s[4:5], exec, s[4:5]
; %bb.682:
	v_bfe_u32 v5, v4, 20, 1
	s_mov_b32 s6, 0x407ffff
	v_add3_u32 v5, v4, v5, s6
	v_lshrrev_b32_e32 v6, 20, v5
	v_and_b32_e32 v5, 0xff00000, v5
	s_mov_b32 s6, 0x7f00000
	v_mov_b32_e32 v7, 0x7e
	v_cmp_ne_u32_e32 vcc, s6, v5
	s_nop 1
	v_cndmask_b32_e32 v5, v7, v6, vcc
; %bb.683:
	s_andn2_saveexec_b64 s[4:5], s[4:5]
; %bb.684:
	s_mov_b32 s6, 0x46800000
	v_add_f32_e64 v5, |v4|, s6
; %bb.685:
	s_or_b64 exec, exec, s[4:5]
                                        ; implicit-def: $vgpr6
.LBB12_686:
	s_andn2_saveexec_b64 s[2:3], s[2:3]
; %bb.687:
	s_mov_b32 s4, 0x7f800000
	v_mov_b32_e32 v5, 0x7e
	v_mov_b32_e32 v7, 0x7f
	v_cmp_lt_u32_e32 vcc, s4, v6
	s_nop 1
	v_cndmask_b32_e32 v5, v5, v7, vcc
; %bb.688:
	s_or_b64 exec, exec, s[2:3]
	v_lshrrev_b32_e32 v4, 24, v4
	s_movk_i32 s2, 0x80
	v_and_or_b32 v4, v4, s2, v5
	global_store_byte v[2:3], v4, off
.LBB12_689:
	s_mov_b64 s[2:3], 0
.LBB12_690:
	s_andn2_b64 vcc, exec, s[2:3]
	s_cbranch_vccnz .LBB12_700
; %bb.691:
	v_cvt_f32_f64_e32 v4, v[38:39]
	v_and_b32_e32 v6, 0x7fffffff, v4
	s_mov_b32 s2, 0x47800000
	v_cmp_gt_u32_e32 vcc, s2, v6
                                        ; implicit-def: $vgpr5
	s_and_saveexec_b64 s[2:3], vcc
	s_xor_b64 s[2:3], exec, s[2:3]
	s_cbranch_execz .LBB12_697
; %bb.692:
	s_mov_b32 s4, 0x387fffff
	v_cmp_lt_u32_e32 vcc, s4, v6
                                        ; implicit-def: $vgpr5
	s_and_saveexec_b64 s[4:5], vcc
	s_xor_b64 s[4:5], exec, s[4:5]
; %bb.693:
	v_bfe_u32 v5, v4, 21, 1
	s_mov_b32 s6, 0x80fffff
	v_add3_u32 v5, v4, v5, s6
	v_lshrrev_b32_e32 v5, 21, v5
; %bb.694:
	s_andn2_saveexec_b64 s[4:5], s[4:5]
; %bb.695:
	s_mov_b32 s6, 0x43000000
	v_add_f32_e64 v5, |v4|, s6
; %bb.696:
	s_or_b64 exec, exec, s[4:5]
                                        ; implicit-def: $vgpr6
.LBB12_697:
	s_andn2_saveexec_b64 s[2:3], s[2:3]
; %bb.698:
	s_mov_b32 s4, 0x7f800000
	v_mov_b32_e32 v5, 0x7c
	v_mov_b32_e32 v7, 0x7f
	v_cmp_lt_u32_e32 vcc, s4, v6
	s_nop 1
	v_cndmask_b32_e32 v5, v5, v7, vcc
; %bb.699:
	s_or_b64 exec, exec, s[2:3]
	v_lshrrev_b32_e32 v4, 24, v4
	s_movk_i32 s2, 0x80
	v_and_or_b32 v4, v4, s2, v5
	global_store_byte v[2:3], v4, off
.LBB12_700:
	s_mov_b64 s[2:3], 0
	s_mov_b64 s[6:7], -1
.LBB12_701:
	s_andn2_b64 vcc, exec, s[2:3]
	s_mov_b64 s[4:5], 0
	s_cbranch_vccnz .LBB12_708
; %bb.702:
	v_mov_b32_e32 v4, 14
	v_cmp_gt_i16_sdwa s[4:5], s12, v4 src0_sel:BYTE_0 src1_sel:DWORD
	s_mov_b64 s[2:3], -1
	s_and_b64 vcc, exec, s[4:5]
	s_cbranch_vccz .LBB12_706
; %bb.703:
	v_mov_b32_e32 v4, 15
	v_cmp_eq_u16_sdwa s[2:3], s12, v4 src0_sel:BYTE_0 src1_sel:DWORD
	s_mov_b64 s[0:1], -1
	s_and_b64 vcc, exec, s[2:3]
	s_cbranch_vccz .LBB12_705
; %bb.704:
	v_cvt_f32_f64_e32 v4, v[38:39]
	v_bfe_u32 v5, v4, 16, 1
	s_movk_i32 s0, 0x7fff
	v_add3_u32 v5, v4, v5, s0
	v_lshrrev_b32_e32 v5, 16, v5
	v_mov_b32_e32 v6, 0x7fc0
	v_cmp_o_f32_e32 vcc, v4, v4
	s_mov_b64 s[0:1], 0
	s_mov_b64 s[6:7], -1
	v_cndmask_b32_e32 v4, v6, v5, vcc
	global_store_short v[2:3], v4, off
.LBB12_705:
	s_mov_b64 s[2:3], 0
.LBB12_706:
	s_mov_b64 s[4:5], 0
	s_and_b64 vcc, exec, s[2:3]
	s_cbranch_vccz .LBB12_708
; %bb.707:
	v_mov_b32_e32 v4, 11
	v_cmp_ne_u16_sdwa s[0:1], s12, v4 src0_sel:BYTE_0 src1_sel:DWORD
	s_mov_b64 s[4:5], -1
.LBB12_708:
	s_and_b64 vcc, exec, s[0:1]
	s_mov_b64 s[2:3], s[40:41]
	s_cbranch_vccnz .LBB12_763
; %bb.709:
	s_andn2_b64 vcc, exec, s[4:5]
	s_cbranch_vccnz .LBB12_711
.LBB12_710:
	v_cmp_neq_f64_e32 vcc, 0, v[38:39]
	s_mov_b64 s[6:7], -1
	s_nop 0
	v_cndmask_b32_e64 v4, 0, 1, vcc
	global_store_byte v[2:3], v4, off
.LBB12_711:
	s_branch .LBB12_639
.LBB12_712:
	v_mov_b32_e32 v4, 5
	v_cmp_lt_i16_sdwa s[4:5], s12, v4 src0_sel:BYTE_0 src1_sel:DWORD
	s_mov_b64 s[0:1], -1
	s_and_b64 vcc, exec, s[4:5]
	s_cbranch_vccnz .LBB12_733
; %bb.713:
	v_mov_b32_e32 v4, 8
	v_cmp_lt_i16_sdwa s[4:5], s12, v4 src0_sel:BYTE_0 src1_sel:DWORD
	s_and_b64 vcc, exec, s[4:5]
	s_cbranch_vccnz .LBB12_723
; %bb.714:
	v_mov_b32_e32 v4, 9
	v_cmp_lt_i16_sdwa s[4:5], s12, v4 src0_sel:BYTE_0 src1_sel:DWORD
	s_and_b64 vcc, exec, s[4:5]
	s_cbranch_vccnz .LBB12_720
; %bb.715:
	v_cmp_gt_i16_sdwa s[4:5], s12, v4 src0_sel:BYTE_0 src1_sel:DWORD
	s_and_b64 vcc, exec, s[4:5]
	s_cbranch_vccz .LBB12_717
; %bb.716:
	v_mov_b32_e32 v40, 0
	v_mov_b32_e32 v41, v40
	global_store_dwordx4 v[2:3], v[38:41], off
	s_mov_b64 s[0:1], 0
.LBB12_717:
	s_andn2_b64 vcc, exec, s[0:1]
	s_cbranch_vccnz .LBB12_719
; %bb.718:
	v_cvt_f32_f64_e32 v4, v[38:39]
	v_mov_b32_e32 v5, 0
	global_store_dwordx2 v[2:3], v[4:5], off
.LBB12_719:
	s_mov_b64 s[0:1], 0
.LBB12_720:
	s_andn2_b64 vcc, exec, s[0:1]
	s_cbranch_vccnz .LBB12_722
; %bb.721:
	v_cvt_f32_f64_e32 v4, v[38:39]
	v_cvt_f16_f32_e32 v4, v4
	global_store_dword v[2:3], v4, off
.LBB12_722:
	s_mov_b64 s[0:1], 0
.LBB12_723:
	s_andn2_b64 vcc, exec, s[0:1]
	s_cbranch_vccnz .LBB12_732
; %bb.724:
	v_mov_b32_e32 v4, 6
	v_cmp_lt_i16_sdwa s[4:5], s12, v4 src0_sel:BYTE_0 src1_sel:DWORD
	s_mov_b64 s[0:1], -1
	s_and_b64 vcc, exec, s[4:5]
	s_cbranch_vccnz .LBB12_730
; %bb.725:
	v_cmp_gt_i16_sdwa s[4:5], s12, v4 src0_sel:BYTE_0 src1_sel:DWORD
	s_and_b64 vcc, exec, s[4:5]
	s_cbranch_vccz .LBB12_727
; %bb.726:
	global_store_dwordx2 v[2:3], v[38:39], off
	s_mov_b64 s[0:1], 0
.LBB12_727:
	s_andn2_b64 vcc, exec, s[0:1]
	s_cbranch_vccnz .LBB12_729
; %bb.728:
	v_cvt_f32_f64_e32 v4, v[38:39]
	global_store_dword v[2:3], v4, off
.LBB12_729:
	s_mov_b64 s[0:1], 0
.LBB12_730:
	s_andn2_b64 vcc, exec, s[0:1]
	s_cbranch_vccnz .LBB12_732
; %bb.731:
	v_cvt_f32_f64_e32 v4, v[38:39]
	v_cvt_f16_f32_e32 v4, v4
	global_store_short v[2:3], v4, off
.LBB12_732:
	s_mov_b64 s[0:1], 0
.LBB12_733:
	s_andn2_b64 vcc, exec, s[0:1]
	s_cbranch_vccnz .LBB12_749
; %bb.734:
	v_mov_b32_e32 v4, 2
	v_cmp_lt_i16_sdwa s[4:5], s12, v4 src0_sel:BYTE_0 src1_sel:DWORD
	s_mov_b64 s[0:1], -1
	s_and_b64 vcc, exec, s[4:5]
	s_cbranch_vccnz .LBB12_744
; %bb.735:
	v_mov_b32_e32 v4, 3
	v_cmp_lt_i16_sdwa s[4:5], s12, v4 src0_sel:BYTE_0 src1_sel:DWORD
	s_and_b64 vcc, exec, s[4:5]
	s_cbranch_vccnz .LBB12_741
; %bb.736:
	v_cmp_gt_i16_sdwa s[4:5], s12, v4 src0_sel:BYTE_0 src1_sel:DWORD
	s_and_b64 vcc, exec, s[4:5]
	s_cbranch_vccz .LBB12_738
; %bb.737:
	v_trunc_f64_e32 v[4:5], v[38:39]
	s_movk_i32 s0, 0xffe0
	v_ldexp_f64 v[6:7], v[4:5], s0
	v_floor_f64_e32 v[6:7], v[6:7]
	v_fmac_f64_e32 v[4:5], 0xc1f00000, v[6:7]
	v_cvt_i32_f64_e32 v9, v[6:7]
	v_cvt_u32_f64_e32 v8, v[4:5]
	global_store_dwordx2 v[2:3], v[8:9], off
	s_mov_b64 s[0:1], 0
.LBB12_738:
	s_andn2_b64 vcc, exec, s[0:1]
	s_cbranch_vccnz .LBB12_740
; %bb.739:
	v_cvt_i32_f64_e32 v4, v[38:39]
	global_store_dword v[2:3], v4, off
.LBB12_740:
	s_mov_b64 s[0:1], 0
.LBB12_741:
	s_andn2_b64 vcc, exec, s[0:1]
	s_cbranch_vccnz .LBB12_743
; %bb.742:
	v_cvt_i32_f64_e32 v4, v[38:39]
	global_store_short v[2:3], v4, off
.LBB12_743:
	s_mov_b64 s[0:1], 0
.LBB12_744:
	s_andn2_b64 vcc, exec, s[0:1]
	s_cbranch_vccnz .LBB12_749
; %bb.745:
	v_mov_b32_e32 v4, 0
	v_cmp_gt_i16_sdwa s[4:5], s12, v4 src0_sel:BYTE_0 src1_sel:DWORD
	s_mov_b64 s[0:1], -1
	s_and_b64 vcc, exec, s[4:5]
	s_cbranch_vccz .LBB12_747
; %bb.746:
	v_cvt_i32_f64_e32 v4, v[38:39]
	global_store_byte v[2:3], v4, off
	s_mov_b64 s[0:1], 0
.LBB12_747:
	s_andn2_b64 vcc, exec, s[0:1]
	s_cbranch_vccnz .LBB12_749
; %bb.748:
	v_trunc_f64_e32 v[4:5], v[38:39]
	s_movk_i32 s0, 0xffe0
	v_ldexp_f64 v[6:7], v[4:5], s0
	v_floor_f64_e32 v[6:7], v[6:7]
	v_fmac_f64_e32 v[4:5], 0xc1f00000, v[6:7]
	v_cvt_u32_f64_e32 v4, v[4:5]
	global_store_byte v[2:3], v4, off
.LBB12_749:
.LBB12_750:
	v_mov_b32_e32 v4, 11
	v_mov_b32_e32 v49, 0
	v_cmp_lt_i16_sdwa s[0:1], s12, v4 src0_sel:BYTE_0 src1_sel:DWORD
	v_lshl_add_u64 v[2:3], s[36:37], 0, v[48:49]
	s_and_b64 vcc, exec, s[0:1]
	s_cbranch_vccnz .LBB12_757
; %bb.751:
	v_mov_b32_e32 v4, 25
	v_cmp_gt_i16_sdwa s[0:1], s12, v4 src0_sel:BYTE_0 src1_sel:DWORD
	s_mov_b64 s[8:9], -1
	s_mov_b64 s[4:5], 0
	s_and_b64 vcc, exec, s[0:1]
	s_mov_b64 s[6:7], 0
	s_mov_b64 s[0:1], 0
	s_cbranch_vccz .LBB12_794
; %bb.752:
	v_mov_b32_e32 v4, 28
	v_cmp_gt_i16_sdwa s[0:1], s12, v4 src0_sel:BYTE_0 src1_sel:DWORD
	s_and_b64 vcc, exec, s[0:1]
	s_cbranch_vccz .LBB12_759
; %bb.753:
	v_mov_b32_e32 v4, 43
	v_cmp_gt_i16_sdwa s[0:1], s12, v4 src0_sel:BYTE_0 src1_sel:DWORD
	s_and_b64 vcc, exec, s[0:1]
	;; [unrolled: 5-line block ×3, first 2 shown]
	s_cbranch_vccz .LBB12_766
; %bb.755:
	v_mov_b32_e32 v4, 46
	v_cmp_eq_u16_sdwa s[6:7], s12, v4 src0_sel:BYTE_0 src1_sel:DWORD
	s_mov_b64 s[0:1], -1
	s_mov_b64 s[8:9], 0
	s_and_b64 vcc, exec, s[6:7]
	s_mov_b64 s[6:7], 0
	s_cbranch_vccz .LBB12_767
; %bb.756:
	v_cvt_f32_f64_e32 v4, v[36:37]
	v_bfe_u32 v5, v4, 16, 1
	s_movk_i32 s0, 0x7fff
	v_add3_u32 v5, v4, v5, s0
	v_lshrrev_b32_e32 v5, 16, v5
	v_mov_b32_e32 v6, 0x7fc0
	v_cmp_o_f32_e32 vcc, v4, v4
	s_mov_b64 s[0:1], 0
	s_mov_b64 s[6:7], -1
	v_cndmask_b32_e32 v4, v6, v5, vcc
	global_store_dword v[2:3], v4, off
	s_branch .LBB12_767
.LBB12_757:
	s_mov_b64 s[6:7], 0
	s_cbranch_execnz .LBB12_838
.LBB12_758:
	s_andn2_b64 vcc, exec, s[6:7]
	s_cbranch_vccz .LBB12_876
	s_branch .LBB12_1079
.LBB12_759:
	s_mov_b64 s[0:1], 0
	s_branch .LBB12_777
.LBB12_760:
	s_or_saveexec_b64 s[8:9], s[8:9]
                                        ; implicit-def: $sgpr10
	s_xor_b64 exec, exec, s[8:9]
	s_cbranch_execz .LBB12_662
.LBB12_761:
	s_mov_b32 s10, 0x46000000
	v_add_f32_e64 v5, |v4|, s10
	v_and_b32_e32 v5, 0xff, v5
	v_cmp_ne_u32_e32 vcc, 0, v5
	s_andn2_b64 s[6:7], s[6:7], exec
	s_and_b64 s[14:15], vcc, exec
	s_mov_b32 s10, 0
	s_or_b64 s[6:7], s[6:7], s[14:15]
	s_or_b64 exec, exec, s[8:9]
	v_mov_b32_e32 v6, s10
	s_and_saveexec_b64 s[8:9], s[6:7]
	s_cbranch_execnz .LBB12_663
	s_branch .LBB12_664
.LBB12_762:
	s_mov_b64 s[0:1], 0
	s_branch .LBB12_773
.LBB12_763:
	s_or_b64 s[2:3], s[40:41], exec
	s_trap 2
	s_cbranch_execz .LBB12_710
	s_branch .LBB12_711
.LBB12_764:
	s_or_saveexec_b64 s[6:7], s[6:7]
                                        ; implicit-def: $sgpr8
	s_xor_b64 exec, exec, s[6:7]
	s_cbranch_execz .LBB12_675
.LBB12_765:
	s_mov_b32 s8, 0x42800000
	v_add_f32_e64 v5, |v4|, s8
	v_and_b32_e32 v5, 0xff, v5
	v_cmp_ne_u32_e32 vcc, 0, v5
	s_andn2_b64 s[4:5], s[4:5], exec
	s_and_b64 s[10:11], vcc, exec
	s_mov_b32 s8, 0
	s_or_b64 s[4:5], s[4:5], s[10:11]
	s_or_b64 exec, exec, s[6:7]
	v_mov_b32_e32 v6, s8
	s_and_saveexec_b64 s[6:7], s[4:5]
	s_cbranch_execnz .LBB12_676
	s_branch .LBB12_677
.LBB12_766:
	s_mov_b64 s[0:1], 0
.LBB12_767:
	s_and_b64 vcc, exec, s[8:9]
	s_cbranch_vccz .LBB12_772
; %bb.768:
	v_mov_b32_e32 v4, 44
	v_cmp_eq_u16_sdwa s[8:9], s12, v4 src0_sel:BYTE_0 src1_sel:DWORD
	s_mov_b64 s[0:1], -1
	s_and_b64 vcc, exec, s[8:9]
	s_cbranch_vccz .LBB12_772
; %bb.769:
	v_cvt_f32_f64_e32 v4, v[36:37]
	v_bfe_u32 v5, v4, 23, 8
	s_movk_i32 s0, 0xff
	v_cmp_ne_u32_e32 vcc, s0, v5
	v_mov_b32_e32 v6, 0xff
	s_and_saveexec_b64 s[6:7], vcc
; %bb.770:
	s_mov_b32 s0, 0x3fffff
	v_lshrrev_b32_e32 v6, 23, v4
	v_and_b32_e32 v7, 0x400000, v4
	v_and_or_b32 v4, v4, s0, v5
	v_cmp_ne_u32_e32 vcc, 0, v7
	v_cmp_ne_u32_e64 s[0:1], 0, v4
	s_and_b64 s[0:1], vcc, s[0:1]
	s_nop 0
	v_cndmask_b32_e64 v4, 0, 1, s[0:1]
	v_add_u32_e32 v6, v6, v4
; %bb.771:
	s_or_b64 exec, exec, s[6:7]
	s_mov_b64 s[0:1], 0
	s_mov_b64 s[6:7], -1
	global_store_byte v[2:3], v6, off
.LBB12_772:
	s_mov_b64 s[8:9], 0
.LBB12_773:
	s_and_b64 vcc, exec, s[8:9]
	s_cbranch_vccz .LBB12_776
; %bb.774:
	v_mov_b32_e32 v4, 29
	v_cmp_eq_u16_sdwa s[8:9], s12, v4 src0_sel:BYTE_0 src1_sel:DWORD
	s_mov_b64 s[0:1], -1
	s_and_b64 vcc, exec, s[8:9]
	s_cbranch_vccz .LBB12_776
; %bb.775:
	v_trunc_f64_e32 v[4:5], v[36:37]
	s_movk_i32 s0, 0xffe0
	v_ldexp_f64 v[6:7], v[4:5], s0
	v_floor_f64_e32 v[6:7], v[6:7]
	v_fmac_f64_e32 v[4:5], 0xc1f00000, v[6:7]
	v_cvt_u32_f64_e32 v9, v[6:7]
	v_cvt_u32_f64_e32 v8, v[4:5]
	global_store_dwordx2 v[2:3], v[8:9], off
	s_mov_b64 s[0:1], 0
	s_mov_b64 s[6:7], -1
.LBB12_776:
	s_mov_b64 s[8:9], 0
.LBB12_777:
	s_and_b64 vcc, exec, s[8:9]
	s_cbranch_vccz .LBB12_793
; %bb.778:
	v_mov_b32_e32 v4, 27
	v_cmp_lt_i16_sdwa s[8:9], s12, v4 src0_sel:BYTE_0 src1_sel:DWORD
	s_mov_b64 s[6:7], -1
	s_and_b64 vcc, exec, s[8:9]
	s_cbranch_vccnz .LBB12_784
; %bb.779:
	v_cmp_gt_i16_sdwa s[8:9], s12, v4 src0_sel:BYTE_0 src1_sel:DWORD
	s_and_b64 vcc, exec, s[8:9]
	s_cbranch_vccz .LBB12_781
; %bb.780:
	v_cvt_u32_f64_e32 v4, v[36:37]
	s_mov_b64 s[6:7], 0
	global_store_dword v[2:3], v4, off
.LBB12_781:
	s_andn2_b64 vcc, exec, s[6:7]
	s_cbranch_vccnz .LBB12_783
; %bb.782:
	v_cvt_u32_f64_e32 v4, v[36:37]
	global_store_short v[2:3], v4, off
.LBB12_783:
	s_mov_b64 s[6:7], 0
.LBB12_784:
	s_andn2_b64 vcc, exec, s[6:7]
	s_cbranch_vccnz .LBB12_792
; %bb.785:
	v_cvt_f32_f64_e32 v4, v[36:37]
	v_and_b32_e32 v5, 0x7fffffff, v4
	s_mov_b32 s6, 0x43800000
	v_cmp_gt_u32_e32 vcc, s6, v5
	v_mov_b32_e32 v6, 0x80
	s_and_saveexec_b64 s[6:7], vcc
	s_cbranch_execz .LBB12_791
; %bb.786:
	s_mov_b32 s8, 0x3bffffff
	v_cmp_lt_u32_e32 vcc, s8, v5
	s_mov_b64 s[8:9], 0
                                        ; implicit-def: $vgpr5
	s_and_saveexec_b64 s[10:11], vcc
	s_xor_b64 s[10:11], exec, s[10:11]
	s_cbranch_execz .LBB12_963
; %bb.787:
	v_bfe_u32 v5, v4, 20, 1
	s_mov_b32 s13, 0x487ffff
	v_add3_u32 v5, v4, v5, s13
	s_mov_b64 s[8:9], exec
	v_lshrrev_b32_e32 v5, 20, v5
	s_or_saveexec_b64 s[10:11], s[10:11]
                                        ; implicit-def: $sgpr13
	s_xor_b64 exec, exec, s[10:11]
	s_cbranch_execnz .LBB12_964
.LBB12_788:
	s_or_b64 exec, exec, s[10:11]
	v_mov_b32_e32 v6, s13
	s_and_saveexec_b64 s[10:11], s[8:9]
.LBB12_789:
	v_lshrrev_b32_e32 v4, 24, v4
	s_movk_i32 s8, 0x80
	v_and_or_b32 v6, v4, s8, v5
.LBB12_790:
	s_or_b64 exec, exec, s[10:11]
.LBB12_791:
	s_or_b64 exec, exec, s[6:7]
	global_store_byte v[2:3], v6, off
.LBB12_792:
	s_mov_b64 s[6:7], -1
.LBB12_793:
	s_mov_b64 s[8:9], 0
.LBB12_794:
	s_and_b64 vcc, exec, s[8:9]
	s_cbranch_vccz .LBB12_834
; %bb.795:
	v_mov_b32_e32 v4, 22
	v_cmp_gt_i16_sdwa s[8:9], s12, v4 src0_sel:BYTE_0 src1_sel:DWORD
	s_mov_b64 s[4:5], -1
	s_and_b64 vcc, exec, s[8:9]
	s_cbranch_vccz .LBB12_827
; %bb.796:
	v_mov_b32_e32 v4, 24
	v_cmp_lt_i16_sdwa s[6:7], s12, v4 src0_sel:BYTE_0 src1_sel:DWORD
	s_and_b64 vcc, exec, s[6:7]
	s_cbranch_vccnz .LBB12_816
; %bb.797:
	v_cmp_gt_i16_sdwa s[6:7], s12, v4 src0_sel:BYTE_0 src1_sel:DWORD
	s_and_b64 vcc, exec, s[6:7]
	s_cbranch_vccz .LBB12_805
; %bb.798:
	v_cvt_f32_f64_e32 v4, v[36:37]
	v_and_b32_e32 v5, 0x7fffffff, v4
	s_mov_b32 s4, 0x47800000
	v_cmp_gt_u32_e32 vcc, s4, v5
	v_mov_b32_e32 v6, 0x80
	s_and_saveexec_b64 s[4:5], vcc
	s_cbranch_execz .LBB12_804
; %bb.799:
	s_mov_b32 s6, 0x37ffffff
	v_cmp_lt_u32_e32 vcc, s6, v5
	s_mov_b64 s[6:7], 0
                                        ; implicit-def: $vgpr5
	s_and_saveexec_b64 s[8:9], vcc
	s_xor_b64 s[8:9], exec, s[8:9]
	s_cbranch_execz .LBB12_967
; %bb.800:
	v_bfe_u32 v5, v4, 21, 1
	s_mov_b32 s10, 0x88fffff
	v_add3_u32 v5, v4, v5, s10
	s_mov_b64 s[6:7], exec
	v_lshrrev_b32_e32 v5, 21, v5
	s_or_saveexec_b64 s[8:9], s[8:9]
                                        ; implicit-def: $sgpr10
	s_xor_b64 exec, exec, s[8:9]
	s_cbranch_execnz .LBB12_968
.LBB12_801:
	s_or_b64 exec, exec, s[8:9]
	v_mov_b32_e32 v6, s10
	s_and_saveexec_b64 s[8:9], s[6:7]
.LBB12_802:
	v_lshrrev_b32_e32 v4, 24, v4
	s_movk_i32 s6, 0x80
	v_and_or_b32 v6, v4, s6, v5
.LBB12_803:
	s_or_b64 exec, exec, s[8:9]
.LBB12_804:
	s_or_b64 exec, exec, s[4:5]
	s_mov_b64 s[4:5], 0
	global_store_byte v[2:3], v6, off
.LBB12_805:
	s_and_b64 vcc, exec, s[4:5]
	s_cbranch_vccz .LBB12_815
; %bb.806:
	v_cvt_f32_f64_e32 v4, v[36:37]
	v_and_b32_e32 v6, 0x7fffffff, v4
	s_mov_b32 s4, 0x43f00000
	v_cmp_gt_u32_e32 vcc, s4, v6
                                        ; implicit-def: $vgpr5
	s_and_saveexec_b64 s[4:5], vcc
	s_xor_b64 s[4:5], exec, s[4:5]
	s_cbranch_execz .LBB12_812
; %bb.807:
	s_mov_b32 s6, 0x3c7fffff
	v_cmp_lt_u32_e32 vcc, s6, v6
                                        ; implicit-def: $vgpr5
	s_and_saveexec_b64 s[6:7], vcc
	s_xor_b64 s[6:7], exec, s[6:7]
; %bb.808:
	v_bfe_u32 v5, v4, 20, 1
	s_mov_b32 s8, 0x407ffff
	v_add3_u32 v5, v4, v5, s8
	v_lshrrev_b32_e32 v6, 20, v5
	v_and_b32_e32 v5, 0xff00000, v5
	s_mov_b32 s8, 0x7f00000
	v_mov_b32_e32 v7, 0x7e
	v_cmp_ne_u32_e32 vcc, s8, v5
	s_nop 1
	v_cndmask_b32_e32 v5, v7, v6, vcc
; %bb.809:
	s_andn2_saveexec_b64 s[6:7], s[6:7]
; %bb.810:
	s_mov_b32 s8, 0x46800000
	v_add_f32_e64 v5, |v4|, s8
; %bb.811:
	s_or_b64 exec, exec, s[6:7]
                                        ; implicit-def: $vgpr6
.LBB12_812:
	s_andn2_saveexec_b64 s[4:5], s[4:5]
; %bb.813:
	s_mov_b32 s6, 0x7f800000
	v_mov_b32_e32 v5, 0x7e
	v_mov_b32_e32 v7, 0x7f
	v_cmp_lt_u32_e32 vcc, s6, v6
	s_nop 1
	v_cndmask_b32_e32 v5, v5, v7, vcc
; %bb.814:
	s_or_b64 exec, exec, s[4:5]
	v_lshrrev_b32_e32 v4, 24, v4
	s_movk_i32 s4, 0x80
	v_and_or_b32 v4, v4, s4, v5
	global_store_byte v[2:3], v4, off
.LBB12_815:
	s_mov_b64 s[4:5], 0
.LBB12_816:
	s_andn2_b64 vcc, exec, s[4:5]
	s_cbranch_vccnz .LBB12_826
; %bb.817:
	v_cvt_f32_f64_e32 v4, v[36:37]
	v_and_b32_e32 v6, 0x7fffffff, v4
	s_mov_b32 s4, 0x47800000
	v_cmp_gt_u32_e32 vcc, s4, v6
                                        ; implicit-def: $vgpr5
	s_and_saveexec_b64 s[4:5], vcc
	s_xor_b64 s[4:5], exec, s[4:5]
	s_cbranch_execz .LBB12_823
; %bb.818:
	s_mov_b32 s6, 0x387fffff
	v_cmp_lt_u32_e32 vcc, s6, v6
                                        ; implicit-def: $vgpr5
	s_and_saveexec_b64 s[6:7], vcc
	s_xor_b64 s[6:7], exec, s[6:7]
; %bb.819:
	v_bfe_u32 v5, v4, 21, 1
	s_mov_b32 s8, 0x80fffff
	v_add3_u32 v5, v4, v5, s8
	v_lshrrev_b32_e32 v5, 21, v5
; %bb.820:
	s_andn2_saveexec_b64 s[6:7], s[6:7]
; %bb.821:
	s_mov_b32 s8, 0x43000000
	v_add_f32_e64 v5, |v4|, s8
; %bb.822:
	s_or_b64 exec, exec, s[6:7]
                                        ; implicit-def: $vgpr6
.LBB12_823:
	s_andn2_saveexec_b64 s[4:5], s[4:5]
; %bb.824:
	s_mov_b32 s6, 0x7f800000
	v_mov_b32_e32 v5, 0x7c
	v_mov_b32_e32 v7, 0x7f
	v_cmp_lt_u32_e32 vcc, s6, v6
	s_nop 1
	v_cndmask_b32_e32 v5, v5, v7, vcc
; %bb.825:
	s_or_b64 exec, exec, s[4:5]
	v_lshrrev_b32_e32 v4, 24, v4
	s_movk_i32 s4, 0x80
	v_and_or_b32 v4, v4, s4, v5
	global_store_byte v[2:3], v4, off
.LBB12_826:
	s_mov_b64 s[4:5], 0
	s_mov_b64 s[6:7], -1
.LBB12_827:
	s_andn2_b64 vcc, exec, s[4:5]
	s_mov_b64 s[4:5], 0
	s_cbranch_vccnz .LBB12_834
; %bb.828:
	v_mov_b32_e32 v4, 14
	v_cmp_gt_i16_sdwa s[4:5], s12, v4 src0_sel:BYTE_0 src1_sel:DWORD
	s_mov_b64 s[8:9], -1
	s_and_b64 vcc, exec, s[4:5]
	s_cbranch_vccz .LBB12_832
; %bb.829:
	v_mov_b32_e32 v4, 15
	v_cmp_eq_u16_sdwa s[4:5], s12, v4 src0_sel:BYTE_0 src1_sel:DWORD
	s_mov_b64 s[0:1], -1
	s_and_b64 vcc, exec, s[4:5]
	s_cbranch_vccz .LBB12_831
; %bb.830:
	v_cvt_f32_f64_e32 v4, v[36:37]
	v_bfe_u32 v5, v4, 16, 1
	s_movk_i32 s0, 0x7fff
	v_add3_u32 v5, v4, v5, s0
	v_lshrrev_b32_e32 v5, 16, v5
	v_mov_b32_e32 v6, 0x7fc0
	v_cmp_o_f32_e32 vcc, v4, v4
	s_mov_b64 s[0:1], 0
	s_mov_b64 s[6:7], -1
	v_cndmask_b32_e32 v4, v6, v5, vcc
	global_store_short v[2:3], v4, off
.LBB12_831:
	s_mov_b64 s[8:9], 0
.LBB12_832:
	s_mov_b64 s[4:5], 0
	s_and_b64 vcc, exec, s[8:9]
	s_cbranch_vccz .LBB12_834
; %bb.833:
	v_mov_b32_e32 v4, 11
	v_cmp_ne_u16_sdwa s[0:1], s12, v4 src0_sel:BYTE_0 src1_sel:DWORD
	s_mov_b64 s[4:5], -1
.LBB12_834:
	s_and_b64 vcc, exec, s[0:1]
	s_cbranch_vccnz .LBB12_966
; %bb.835:
	s_andn2_b64 vcc, exec, s[4:5]
	s_cbranch_vccnz .LBB12_837
.LBB12_836:
	v_cmp_neq_f64_e32 vcc, 0, v[36:37]
	s_mov_b64 s[6:7], -1
	s_nop 0
	v_cndmask_b32_e64 v4, 0, 1, vcc
	global_store_byte v[2:3], v4, off
.LBB12_837:
	s_branch .LBB12_758
.LBB12_838:
	v_mov_b32_e32 v4, 5
	v_cmp_lt_i16_sdwa s[4:5], s12, v4 src0_sel:BYTE_0 src1_sel:DWORD
	s_mov_b64 s[0:1], -1
	s_and_b64 vcc, exec, s[4:5]
	s_cbranch_vccnz .LBB12_859
; %bb.839:
	v_mov_b32_e32 v4, 8
	v_cmp_lt_i16_sdwa s[4:5], s12, v4 src0_sel:BYTE_0 src1_sel:DWORD
	s_and_b64 vcc, exec, s[4:5]
	s_cbranch_vccnz .LBB12_849
; %bb.840:
	v_mov_b32_e32 v4, 9
	v_cmp_lt_i16_sdwa s[4:5], s12, v4 src0_sel:BYTE_0 src1_sel:DWORD
	s_and_b64 vcc, exec, s[4:5]
	s_cbranch_vccnz .LBB12_846
; %bb.841:
	v_cmp_gt_i16_sdwa s[4:5], s12, v4 src0_sel:BYTE_0 src1_sel:DWORD
	s_and_b64 vcc, exec, s[4:5]
	s_cbranch_vccz .LBB12_843
; %bb.842:
	v_mov_b32_e32 v38, 0
	v_mov_b32_e32 v39, v38
	global_store_dwordx4 v[2:3], v[36:39], off
	s_mov_b64 s[0:1], 0
.LBB12_843:
	s_andn2_b64 vcc, exec, s[0:1]
	s_cbranch_vccnz .LBB12_845
; %bb.844:
	v_cvt_f32_f64_e32 v4, v[36:37]
	v_mov_b32_e32 v5, 0
	global_store_dwordx2 v[2:3], v[4:5], off
.LBB12_845:
	s_mov_b64 s[0:1], 0
.LBB12_846:
	s_andn2_b64 vcc, exec, s[0:1]
	s_cbranch_vccnz .LBB12_848
; %bb.847:
	v_cvt_f32_f64_e32 v4, v[36:37]
	v_cvt_f16_f32_e32 v4, v4
	global_store_dword v[2:3], v4, off
.LBB12_848:
	s_mov_b64 s[0:1], 0
.LBB12_849:
	s_andn2_b64 vcc, exec, s[0:1]
	s_cbranch_vccnz .LBB12_858
; %bb.850:
	v_mov_b32_e32 v4, 6
	v_cmp_lt_i16_sdwa s[4:5], s12, v4 src0_sel:BYTE_0 src1_sel:DWORD
	s_mov_b64 s[0:1], -1
	s_and_b64 vcc, exec, s[4:5]
	s_cbranch_vccnz .LBB12_856
; %bb.851:
	v_cmp_gt_i16_sdwa s[4:5], s12, v4 src0_sel:BYTE_0 src1_sel:DWORD
	s_and_b64 vcc, exec, s[4:5]
	s_cbranch_vccz .LBB12_853
; %bb.852:
	global_store_dwordx2 v[2:3], v[36:37], off
	s_mov_b64 s[0:1], 0
.LBB12_853:
	s_andn2_b64 vcc, exec, s[0:1]
	s_cbranch_vccnz .LBB12_855
; %bb.854:
	v_cvt_f32_f64_e32 v4, v[36:37]
	global_store_dword v[2:3], v4, off
.LBB12_855:
	s_mov_b64 s[0:1], 0
.LBB12_856:
	s_andn2_b64 vcc, exec, s[0:1]
	s_cbranch_vccnz .LBB12_858
; %bb.857:
	v_cvt_f32_f64_e32 v4, v[36:37]
	v_cvt_f16_f32_e32 v4, v4
	global_store_short v[2:3], v4, off
.LBB12_858:
	s_mov_b64 s[0:1], 0
.LBB12_859:
	s_andn2_b64 vcc, exec, s[0:1]
	s_cbranch_vccnz .LBB12_875
; %bb.860:
	v_mov_b32_e32 v4, 2
	v_cmp_lt_i16_sdwa s[4:5], s12, v4 src0_sel:BYTE_0 src1_sel:DWORD
	s_mov_b64 s[0:1], -1
	s_and_b64 vcc, exec, s[4:5]
	s_cbranch_vccnz .LBB12_870
; %bb.861:
	v_mov_b32_e32 v4, 3
	v_cmp_lt_i16_sdwa s[4:5], s12, v4 src0_sel:BYTE_0 src1_sel:DWORD
	s_and_b64 vcc, exec, s[4:5]
	s_cbranch_vccnz .LBB12_867
; %bb.862:
	v_cmp_gt_i16_sdwa s[4:5], s12, v4 src0_sel:BYTE_0 src1_sel:DWORD
	s_and_b64 vcc, exec, s[4:5]
	s_cbranch_vccz .LBB12_864
; %bb.863:
	v_trunc_f64_e32 v[4:5], v[36:37]
	s_movk_i32 s0, 0xffe0
	v_ldexp_f64 v[6:7], v[4:5], s0
	v_floor_f64_e32 v[6:7], v[6:7]
	v_fmac_f64_e32 v[4:5], 0xc1f00000, v[6:7]
	v_cvt_i32_f64_e32 v9, v[6:7]
	v_cvt_u32_f64_e32 v8, v[4:5]
	global_store_dwordx2 v[2:3], v[8:9], off
	s_mov_b64 s[0:1], 0
.LBB12_864:
	s_andn2_b64 vcc, exec, s[0:1]
	s_cbranch_vccnz .LBB12_866
; %bb.865:
	v_cvt_i32_f64_e32 v4, v[36:37]
	global_store_dword v[2:3], v4, off
.LBB12_866:
	s_mov_b64 s[0:1], 0
.LBB12_867:
	s_andn2_b64 vcc, exec, s[0:1]
	s_cbranch_vccnz .LBB12_869
; %bb.868:
	v_cvt_i32_f64_e32 v4, v[36:37]
	global_store_short v[2:3], v4, off
.LBB12_869:
	s_mov_b64 s[0:1], 0
.LBB12_870:
	s_andn2_b64 vcc, exec, s[0:1]
	s_cbranch_vccnz .LBB12_875
; %bb.871:
	v_mov_b32_e32 v4, 0
	v_cmp_gt_i16_sdwa s[4:5], s12, v4 src0_sel:BYTE_0 src1_sel:DWORD
	s_mov_b64 s[0:1], -1
	s_and_b64 vcc, exec, s[4:5]
	s_cbranch_vccz .LBB12_873
; %bb.872:
	v_cvt_i32_f64_e32 v4, v[36:37]
	global_store_byte v[2:3], v4, off
	s_mov_b64 s[0:1], 0
.LBB12_873:
	s_andn2_b64 vcc, exec, s[0:1]
	s_cbranch_vccnz .LBB12_875
; %bb.874:
	v_trunc_f64_e32 v[4:5], v[36:37]
	s_movk_i32 s0, 0xffe0
	v_ldexp_f64 v[6:7], v[4:5], s0
	v_floor_f64_e32 v[6:7], v[6:7]
	v_fmac_f64_e32 v[4:5], 0xc1f00000, v[6:7]
	v_cvt_u32_f64_e32 v4, v[4:5]
	global_store_byte v[2:3], v4, off
.LBB12_875:
.LBB12_876:
	v_mov_b32_e32 v4, 11
	v_mov_b32_e32 v47, 0
	v_cmp_lt_i16_sdwa s[0:1], s12, v4 src0_sel:BYTE_0 src1_sel:DWORD
	v_lshl_add_u64 v[2:3], s[36:37], 0, v[46:47]
	s_and_b64 vcc, exec, s[0:1]
	s_cbranch_vccnz .LBB12_883
; %bb.877:
	v_mov_b32_e32 v4, 25
	v_cmp_gt_i16_sdwa s[0:1], s12, v4 src0_sel:BYTE_0 src1_sel:DWORD
	s_mov_b64 s[8:9], -1
	s_mov_b64 s[4:5], 0
	s_and_b64 vcc, exec, s[0:1]
	s_mov_b64 s[6:7], 0
	s_mov_b64 s[0:1], 0
	s_cbranch_vccz .LBB12_997
; %bb.878:
	v_mov_b32_e32 v4, 28
	v_cmp_gt_i16_sdwa s[0:1], s12, v4 src0_sel:BYTE_0 src1_sel:DWORD
	s_and_b64 vcc, exec, s[0:1]
	s_cbranch_vccz .LBB12_962
; %bb.879:
	v_mov_b32_e32 v4, 43
	v_cmp_gt_i16_sdwa s[0:1], s12, v4 src0_sel:BYTE_0 src1_sel:DWORD
	s_and_b64 vcc, exec, s[0:1]
	;; [unrolled: 5-line block ×3, first 2 shown]
	s_cbranch_vccz .LBB12_969
; %bb.881:
	v_mov_b32_e32 v4, 46
	v_cmp_eq_u16_sdwa s[6:7], s12, v4 src0_sel:BYTE_0 src1_sel:DWORD
	s_mov_b64 s[0:1], -1
	s_mov_b64 s[8:9], 0
	s_and_b64 vcc, exec, s[6:7]
	s_mov_b64 s[6:7], 0
	s_cbranch_vccz .LBB12_970
; %bb.882:
	v_cvt_f32_f64_e32 v4, v[34:35]
	v_bfe_u32 v5, v4, 16, 1
	s_movk_i32 s0, 0x7fff
	v_add3_u32 v5, v4, v5, s0
	v_lshrrev_b32_e32 v5, 16, v5
	v_mov_b32_e32 v6, 0x7fc0
	v_cmp_o_f32_e32 vcc, v4, v4
	s_mov_b64 s[0:1], 0
	s_mov_b64 s[6:7], -1
	v_cndmask_b32_e32 v4, v6, v5, vcc
	global_store_dword v[2:3], v4, off
	s_branch .LBB12_970
.LBB12_883:
	s_mov_b64 s[6:7], 0
	s_cbranch_execnz .LBB12_1041
.LBB12_884:
	s_andn2_b64 vcc, exec, s[6:7]
	s_cbranch_vccnz .LBB12_1079
.LBB12_885:
	v_mov_b32_e32 v2, 0xff
	v_and_b32_e32 v7, s12, v2
	v_mov_b32_e32 v45, 0
	v_cmp_gt_i16_e32 vcc, 11, v7
	v_lshl_add_u64 v[4:5], s[36:37], 0, v[44:45]
	s_cbranch_vccnz .LBB12_961
; %bb.886:
	v_cmp_lt_i16_e32 vcc, 25, v7
	s_mov_b64 s[6:7], -1
	s_mov_b64 s[4:5], 0
	s_mov_b64 s[0:1], 0
	s_cbranch_vccz .LBB12_919
; %bb.887:
	v_cmp_lt_i16_e32 vcc, 28, v7
	s_cbranch_vccz .LBB12_903
; %bb.888:
	v_cmp_lt_i16_e32 vcc, 43, v7
	;; [unrolled: 3-line block ×3, first 2 shown]
	s_cbranch_vccz .LBB12_893
; %bb.890:
	v_cmp_eq_u16_e32 vcc, 46, v7
	s_mov_b64 s[0:1], -1
	s_cbranch_vccz .LBB12_892
; %bb.891:
	v_cvt_f32_f64_e32 v2, v[0:1]
	v_bfe_u32 v3, v2, 16, 1
	s_movk_i32 s0, 0x7fff
	v_add3_u32 v3, v2, v3, s0
	v_lshrrev_b32_e32 v3, 16, v3
	v_mov_b32_e32 v6, 0x7fc0
	v_cmp_o_f32_e32 vcc, v2, v2
	s_mov_b64 s[0:1], 0
	s_nop 0
	v_cndmask_b32_e32 v2, v6, v3, vcc
	global_store_dword v[4:5], v2, off
.LBB12_892:
	s_mov_b64 s[6:7], 0
.LBB12_893:
	s_and_b64 vcc, exec, s[6:7]
	s_cbranch_vccz .LBB12_898
; %bb.894:
	v_cmp_eq_u16_e32 vcc, 44, v7
	s_mov_b64 s[0:1], -1
	s_cbranch_vccz .LBB12_898
; %bb.895:
	v_cvt_f32_f64_e32 v2, v[0:1]
	v_bfe_u32 v3, v2, 23, 8
	s_movk_i32 s0, 0xff
	v_cmp_ne_u32_e32 vcc, s0, v3
	v_mov_b32_e32 v6, 0xff
	s_and_saveexec_b64 s[6:7], vcc
; %bb.896:
	s_mov_b32 s0, 0x3fffff
	v_lshrrev_b32_e32 v6, 23, v2
	v_and_b32_e32 v8, 0x400000, v2
	v_and_or_b32 v2, v2, s0, v3
	v_cmp_ne_u32_e32 vcc, 0, v8
	v_cmp_ne_u32_e64 s[0:1], 0, v2
	s_and_b64 s[0:1], vcc, s[0:1]
	s_nop 0
	v_cndmask_b32_e64 v2, 0, 1, s[0:1]
	v_add_u32_e32 v6, v6, v2
; %bb.897:
	s_or_b64 exec, exec, s[6:7]
	s_mov_b64 s[0:1], 0
	global_store_byte v[4:5], v6, off
.LBB12_898:
	s_mov_b64 s[6:7], 0
.LBB12_899:
	s_and_b64 vcc, exec, s[6:7]
	s_cbranch_vccz .LBB12_902
; %bb.900:
	v_cmp_eq_u16_e32 vcc, 29, v7
	s_mov_b64 s[0:1], -1
	s_cbranch_vccz .LBB12_902
; %bb.901:
	v_trunc_f64_e32 v[2:3], v[0:1]
	s_movk_i32 s0, 0xffe0
	v_ldexp_f64 v[8:9], v[2:3], s0
	v_floor_f64_e32 v[8:9], v[8:9]
	v_fmac_f64_e32 v[2:3], 0xc1f00000, v[8:9]
	v_cvt_u32_f64_e32 v11, v[8:9]
	v_cvt_u32_f64_e32 v10, v[2:3]
	global_store_dwordx2 v[4:5], v[10:11], off
	s_mov_b64 s[0:1], 0
.LBB12_902:
	s_mov_b64 s[6:7], 0
.LBB12_903:
	s_and_b64 vcc, exec, s[6:7]
	s_cbranch_vccz .LBB12_918
; %bb.904:
	v_cmp_gt_i16_e32 vcc, 27, v7
	s_mov_b64 s[6:7], -1
	s_cbranch_vccnz .LBB12_910
; %bb.905:
	v_cmp_lt_i16_e32 vcc, 27, v7
	v_cvt_u32_f64_e32 v2, v[0:1]
	s_cbranch_vccz .LBB12_907
; %bb.906:
	global_store_dword v[4:5], v2, off
	s_mov_b64 s[6:7], 0
.LBB12_907:
	s_andn2_b64 vcc, exec, s[6:7]
	s_cbranch_vccnz .LBB12_909
; %bb.908:
	global_store_short v[4:5], v2, off
.LBB12_909:
	s_mov_b64 s[6:7], 0
.LBB12_910:
	s_andn2_b64 vcc, exec, s[6:7]
	s_cbranch_vccnz .LBB12_918
; %bb.911:
	v_cvt_f32_f64_e32 v2, v[0:1]
	v_and_b32_e32 v3, 0x7fffffff, v2
	s_mov_b32 s6, 0x43800000
	v_cmp_gt_u32_e32 vcc, s6, v3
	v_mov_b32_e32 v6, 0x80
	s_and_saveexec_b64 s[6:7], vcc
	s_cbranch_execz .LBB12_917
; %bb.912:
	s_mov_b32 s8, 0x3bffffff
	v_cmp_lt_u32_e32 vcc, s8, v3
	s_mov_b64 s[8:9], 0
                                        ; implicit-def: $vgpr3
	s_and_saveexec_b64 s[10:11], vcc
	s_xor_b64 s[10:11], exec, s[10:11]
	s_cbranch_execz .LBB12_1127
; %bb.913:
	v_bfe_u32 v3, v2, 20, 1
	s_mov_b32 s12, 0x487ffff
	v_add3_u32 v3, v2, v3, s12
	s_mov_b64 s[8:9], exec
	v_lshrrev_b32_e32 v3, 20, v3
	s_or_saveexec_b64 s[10:11], s[10:11]
                                        ; implicit-def: $sgpr12
	s_xor_b64 exec, exec, s[10:11]
	s_cbranch_execnz .LBB12_1128
.LBB12_914:
	s_or_b64 exec, exec, s[10:11]
	v_mov_b32_e32 v6, s12
	s_and_saveexec_b64 s[10:11], s[8:9]
.LBB12_915:
	v_lshrrev_b32_e32 v2, 24, v2
	s_movk_i32 s8, 0x80
	v_and_or_b32 v6, v2, s8, v3
.LBB12_916:
	s_or_b64 exec, exec, s[10:11]
.LBB12_917:
	s_or_b64 exec, exec, s[6:7]
	global_store_byte v[4:5], v6, off
.LBB12_918:
	s_mov_b64 s[6:7], 0
.LBB12_919:
	s_and_b64 vcc, exec, s[6:7]
	s_cbranch_vccz .LBB12_959
; %bb.920:
	v_cmp_lt_i16_e32 vcc, 22, v7
	s_mov_b64 s[4:5], -1
	s_cbranch_vccz .LBB12_952
; %bb.921:
	v_cmp_gt_i16_e32 vcc, 24, v7
	s_cbranch_vccnz .LBB12_941
; %bb.922:
	v_cmp_lt_i16_e32 vcc, 24, v7
	s_cbranch_vccz .LBB12_930
; %bb.923:
	v_cvt_f32_f64_e32 v2, v[0:1]
	v_and_b32_e32 v3, 0x7fffffff, v2
	s_mov_b32 s4, 0x47800000
	v_cmp_gt_u32_e32 vcc, s4, v3
	v_mov_b32_e32 v6, 0x80
	s_and_saveexec_b64 s[4:5], vcc
	s_cbranch_execz .LBB12_929
; %bb.924:
	s_mov_b32 s6, 0x37ffffff
	v_cmp_lt_u32_e32 vcc, s6, v3
	s_mov_b64 s[6:7], 0
                                        ; implicit-def: $vgpr3
	s_and_saveexec_b64 s[8:9], vcc
	s_xor_b64 s[8:9], exec, s[8:9]
	s_cbranch_execz .LBB12_1134
; %bb.925:
	v_bfe_u32 v3, v2, 21, 1
	s_mov_b32 s10, 0x88fffff
	v_add3_u32 v3, v2, v3, s10
	s_mov_b64 s[6:7], exec
	v_lshrrev_b32_e32 v3, 21, v3
	s_or_saveexec_b64 s[8:9], s[8:9]
                                        ; implicit-def: $sgpr10
	s_xor_b64 exec, exec, s[8:9]
	s_cbranch_execnz .LBB12_1135
.LBB12_926:
	s_or_b64 exec, exec, s[8:9]
	v_mov_b32_e32 v6, s10
	s_and_saveexec_b64 s[8:9], s[6:7]
.LBB12_927:
	v_lshrrev_b32_e32 v2, 24, v2
	s_movk_i32 s6, 0x80
	v_and_or_b32 v6, v2, s6, v3
.LBB12_928:
	s_or_b64 exec, exec, s[8:9]
.LBB12_929:
	s_or_b64 exec, exec, s[4:5]
	s_mov_b64 s[4:5], 0
	global_store_byte v[4:5], v6, off
.LBB12_930:
	s_and_b64 vcc, exec, s[4:5]
	s_cbranch_vccz .LBB12_940
; %bb.931:
	v_cvt_f32_f64_e32 v2, v[0:1]
	v_and_b32_e32 v6, 0x7fffffff, v2
	s_mov_b32 s4, 0x43f00000
	v_cmp_gt_u32_e32 vcc, s4, v6
                                        ; implicit-def: $vgpr3
	s_and_saveexec_b64 s[4:5], vcc
	s_xor_b64 s[4:5], exec, s[4:5]
	s_cbranch_execz .LBB12_937
; %bb.932:
	s_mov_b32 s6, 0x3c7fffff
	v_cmp_lt_u32_e32 vcc, s6, v6
                                        ; implicit-def: $vgpr3
	s_and_saveexec_b64 s[6:7], vcc
	s_xor_b64 s[6:7], exec, s[6:7]
; %bb.933:
	v_bfe_u32 v3, v2, 20, 1
	s_mov_b32 s8, 0x407ffff
	v_add3_u32 v3, v2, v3, s8
	v_lshrrev_b32_e32 v6, 20, v3
	v_and_b32_e32 v3, 0xff00000, v3
	s_mov_b32 s8, 0x7f00000
	v_mov_b32_e32 v8, 0x7e
	v_cmp_ne_u32_e32 vcc, s8, v3
	s_nop 1
	v_cndmask_b32_e32 v3, v8, v6, vcc
; %bb.934:
	s_andn2_saveexec_b64 s[6:7], s[6:7]
; %bb.935:
	s_mov_b32 s8, 0x46800000
	v_add_f32_e64 v3, |v2|, s8
; %bb.936:
	s_or_b64 exec, exec, s[6:7]
                                        ; implicit-def: $vgpr6
.LBB12_937:
	s_andn2_saveexec_b64 s[4:5], s[4:5]
; %bb.938:
	s_mov_b32 s6, 0x7f800000
	v_mov_b32_e32 v3, 0x7e
	v_mov_b32_e32 v8, 0x7f
	v_cmp_lt_u32_e32 vcc, s6, v6
	s_nop 1
	v_cndmask_b32_e32 v3, v3, v8, vcc
; %bb.939:
	s_or_b64 exec, exec, s[4:5]
	v_lshrrev_b32_e32 v2, 24, v2
	s_movk_i32 s4, 0x80
	v_and_or_b32 v2, v2, s4, v3
	global_store_byte v[4:5], v2, off
.LBB12_940:
	s_mov_b64 s[4:5], 0
.LBB12_941:
	s_andn2_b64 vcc, exec, s[4:5]
	s_cbranch_vccnz .LBB12_951
; %bb.942:
	v_cvt_f32_f64_e32 v2, v[0:1]
	v_and_b32_e32 v6, 0x7fffffff, v2
	s_mov_b32 s4, 0x47800000
	v_cmp_gt_u32_e32 vcc, s4, v6
                                        ; implicit-def: $vgpr3
	s_and_saveexec_b64 s[4:5], vcc
	s_xor_b64 s[4:5], exec, s[4:5]
	s_cbranch_execz .LBB12_948
; %bb.943:
	s_mov_b32 s6, 0x387fffff
	v_cmp_lt_u32_e32 vcc, s6, v6
                                        ; implicit-def: $vgpr3
	s_and_saveexec_b64 s[6:7], vcc
	s_xor_b64 s[6:7], exec, s[6:7]
; %bb.944:
	v_bfe_u32 v3, v2, 21, 1
	s_mov_b32 s8, 0x80fffff
	v_add3_u32 v3, v2, v3, s8
	v_lshrrev_b32_e32 v3, 21, v3
; %bb.945:
	s_andn2_saveexec_b64 s[6:7], s[6:7]
; %bb.946:
	s_mov_b32 s8, 0x43000000
	v_add_f32_e64 v3, |v2|, s8
; %bb.947:
	s_or_b64 exec, exec, s[6:7]
                                        ; implicit-def: $vgpr6
.LBB12_948:
	s_andn2_saveexec_b64 s[4:5], s[4:5]
; %bb.949:
	s_mov_b32 s6, 0x7f800000
	v_mov_b32_e32 v3, 0x7c
	v_mov_b32_e32 v8, 0x7f
	v_cmp_lt_u32_e32 vcc, s6, v6
	s_nop 1
	v_cndmask_b32_e32 v3, v3, v8, vcc
; %bb.950:
	s_or_b64 exec, exec, s[4:5]
	v_lshrrev_b32_e32 v2, 24, v2
	s_movk_i32 s4, 0x80
	v_and_or_b32 v2, v2, s4, v3
	global_store_byte v[4:5], v2, off
.LBB12_951:
	s_mov_b64 s[4:5], 0
.LBB12_952:
	s_andn2_b64 vcc, exec, s[4:5]
	s_mov_b64 s[4:5], 0
	s_cbranch_vccnz .LBB12_959
; %bb.953:
	v_cmp_lt_i16_e32 vcc, 14, v7
	s_mov_b64 s[6:7], -1
	s_cbranch_vccz .LBB12_957
; %bb.954:
	v_cmp_eq_u16_e32 vcc, 15, v7
	s_mov_b64 s[0:1], -1
	s_cbranch_vccz .LBB12_956
; %bb.955:
	v_cvt_f32_f64_e32 v2, v[0:1]
	v_bfe_u32 v3, v2, 16, 1
	s_movk_i32 s0, 0x7fff
	v_add3_u32 v3, v2, v3, s0
	v_lshrrev_b32_e32 v3, 16, v3
	v_mov_b32_e32 v6, 0x7fc0
	v_cmp_o_f32_e32 vcc, v2, v2
	s_mov_b64 s[0:1], 0
	s_nop 0
	v_cndmask_b32_e32 v2, v6, v3, vcc
	global_store_short v[4:5], v2, off
.LBB12_956:
	s_mov_b64 s[6:7], 0
.LBB12_957:
	s_and_b64 vcc, exec, s[6:7]
	s_cbranch_vccz .LBB12_959
; %bb.958:
	v_cmp_ne_u16_e64 s[0:1], 11, v7
	s_mov_b64 s[4:5], -1
.LBB12_959:
	s_and_b64 vcc, exec, s[0:1]
	s_cbranch_vccnz .LBB12_1131
.LBB12_960:
	s_mov_b64 s[0:1], 0
	s_branch .LBB12_1080
.LBB12_961:
	s_mov_b64 s[4:5], 0
	s_mov_b64 s[0:1], -1
	s_branch .LBB12_1080
.LBB12_962:
	s_mov_b64 s[0:1], 0
	s_branch .LBB12_980
.LBB12_963:
	s_or_saveexec_b64 s[10:11], s[10:11]
                                        ; implicit-def: $sgpr13
	s_xor_b64 exec, exec, s[10:11]
	s_cbranch_execz .LBB12_788
.LBB12_964:
	s_mov_b32 s13, 0x46000000
	v_add_f32_e64 v5, |v4|, s13
	v_and_b32_e32 v5, 0xff, v5
	v_cmp_ne_u32_e32 vcc, 0, v5
	s_andn2_b64 s[8:9], s[8:9], exec
	s_and_b64 s[14:15], vcc, exec
	s_mov_b32 s13, 0
	s_or_b64 s[8:9], s[8:9], s[14:15]
	s_or_b64 exec, exec, s[10:11]
	v_mov_b32_e32 v6, s13
	s_and_saveexec_b64 s[10:11], s[8:9]
	s_cbranch_execnz .LBB12_789
	s_branch .LBB12_790
.LBB12_965:
	s_mov_b64 s[0:1], 0
	s_branch .LBB12_976
.LBB12_966:
	s_trap 2
	s_or_b64 s[2:3], s[2:3], exec
	s_cbranch_execz .LBB12_836
	s_branch .LBB12_837
.LBB12_967:
	s_or_saveexec_b64 s[8:9], s[8:9]
                                        ; implicit-def: $sgpr10
	s_xor_b64 exec, exec, s[8:9]
	s_cbranch_execz .LBB12_801
.LBB12_968:
	s_mov_b32 s10, 0x42800000
	v_add_f32_e64 v5, |v4|, s10
	v_and_b32_e32 v5, 0xff, v5
	v_cmp_ne_u32_e32 vcc, 0, v5
	s_andn2_b64 s[6:7], s[6:7], exec
	s_and_b64 s[14:15], vcc, exec
	s_mov_b32 s10, 0
	s_or_b64 s[6:7], s[6:7], s[14:15]
	s_or_b64 exec, exec, s[8:9]
	v_mov_b32_e32 v6, s10
	s_and_saveexec_b64 s[8:9], s[6:7]
	s_cbranch_execnz .LBB12_802
	s_branch .LBB12_803
.LBB12_969:
	s_mov_b64 s[0:1], 0
.LBB12_970:
	s_and_b64 vcc, exec, s[8:9]
	s_cbranch_vccz .LBB12_975
; %bb.971:
	v_mov_b32_e32 v4, 44
	v_cmp_eq_u16_sdwa s[8:9], s12, v4 src0_sel:BYTE_0 src1_sel:DWORD
	s_mov_b64 s[0:1], -1
	s_and_b64 vcc, exec, s[8:9]
	s_cbranch_vccz .LBB12_975
; %bb.972:
	v_cvt_f32_f64_e32 v4, v[34:35]
	v_bfe_u32 v5, v4, 23, 8
	s_movk_i32 s0, 0xff
	v_cmp_ne_u32_e32 vcc, s0, v5
	v_mov_b32_e32 v6, 0xff
	s_and_saveexec_b64 s[6:7], vcc
; %bb.973:
	s_mov_b32 s0, 0x3fffff
	v_lshrrev_b32_e32 v6, 23, v4
	v_and_b32_e32 v7, 0x400000, v4
	v_and_or_b32 v4, v4, s0, v5
	v_cmp_ne_u32_e32 vcc, 0, v7
	v_cmp_ne_u32_e64 s[0:1], 0, v4
	s_and_b64 s[0:1], vcc, s[0:1]
	s_nop 0
	v_cndmask_b32_e64 v4, 0, 1, s[0:1]
	v_add_u32_e32 v6, v6, v4
; %bb.974:
	s_or_b64 exec, exec, s[6:7]
	s_mov_b64 s[0:1], 0
	s_mov_b64 s[6:7], -1
	global_store_byte v[2:3], v6, off
.LBB12_975:
	s_mov_b64 s[8:9], 0
.LBB12_976:
	s_and_b64 vcc, exec, s[8:9]
	s_cbranch_vccz .LBB12_979
; %bb.977:
	v_mov_b32_e32 v4, 29
	v_cmp_eq_u16_sdwa s[8:9], s12, v4 src0_sel:BYTE_0 src1_sel:DWORD
	s_mov_b64 s[0:1], -1
	s_and_b64 vcc, exec, s[8:9]
	s_cbranch_vccz .LBB12_979
; %bb.978:
	v_trunc_f64_e32 v[4:5], v[34:35]
	s_movk_i32 s0, 0xffe0
	v_ldexp_f64 v[6:7], v[4:5], s0
	v_floor_f64_e32 v[6:7], v[6:7]
	v_fmac_f64_e32 v[4:5], 0xc1f00000, v[6:7]
	v_cvt_u32_f64_e32 v9, v[6:7]
	v_cvt_u32_f64_e32 v8, v[4:5]
	global_store_dwordx2 v[2:3], v[8:9], off
	s_mov_b64 s[0:1], 0
	s_mov_b64 s[6:7], -1
.LBB12_979:
	s_mov_b64 s[8:9], 0
.LBB12_980:
	s_and_b64 vcc, exec, s[8:9]
	s_cbranch_vccz .LBB12_996
; %bb.981:
	v_mov_b32_e32 v4, 27
	v_cmp_lt_i16_sdwa s[8:9], s12, v4 src0_sel:BYTE_0 src1_sel:DWORD
	s_mov_b64 s[6:7], -1
	s_and_b64 vcc, exec, s[8:9]
	s_cbranch_vccnz .LBB12_987
; %bb.982:
	v_cmp_gt_i16_sdwa s[8:9], s12, v4 src0_sel:BYTE_0 src1_sel:DWORD
	s_and_b64 vcc, exec, s[8:9]
	v_cvt_u32_f64_e32 v4, v[34:35]
	s_cbranch_vccz .LBB12_984
; %bb.983:
	s_mov_b64 s[6:7], 0
	global_store_dword v[2:3], v4, off
.LBB12_984:
	s_andn2_b64 vcc, exec, s[6:7]
	s_cbranch_vccnz .LBB12_986
; %bb.985:
	global_store_short v[2:3], v4, off
.LBB12_986:
	s_mov_b64 s[6:7], 0
.LBB12_987:
	s_andn2_b64 vcc, exec, s[6:7]
	s_cbranch_vccnz .LBB12_995
; %bb.988:
	v_cvt_f32_f64_e32 v4, v[34:35]
	v_and_b32_e32 v5, 0x7fffffff, v4
	s_mov_b32 s6, 0x43800000
	v_cmp_gt_u32_e32 vcc, s6, v5
	v_mov_b32_e32 v6, 0x80
	s_and_saveexec_b64 s[6:7], vcc
	s_cbranch_execz .LBB12_994
; %bb.989:
	s_mov_b32 s8, 0x3bffffff
	v_cmp_lt_u32_e32 vcc, s8, v5
	s_mov_b64 s[8:9], 0
                                        ; implicit-def: $vgpr5
	s_and_saveexec_b64 s[10:11], vcc
	s_xor_b64 s[10:11], exec, s[10:11]
	s_cbranch_execz .LBB12_1124
; %bb.990:
	v_bfe_u32 v5, v4, 20, 1
	s_mov_b32 s13, 0x487ffff
	v_add3_u32 v5, v4, v5, s13
	s_mov_b64 s[8:9], exec
	v_lshrrev_b32_e32 v5, 20, v5
	s_or_saveexec_b64 s[10:11], s[10:11]
                                        ; implicit-def: $sgpr13
	s_xor_b64 exec, exec, s[10:11]
	s_cbranch_execnz .LBB12_1125
.LBB12_991:
	s_or_b64 exec, exec, s[10:11]
	v_mov_b32_e32 v6, s13
	s_and_saveexec_b64 s[10:11], s[8:9]
.LBB12_992:
	v_lshrrev_b32_e32 v4, 24, v4
	s_movk_i32 s8, 0x80
	v_and_or_b32 v6, v4, s8, v5
.LBB12_993:
	s_or_b64 exec, exec, s[10:11]
.LBB12_994:
	s_or_b64 exec, exec, s[6:7]
	global_store_byte v[2:3], v6, off
.LBB12_995:
	s_mov_b64 s[6:7], -1
.LBB12_996:
	s_mov_b64 s[8:9], 0
.LBB12_997:
	s_and_b64 vcc, exec, s[8:9]
	s_cbranch_vccz .LBB12_1037
; %bb.998:
	v_mov_b32_e32 v4, 22
	v_cmp_gt_i16_sdwa s[8:9], s12, v4 src0_sel:BYTE_0 src1_sel:DWORD
	s_mov_b64 s[4:5], -1
	s_and_b64 vcc, exec, s[8:9]
	s_cbranch_vccz .LBB12_1030
; %bb.999:
	v_mov_b32_e32 v4, 24
	v_cmp_lt_i16_sdwa s[6:7], s12, v4 src0_sel:BYTE_0 src1_sel:DWORD
	s_and_b64 vcc, exec, s[6:7]
	s_cbranch_vccnz .LBB12_1019
; %bb.1000:
	v_cmp_gt_i16_sdwa s[6:7], s12, v4 src0_sel:BYTE_0 src1_sel:DWORD
	s_and_b64 vcc, exec, s[6:7]
	s_cbranch_vccz .LBB12_1008
; %bb.1001:
	v_cvt_f32_f64_e32 v4, v[34:35]
	v_and_b32_e32 v5, 0x7fffffff, v4
	s_mov_b32 s4, 0x47800000
	v_cmp_gt_u32_e32 vcc, s4, v5
	v_mov_b32_e32 v6, 0x80
	s_and_saveexec_b64 s[4:5], vcc
	s_cbranch_execz .LBB12_1007
; %bb.1002:
	s_mov_b32 s6, 0x37ffffff
	v_cmp_lt_u32_e32 vcc, s6, v5
	s_mov_b64 s[6:7], 0
                                        ; implicit-def: $vgpr5
	s_and_saveexec_b64 s[8:9], vcc
	s_xor_b64 s[8:9], exec, s[8:9]
	s_cbranch_execz .LBB12_1129
; %bb.1003:
	v_bfe_u32 v5, v4, 21, 1
	s_mov_b32 s10, 0x88fffff
	v_add3_u32 v5, v4, v5, s10
	s_mov_b64 s[6:7], exec
	v_lshrrev_b32_e32 v5, 21, v5
	s_or_saveexec_b64 s[8:9], s[8:9]
                                        ; implicit-def: $sgpr10
	s_xor_b64 exec, exec, s[8:9]
	s_cbranch_execnz .LBB12_1130
.LBB12_1004:
	s_or_b64 exec, exec, s[8:9]
	v_mov_b32_e32 v6, s10
	s_and_saveexec_b64 s[8:9], s[6:7]
.LBB12_1005:
	v_lshrrev_b32_e32 v4, 24, v4
	s_movk_i32 s6, 0x80
	v_and_or_b32 v6, v4, s6, v5
.LBB12_1006:
	s_or_b64 exec, exec, s[8:9]
.LBB12_1007:
	s_or_b64 exec, exec, s[4:5]
	s_mov_b64 s[4:5], 0
	global_store_byte v[2:3], v6, off
.LBB12_1008:
	s_and_b64 vcc, exec, s[4:5]
	s_cbranch_vccz .LBB12_1018
; %bb.1009:
	v_cvt_f32_f64_e32 v4, v[34:35]
	v_and_b32_e32 v6, 0x7fffffff, v4
	s_mov_b32 s4, 0x43f00000
	v_cmp_gt_u32_e32 vcc, s4, v6
                                        ; implicit-def: $vgpr5
	s_and_saveexec_b64 s[4:5], vcc
	s_xor_b64 s[4:5], exec, s[4:5]
	s_cbranch_execz .LBB12_1015
; %bb.1010:
	s_mov_b32 s6, 0x3c7fffff
	v_cmp_lt_u32_e32 vcc, s6, v6
                                        ; implicit-def: $vgpr5
	s_and_saveexec_b64 s[6:7], vcc
	s_xor_b64 s[6:7], exec, s[6:7]
; %bb.1011:
	v_bfe_u32 v5, v4, 20, 1
	s_mov_b32 s8, 0x407ffff
	v_add3_u32 v5, v4, v5, s8
	v_lshrrev_b32_e32 v6, 20, v5
	v_and_b32_e32 v5, 0xff00000, v5
	s_mov_b32 s8, 0x7f00000
	v_mov_b32_e32 v7, 0x7e
	v_cmp_ne_u32_e32 vcc, s8, v5
	s_nop 1
	v_cndmask_b32_e32 v5, v7, v6, vcc
; %bb.1012:
	s_andn2_saveexec_b64 s[6:7], s[6:7]
; %bb.1013:
	s_mov_b32 s8, 0x46800000
	v_add_f32_e64 v5, |v4|, s8
; %bb.1014:
	s_or_b64 exec, exec, s[6:7]
                                        ; implicit-def: $vgpr6
.LBB12_1015:
	s_andn2_saveexec_b64 s[4:5], s[4:5]
; %bb.1016:
	s_mov_b32 s6, 0x7f800000
	v_mov_b32_e32 v5, 0x7e
	v_mov_b32_e32 v7, 0x7f
	v_cmp_lt_u32_e32 vcc, s6, v6
	s_nop 1
	v_cndmask_b32_e32 v5, v5, v7, vcc
; %bb.1017:
	s_or_b64 exec, exec, s[4:5]
	v_lshrrev_b32_e32 v4, 24, v4
	s_movk_i32 s4, 0x80
	v_and_or_b32 v4, v4, s4, v5
	global_store_byte v[2:3], v4, off
.LBB12_1018:
	s_mov_b64 s[4:5], 0
.LBB12_1019:
	s_andn2_b64 vcc, exec, s[4:5]
	s_cbranch_vccnz .LBB12_1029
; %bb.1020:
	v_cvt_f32_f64_e32 v4, v[34:35]
	v_and_b32_e32 v6, 0x7fffffff, v4
	s_mov_b32 s4, 0x47800000
	v_cmp_gt_u32_e32 vcc, s4, v6
                                        ; implicit-def: $vgpr5
	s_and_saveexec_b64 s[4:5], vcc
	s_xor_b64 s[4:5], exec, s[4:5]
	s_cbranch_execz .LBB12_1026
; %bb.1021:
	s_mov_b32 s6, 0x387fffff
	v_cmp_lt_u32_e32 vcc, s6, v6
                                        ; implicit-def: $vgpr5
	s_and_saveexec_b64 s[6:7], vcc
	s_xor_b64 s[6:7], exec, s[6:7]
; %bb.1022:
	v_bfe_u32 v5, v4, 21, 1
	s_mov_b32 s8, 0x80fffff
	v_add3_u32 v5, v4, v5, s8
	v_lshrrev_b32_e32 v5, 21, v5
; %bb.1023:
	s_andn2_saveexec_b64 s[6:7], s[6:7]
; %bb.1024:
	s_mov_b32 s8, 0x43000000
	v_add_f32_e64 v5, |v4|, s8
; %bb.1025:
	s_or_b64 exec, exec, s[6:7]
                                        ; implicit-def: $vgpr6
.LBB12_1026:
	s_andn2_saveexec_b64 s[4:5], s[4:5]
; %bb.1027:
	s_mov_b32 s6, 0x7f800000
	v_mov_b32_e32 v5, 0x7c
	v_mov_b32_e32 v7, 0x7f
	v_cmp_lt_u32_e32 vcc, s6, v6
	s_nop 1
	v_cndmask_b32_e32 v5, v5, v7, vcc
; %bb.1028:
	s_or_b64 exec, exec, s[4:5]
	v_lshrrev_b32_e32 v4, 24, v4
	s_movk_i32 s4, 0x80
	v_and_or_b32 v4, v4, s4, v5
	global_store_byte v[2:3], v4, off
.LBB12_1029:
	s_mov_b64 s[4:5], 0
	s_mov_b64 s[6:7], -1
.LBB12_1030:
	s_andn2_b64 vcc, exec, s[4:5]
	s_mov_b64 s[4:5], 0
	s_cbranch_vccnz .LBB12_1037
; %bb.1031:
	v_mov_b32_e32 v4, 14
	v_cmp_gt_i16_sdwa s[4:5], s12, v4 src0_sel:BYTE_0 src1_sel:DWORD
	s_mov_b64 s[8:9], -1
	s_and_b64 vcc, exec, s[4:5]
	s_cbranch_vccz .LBB12_1035
; %bb.1032:
	v_mov_b32_e32 v4, 15
	v_cmp_eq_u16_sdwa s[4:5], s12, v4 src0_sel:BYTE_0 src1_sel:DWORD
	s_mov_b64 s[0:1], -1
	s_and_b64 vcc, exec, s[4:5]
	s_cbranch_vccz .LBB12_1034
; %bb.1033:
	v_cvt_f32_f64_e32 v4, v[34:35]
	v_bfe_u32 v5, v4, 16, 1
	s_movk_i32 s0, 0x7fff
	v_add3_u32 v5, v4, v5, s0
	v_lshrrev_b32_e32 v5, 16, v5
	v_mov_b32_e32 v6, 0x7fc0
	v_cmp_o_f32_e32 vcc, v4, v4
	s_mov_b64 s[0:1], 0
	s_mov_b64 s[6:7], -1
	v_cndmask_b32_e32 v4, v6, v5, vcc
	global_store_short v[2:3], v4, off
.LBB12_1034:
	s_mov_b64 s[8:9], 0
.LBB12_1035:
	s_mov_b64 s[4:5], 0
	s_and_b64 vcc, exec, s[8:9]
	s_cbranch_vccz .LBB12_1037
; %bb.1036:
	v_mov_b32_e32 v4, 11
	v_cmp_ne_u16_sdwa s[0:1], s12, v4 src0_sel:BYTE_0 src1_sel:DWORD
	s_mov_b64 s[4:5], -1
.LBB12_1037:
	s_and_b64 vcc, exec, s[0:1]
	s_cbranch_vccnz .LBB12_1126
; %bb.1038:
	s_andn2_b64 vcc, exec, s[4:5]
	s_cbranch_vccnz .LBB12_1040
.LBB12_1039:
	v_cmp_neq_f64_e32 vcc, 0, v[34:35]
	s_mov_b64 s[6:7], -1
	s_nop 0
	v_cndmask_b32_e64 v4, 0, 1, vcc
	global_store_byte v[2:3], v4, off
.LBB12_1040:
	s_branch .LBB12_884
.LBB12_1041:
	v_mov_b32_e32 v4, 5
	v_cmp_lt_i16_sdwa s[4:5], s12, v4 src0_sel:BYTE_0 src1_sel:DWORD
	s_mov_b64 s[0:1], -1
	s_and_b64 vcc, exec, s[4:5]
	s_cbranch_vccnz .LBB12_1062
; %bb.1042:
	v_mov_b32_e32 v4, 8
	v_cmp_lt_i16_sdwa s[4:5], s12, v4 src0_sel:BYTE_0 src1_sel:DWORD
	s_and_b64 vcc, exec, s[4:5]
	s_cbranch_vccnz .LBB12_1052
; %bb.1043:
	v_mov_b32_e32 v4, 9
	v_cmp_lt_i16_sdwa s[4:5], s12, v4 src0_sel:BYTE_0 src1_sel:DWORD
	s_and_b64 vcc, exec, s[4:5]
	s_cbranch_vccnz .LBB12_1049
; %bb.1044:
	v_cmp_gt_i16_sdwa s[4:5], s12, v4 src0_sel:BYTE_0 src1_sel:DWORD
	s_and_b64 vcc, exec, s[4:5]
	s_cbranch_vccz .LBB12_1046
; %bb.1045:
	v_mov_b32_e32 v36, 0
	v_mov_b32_e32 v37, v36
	global_store_dwordx4 v[2:3], v[34:37], off
	s_mov_b64 s[0:1], 0
.LBB12_1046:
	s_andn2_b64 vcc, exec, s[0:1]
	s_cbranch_vccnz .LBB12_1048
; %bb.1047:
	v_cvt_f32_f64_e32 v4, v[34:35]
	v_mov_b32_e32 v5, 0
	global_store_dwordx2 v[2:3], v[4:5], off
.LBB12_1048:
	s_mov_b64 s[0:1], 0
.LBB12_1049:
	s_andn2_b64 vcc, exec, s[0:1]
	s_cbranch_vccnz .LBB12_1051
; %bb.1050:
	v_cvt_f32_f64_e32 v4, v[34:35]
	v_cvt_f16_f32_e32 v4, v4
	global_store_dword v[2:3], v4, off
.LBB12_1051:
	s_mov_b64 s[0:1], 0
.LBB12_1052:
	s_andn2_b64 vcc, exec, s[0:1]
	s_cbranch_vccnz .LBB12_1061
; %bb.1053:
	v_mov_b32_e32 v4, 6
	v_cmp_lt_i16_sdwa s[4:5], s12, v4 src0_sel:BYTE_0 src1_sel:DWORD
	s_mov_b64 s[0:1], -1
	s_and_b64 vcc, exec, s[4:5]
	s_cbranch_vccnz .LBB12_1059
; %bb.1054:
	v_cmp_gt_i16_sdwa s[4:5], s12, v4 src0_sel:BYTE_0 src1_sel:DWORD
	s_and_b64 vcc, exec, s[4:5]
	s_cbranch_vccz .LBB12_1056
; %bb.1055:
	global_store_dwordx2 v[2:3], v[34:35], off
	s_mov_b64 s[0:1], 0
.LBB12_1056:
	s_andn2_b64 vcc, exec, s[0:1]
	s_cbranch_vccnz .LBB12_1058
; %bb.1057:
	v_cvt_f32_f64_e32 v4, v[34:35]
	global_store_dword v[2:3], v4, off
.LBB12_1058:
	s_mov_b64 s[0:1], 0
.LBB12_1059:
	s_andn2_b64 vcc, exec, s[0:1]
	s_cbranch_vccnz .LBB12_1061
; %bb.1060:
	v_cvt_f32_f64_e32 v4, v[34:35]
	v_cvt_f16_f32_e32 v4, v4
	global_store_short v[2:3], v4, off
.LBB12_1061:
	s_mov_b64 s[0:1], 0
.LBB12_1062:
	s_andn2_b64 vcc, exec, s[0:1]
	s_cbranch_vccnz .LBB12_1078
; %bb.1063:
	v_mov_b32_e32 v4, 2
	v_cmp_lt_i16_sdwa s[4:5], s12, v4 src0_sel:BYTE_0 src1_sel:DWORD
	s_mov_b64 s[0:1], -1
	s_and_b64 vcc, exec, s[4:5]
	s_cbranch_vccnz .LBB12_1073
; %bb.1064:
	v_mov_b32_e32 v4, 3
	v_cmp_lt_i16_sdwa s[4:5], s12, v4 src0_sel:BYTE_0 src1_sel:DWORD
	s_and_b64 vcc, exec, s[4:5]
	s_cbranch_vccnz .LBB12_1070
; %bb.1065:
	v_cmp_gt_i16_sdwa s[4:5], s12, v4 src0_sel:BYTE_0 src1_sel:DWORD
	s_and_b64 vcc, exec, s[4:5]
	s_cbranch_vccz .LBB12_1067
; %bb.1066:
	v_trunc_f64_e32 v[4:5], v[34:35]
	s_movk_i32 s0, 0xffe0
	v_ldexp_f64 v[6:7], v[4:5], s0
	v_floor_f64_e32 v[6:7], v[6:7]
	v_fmac_f64_e32 v[4:5], 0xc1f00000, v[6:7]
	v_cvt_i32_f64_e32 v9, v[6:7]
	v_cvt_u32_f64_e32 v8, v[4:5]
	global_store_dwordx2 v[2:3], v[8:9], off
	s_mov_b64 s[0:1], 0
.LBB12_1067:
	s_andn2_b64 vcc, exec, s[0:1]
	s_cbranch_vccnz .LBB12_1069
; %bb.1068:
	v_cvt_i32_f64_e32 v4, v[34:35]
	global_store_dword v[2:3], v4, off
.LBB12_1069:
	s_mov_b64 s[0:1], 0
.LBB12_1070:
	s_andn2_b64 vcc, exec, s[0:1]
	s_cbranch_vccnz .LBB12_1072
; %bb.1071:
	v_cvt_i32_f64_e32 v4, v[34:35]
	global_store_short v[2:3], v4, off
.LBB12_1072:
	s_mov_b64 s[0:1], 0
.LBB12_1073:
	s_andn2_b64 vcc, exec, s[0:1]
	s_cbranch_vccnz .LBB12_1078
; %bb.1074:
	v_mov_b32_e32 v4, 0
	v_cmp_gt_i16_sdwa s[4:5], s12, v4 src0_sel:BYTE_0 src1_sel:DWORD
	s_mov_b64 s[0:1], -1
	s_and_b64 vcc, exec, s[4:5]
	s_cbranch_vccz .LBB12_1076
; %bb.1075:
	v_cvt_i32_f64_e32 v4, v[34:35]
	global_store_byte v[2:3], v4, off
	s_mov_b64 s[0:1], 0
.LBB12_1076:
	s_andn2_b64 vcc, exec, s[0:1]
	s_cbranch_vccnz .LBB12_1078
; %bb.1077:
	v_trunc_f64_e32 v[4:5], v[34:35]
	s_movk_i32 s0, 0xffe0
	v_ldexp_f64 v[6:7], v[4:5], s0
	v_floor_f64_e32 v[6:7], v[6:7]
	v_fmac_f64_e32 v[4:5], 0xc1f00000, v[6:7]
	v_cvt_u32_f64_e32 v4, v[4:5]
	global_store_byte v[2:3], v4, off
.LBB12_1078:
	s_branch .LBB12_885
.LBB12_1079:
	s_mov_b64 s[0:1], 0
	s_mov_b64 s[4:5], 0
                                        ; implicit-def: $vgpr7
                                        ; implicit-def: $vgpr4_vgpr5
.LBB12_1080:
	s_and_b64 s[50:51], s[4:5], exec
	s_andn2_b64 s[4:5], s[40:41], exec
	s_and_b64 s[2:3], s[2:3], exec
	s_and_b64 s[0:1], s[0:1], exec
	s_or_b64 s[40:41], s[4:5], s[2:3]
.LBB12_1081:
	s_or_b64 exec, exec, s[42:43]
	s_and_saveexec_b64 s[2:3], s[40:41]
	s_cbranch_execz .LBB12_1084
; %bb.1082:
	; divergent unreachable
	s_or_b64 exec, exec, s[2:3]
	s_and_saveexec_b64 s[2:3], s[50:51]
	s_xor_b64 s[2:3], exec, s[2:3]
	s_cbranch_execnz .LBB12_1085
.LBB12_1083:
	s_or_b64 exec, exec, s[2:3]
	s_and_saveexec_b64 s[2:3], s[0:1]
	s_cbranch_execnz .LBB12_1086
	s_branch .LBB12_1123
.LBB12_1084:
	s_or_b64 exec, exec, s[2:3]
	s_and_saveexec_b64 s[2:3], s[50:51]
	s_xor_b64 s[2:3], exec, s[2:3]
	s_cbranch_execz .LBB12_1083
.LBB12_1085:
	v_cmp_neq_f64_e32 vcc, 0, v[0:1]
	s_nop 1
	v_cndmask_b32_e64 v2, 0, 1, vcc
	global_store_byte v[4:5], v2, off
	s_or_b64 exec, exec, s[2:3]
	s_and_saveexec_b64 s[2:3], s[0:1]
	s_cbranch_execz .LBB12_1123
.LBB12_1086:
	v_cmp_gt_i16_e32 vcc, 5, v7
	s_mov_b64 s[0:1], -1
	s_cbranch_vccnz .LBB12_1107
; %bb.1087:
	v_cmp_gt_i16_e32 vcc, 8, v7
	s_cbranch_vccnz .LBB12_1097
; %bb.1088:
	v_cmp_gt_i16_e32 vcc, 9, v7
	s_cbranch_vccnz .LBB12_1094
; %bb.1089:
	v_cmp_lt_i16_e32 vcc, 9, v7
	s_cbranch_vccz .LBB12_1091
; %bb.1090:
	v_mov_b32_e32 v2, 0
	v_mov_b32_e32 v3, v2
	global_store_dwordx4 v[4:5], v[0:3], off
	s_mov_b64 s[0:1], 0
.LBB12_1091:
	s_andn2_b64 vcc, exec, s[0:1]
	s_cbranch_vccnz .LBB12_1093
; %bb.1092:
	v_cvt_f32_f64_e32 v2, v[0:1]
	v_mov_b32_e32 v3, 0
	global_store_dwordx2 v[4:5], v[2:3], off
.LBB12_1093:
	s_mov_b64 s[0:1], 0
.LBB12_1094:
	s_andn2_b64 vcc, exec, s[0:1]
	s_cbranch_vccnz .LBB12_1096
; %bb.1095:
	v_cvt_f32_f64_e32 v2, v[0:1]
	v_cvt_f16_f32_e32 v2, v2
	global_store_dword v[4:5], v2, off
.LBB12_1096:
	s_mov_b64 s[0:1], 0
.LBB12_1097:
	s_andn2_b64 vcc, exec, s[0:1]
	s_cbranch_vccnz .LBB12_1106
; %bb.1098:
	v_cmp_gt_i16_e32 vcc, 6, v7
	s_mov_b64 s[0:1], -1
	s_cbranch_vccnz .LBB12_1104
; %bb.1099:
	v_cmp_lt_i16_e32 vcc, 6, v7
	s_cbranch_vccz .LBB12_1101
; %bb.1100:
	global_store_dwordx2 v[4:5], v[0:1], off
	s_mov_b64 s[0:1], 0
.LBB12_1101:
	s_andn2_b64 vcc, exec, s[0:1]
	s_cbranch_vccnz .LBB12_1103
; %bb.1102:
	v_cvt_f32_f64_e32 v2, v[0:1]
	global_store_dword v[4:5], v2, off
.LBB12_1103:
	s_mov_b64 s[0:1], 0
.LBB12_1104:
	s_andn2_b64 vcc, exec, s[0:1]
	s_cbranch_vccnz .LBB12_1106
; %bb.1105:
	v_cvt_f32_f64_e32 v2, v[0:1]
	v_cvt_f16_f32_e32 v2, v2
	global_store_short v[4:5], v2, off
.LBB12_1106:
	s_mov_b64 s[0:1], 0
.LBB12_1107:
	s_andn2_b64 vcc, exec, s[0:1]
	s_cbranch_vccnz .LBB12_1123
; %bb.1108:
	v_cmp_gt_i16_e32 vcc, 2, v7
	s_mov_b64 s[0:1], -1
	s_cbranch_vccnz .LBB12_1118
; %bb.1109:
	v_cmp_gt_i16_e32 vcc, 3, v7
	s_cbranch_vccnz .LBB12_1115
; %bb.1110:
	v_cmp_lt_i16_e32 vcc, 3, v7
	s_cbranch_vccz .LBB12_1112
; %bb.1111:
	v_trunc_f64_e32 v[2:3], v[0:1]
	s_movk_i32 s0, 0xffe0
	v_ldexp_f64 v[8:9], v[2:3], s0
	v_floor_f64_e32 v[8:9], v[8:9]
	v_fmac_f64_e32 v[2:3], 0xc1f00000, v[8:9]
	v_cvt_i32_f64_e32 v11, v[8:9]
	v_cvt_u32_f64_e32 v10, v[2:3]
	global_store_dwordx2 v[4:5], v[10:11], off
	s_mov_b64 s[0:1], 0
.LBB12_1112:
	s_andn2_b64 vcc, exec, s[0:1]
	s_cbranch_vccnz .LBB12_1114
; %bb.1113:
	v_cvt_i32_f64_e32 v2, v[0:1]
	global_store_dword v[4:5], v2, off
.LBB12_1114:
	s_mov_b64 s[0:1], 0
.LBB12_1115:
	s_andn2_b64 vcc, exec, s[0:1]
	s_cbranch_vccnz .LBB12_1117
; %bb.1116:
	v_cvt_i32_f64_e32 v2, v[0:1]
	global_store_short v[4:5], v2, off
.LBB12_1117:
	s_mov_b64 s[0:1], 0
.LBB12_1118:
	s_andn2_b64 vcc, exec, s[0:1]
	s_cbranch_vccnz .LBB12_1123
; %bb.1119:
	v_cmp_lt_i16_e32 vcc, 0, v7
	s_mov_b64 s[0:1], -1
	s_cbranch_vccz .LBB12_1121
; %bb.1120:
	v_cvt_i32_f64_e32 v2, v[0:1]
	global_store_byte v[4:5], v2, off
	s_mov_b64 s[0:1], 0
.LBB12_1121:
	s_andn2_b64 vcc, exec, s[0:1]
	s_cbranch_vccnz .LBB12_1123
; %bb.1122:
	v_trunc_f64_e32 v[0:1], v[0:1]
	s_movk_i32 s0, 0xffe0
	v_ldexp_f64 v[2:3], v[0:1], s0
	v_floor_f64_e32 v[2:3], v[2:3]
	v_fmac_f64_e32 v[0:1], 0xc1f00000, v[2:3]
	v_cvt_u32_f64_e32 v0, v[0:1]
	global_store_byte v[4:5], v0, off
	s_endpgm
.LBB12_1123:
	s_endpgm
.LBB12_1124:
	s_or_saveexec_b64 s[10:11], s[10:11]
                                        ; implicit-def: $sgpr13
	s_xor_b64 exec, exec, s[10:11]
	s_cbranch_execz .LBB12_991
.LBB12_1125:
	s_mov_b32 s13, 0x46000000
	v_add_f32_e64 v5, |v4|, s13
	v_and_b32_e32 v5, 0xff, v5
	v_cmp_ne_u32_e32 vcc, 0, v5
	s_andn2_b64 s[8:9], s[8:9], exec
	s_and_b64 s[14:15], vcc, exec
	s_mov_b32 s13, 0
	s_or_b64 s[8:9], s[8:9], s[14:15]
	s_or_b64 exec, exec, s[10:11]
	v_mov_b32_e32 v6, s13
	s_and_saveexec_b64 s[10:11], s[8:9]
	s_cbranch_execnz .LBB12_992
	s_branch .LBB12_993
.LBB12_1126:
	s_trap 2
	s_or_b64 s[2:3], s[2:3], exec
	s_cbranch_execz .LBB12_1039
	s_branch .LBB12_1040
.LBB12_1127:
	s_or_saveexec_b64 s[10:11], s[10:11]
                                        ; implicit-def: $sgpr12
	s_xor_b64 exec, exec, s[10:11]
	s_cbranch_execz .LBB12_914
.LBB12_1128:
	s_mov_b32 s12, 0x46000000
	v_add_f32_e64 v3, |v2|, s12
	v_and_b32_e32 v3, 0xff, v3
	v_cmp_ne_u32_e32 vcc, 0, v3
	s_andn2_b64 s[8:9], s[8:9], exec
	s_and_b64 s[14:15], vcc, exec
	s_mov_b32 s12, 0
	s_or_b64 s[8:9], s[8:9], s[14:15]
	s_or_b64 exec, exec, s[10:11]
	v_mov_b32_e32 v6, s12
	s_and_saveexec_b64 s[10:11], s[8:9]
	s_cbranch_execnz .LBB12_915
	s_branch .LBB12_916
.LBB12_1129:
	s_or_saveexec_b64 s[8:9], s[8:9]
                                        ; implicit-def: $sgpr10
	s_xor_b64 exec, exec, s[8:9]
	s_cbranch_execz .LBB12_1004
.LBB12_1130:
	s_mov_b32 s10, 0x42800000
	v_add_f32_e64 v5, |v4|, s10
	v_and_b32_e32 v5, 0xff, v5
	v_cmp_ne_u32_e32 vcc, 0, v5
	s_andn2_b64 s[6:7], s[6:7], exec
	s_and_b64 s[14:15], vcc, exec
	s_mov_b32 s10, 0
	s_or_b64 s[6:7], s[6:7], s[14:15]
	s_or_b64 exec, exec, s[8:9]
	v_mov_b32_e32 v6, s10
	s_and_saveexec_b64 s[8:9], s[6:7]
	s_cbranch_execnz .LBB12_1005
	s_branch .LBB12_1006
.LBB12_1131:
	s_mov_b64 s[4:5], 0
	s_or_b64 s[2:3], s[2:3], exec
	s_trap 2
	s_branch .LBB12_960
.LBB12_1132:
	s_or_saveexec_b64 s[6:7], s[6:7]
                                        ; implicit-def: $sgpr8
	s_xor_b64 exec, exec, s[6:7]
	s_cbranch_execz .LBB12_484
.LBB12_1133:
	s_mov_b32 s8, 0x46000000
	v_add_f32_e64 v3, |v2|, s8
	v_and_b32_e32 v3, 0xff, v3
	v_cmp_ne_u32_e32 vcc, 0, v3
	s_andn2_b64 s[4:5], s[4:5], exec
	s_and_b64 s[10:11], vcc, exec
	s_mov_b32 s8, 0
	s_or_b64 s[4:5], s[4:5], s[10:11]
	s_or_b64 exec, exec, s[6:7]
	v_mov_b32_e32 v7, s8
	s_and_saveexec_b64 s[6:7], s[4:5]
	s_cbranch_execnz .LBB12_485
	s_branch .LBB12_486
.LBB12_1134:
	s_or_saveexec_b64 s[8:9], s[8:9]
                                        ; implicit-def: $sgpr10
	s_xor_b64 exec, exec, s[8:9]
	s_cbranch_execz .LBB12_926
.LBB12_1135:
	s_mov_b32 s10, 0x42800000
	v_add_f32_e64 v3, |v2|, s10
	v_and_b32_e32 v3, 0xff, v3
	v_cmp_ne_u32_e32 vcc, 0, v3
	s_andn2_b64 s[6:7], s[6:7], exec
	s_and_b64 s[12:13], vcc, exec
	s_mov_b32 s10, 0
	s_or_b64 s[6:7], s[6:7], s[12:13]
	s_or_b64 exec, exec, s[8:9]
	v_mov_b32_e32 v6, s10
	s_and_saveexec_b64 s[8:9], s[6:7]
	s_cbranch_execnz .LBB12_927
	s_branch .LBB12_928
.LBB12_1136:
	s_or_saveexec_b64 s[8:9], s[8:9]
                                        ; implicit-def: $sgpr10
	s_xor_b64 exec, exec, s[8:9]
	s_cbranch_execz .LBB12_496
.LBB12_1137:
	s_mov_b32 s10, 0x42800000
	v_add_f32_e64 v3, |v2|, s10
	v_and_b32_e32 v3, 0xff, v3
	v_cmp_ne_u32_e32 vcc, 0, v3
	s_andn2_b64 s[6:7], s[6:7], exec
	s_and_b64 s[12:13], vcc, exec
	s_mov_b32 s10, 0
	s_or_b64 s[6:7], s[6:7], s[12:13]
	s_or_b64 exec, exec, s[8:9]
	v_mov_b32_e32 v7, s10
	s_and_saveexec_b64 s[8:9], s[6:7]
	s_cbranch_execnz .LBB12_497
	s_branch .LBB12_498
	.section	.rodata,"a",@progbits
	.p2align	6, 0x0
	.amdhsa_kernel _ZN2at6native32elementwise_kernel_manual_unrollILi128ELi4EZNS0_15gpu_kernel_implIZZZNS0_12_GLOBAL__N_121bessel_y0_kernel_cudaERNS_18TensorIteratorBaseEENKUlvE_clEvENKUlvE_clEvEUldE_EEvS5_RKT_EUlibE0_EEviT1_
		.amdhsa_group_segment_fixed_size 0
		.amdhsa_private_segment_fixed_size 0
		.amdhsa_kernarg_size 360
		.amdhsa_user_sgpr_count 2
		.amdhsa_user_sgpr_dispatch_ptr 0
		.amdhsa_user_sgpr_queue_ptr 0
		.amdhsa_user_sgpr_kernarg_segment_ptr 1
		.amdhsa_user_sgpr_dispatch_id 0
		.amdhsa_user_sgpr_kernarg_preload_length 0
		.amdhsa_user_sgpr_kernarg_preload_offset 0
		.amdhsa_user_sgpr_private_segment_size 0
		.amdhsa_uses_dynamic_stack 0
		.amdhsa_enable_private_segment 0
		.amdhsa_system_sgpr_workgroup_id_x 1
		.amdhsa_system_sgpr_workgroup_id_y 0
		.amdhsa_system_sgpr_workgroup_id_z 0
		.amdhsa_system_sgpr_workgroup_info 0
		.amdhsa_system_vgpr_workitem_id 0
		.amdhsa_next_free_vgpr 52
		.amdhsa_next_free_sgpr 80
		.amdhsa_accum_offset 52
		.amdhsa_reserve_vcc 1
		.amdhsa_float_round_mode_32 0
		.amdhsa_float_round_mode_16_64 0
		.amdhsa_float_denorm_mode_32 3
		.amdhsa_float_denorm_mode_16_64 3
		.amdhsa_dx10_clamp 1
		.amdhsa_ieee_mode 1
		.amdhsa_fp16_overflow 0
		.amdhsa_tg_split 0
		.amdhsa_exception_fp_ieee_invalid_op 0
		.amdhsa_exception_fp_denorm_src 0
		.amdhsa_exception_fp_ieee_div_zero 0
		.amdhsa_exception_fp_ieee_overflow 0
		.amdhsa_exception_fp_ieee_underflow 0
		.amdhsa_exception_fp_ieee_inexact 0
		.amdhsa_exception_int_div_zero 0
	.end_amdhsa_kernel
	.section	.text._ZN2at6native32elementwise_kernel_manual_unrollILi128ELi4EZNS0_15gpu_kernel_implIZZZNS0_12_GLOBAL__N_121bessel_y0_kernel_cudaERNS_18TensorIteratorBaseEENKUlvE_clEvENKUlvE_clEvEUldE_EEvS5_RKT_EUlibE0_EEviT1_,"axG",@progbits,_ZN2at6native32elementwise_kernel_manual_unrollILi128ELi4EZNS0_15gpu_kernel_implIZZZNS0_12_GLOBAL__N_121bessel_y0_kernel_cudaERNS_18TensorIteratorBaseEENKUlvE_clEvENKUlvE_clEvEUldE_EEvS5_RKT_EUlibE0_EEviT1_,comdat
.Lfunc_end12:
	.size	_ZN2at6native32elementwise_kernel_manual_unrollILi128ELi4EZNS0_15gpu_kernel_implIZZZNS0_12_GLOBAL__N_121bessel_y0_kernel_cudaERNS_18TensorIteratorBaseEENKUlvE_clEvENKUlvE_clEvEUldE_EEvS5_RKT_EUlibE0_EEviT1_, .Lfunc_end12-_ZN2at6native32elementwise_kernel_manual_unrollILi128ELi4EZNS0_15gpu_kernel_implIZZZNS0_12_GLOBAL__N_121bessel_y0_kernel_cudaERNS_18TensorIteratorBaseEENKUlvE_clEvENKUlvE_clEvEUldE_EEvS5_RKT_EUlibE0_EEviT1_
                                        ; -- End function
	.section	.AMDGPU.csdata,"",@progbits
; Kernel info:
; codeLenInByte = 24084
; NumSgprs: 86
; NumVgprs: 52
; NumAgprs: 0
; TotalNumVgprs: 52
; ScratchSize: 0
; MemoryBound: 0
; FloatMode: 240
; IeeeMode: 1
; LDSByteSize: 0 bytes/workgroup (compile time only)
; SGPRBlocks: 10
; VGPRBlocks: 6
; NumSGPRsForWavesPerEU: 86
; NumVGPRsForWavesPerEU: 52
; AccumOffset: 52
; Occupancy: 8
; WaveLimiterHint : 1
; COMPUTE_PGM_RSRC2:SCRATCH_EN: 0
; COMPUTE_PGM_RSRC2:USER_SGPR: 2
; COMPUTE_PGM_RSRC2:TRAP_HANDLER: 0
; COMPUTE_PGM_RSRC2:TGID_X_EN: 1
; COMPUTE_PGM_RSRC2:TGID_Y_EN: 0
; COMPUTE_PGM_RSRC2:TGID_Z_EN: 0
; COMPUTE_PGM_RSRC2:TIDIG_COMP_CNT: 0
; COMPUTE_PGM_RSRC3_GFX90A:ACCUM_OFFSET: 12
; COMPUTE_PGM_RSRC3_GFX90A:TG_SPLIT: 0
	.text
	.p2align	2                               ; -- Begin function _ZN2at6native25elementwise_kernel_helperILb0EZZZNS0_12_GLOBAL__N_121bessel_y0_kernel_cudaERNS_18TensorIteratorBaseEENKUlvE_clEvENKUlvE0_clEvEUlfE_NS0_6memory8policies11unroll_baseILi256ESt5arrayIPcLm2EE23TrivialOffsetCalculatorILi1EjESF_NS8_15LoadWithoutCastENS8_16StoreWithoutCastELi16ELi1EEEEEvT0_T1_
	.type	_ZN2at6native25elementwise_kernel_helperILb0EZZZNS0_12_GLOBAL__N_121bessel_y0_kernel_cudaERNS_18TensorIteratorBaseEENKUlvE_clEvENKUlvE0_clEvEUlfE_NS0_6memory8policies11unroll_baseILi256ESt5arrayIPcLm2EE23TrivialOffsetCalculatorILi1EjESF_NS8_15LoadWithoutCastENS8_16StoreWithoutCastELi16ELi1EEEEEvT0_T1_,@function
_ZN2at6native25elementwise_kernel_helperILb0EZZZNS0_12_GLOBAL__N_121bessel_y0_kernel_cudaERNS_18TensorIteratorBaseEENKUlvE_clEvENKUlvE0_clEvEUlfE_NS0_6memory8policies11unroll_baseILi256ESt5arrayIPcLm2EE23TrivialOffsetCalculatorILi1EjESF_NS8_15LoadWithoutCastENS8_16StoreWithoutCastELi16ELi1EEEEEvT0_T1_: ; @_ZN2at6native25elementwise_kernel_helperILb0EZZZNS0_12_GLOBAL__N_121bessel_y0_kernel_cudaERNS_18TensorIteratorBaseEENKUlvE_clEvENKUlvE0_clEvEUlfE_NS0_6memory8policies11unroll_baseILi256ESt5arrayIPcLm2EE23TrivialOffsetCalculatorILi1EjESF_NS8_15LoadWithoutCastENS8_16StoreWithoutCastELi16ELi1EEEEEvT0_T1_
; %bb.0:
	s_waitcnt vmcnt(0) expcnt(0) lgkmcnt(0)
	v_and_b32_e32 v5, 0x3ff, v31
	s_lshl_b32 s16, s12, 12
	v_cmp_lt_i32_e64 s[0:1], v5, v4
	v_mov_b32_e32 v14, 0
	v_or_b32_e32 v6, s16, v5
	v_mov_b32_e32 v10, 0
	v_mov_b32_e32 v8, v5
	s_and_saveexec_b64 s[2:3], s[0:1]
	s_cbranch_execz .LBB13_2
; %bb.1:
	v_mov_b32_e32 v7, 0
	v_lshl_add_u64 v[8:9], v[6:7], 2, v[2:3]
	flat_load_dword v10, v[8:9]
	v_add_u32_e32 v8, 0x100, v5
.LBB13_2:
	s_or_b64 exec, exec, s[2:3]
	v_cmp_lt_i32_e32 vcc, v8, v4
	s_and_saveexec_b64 s[2:3], vcc
	s_cbranch_execz .LBB13_4
; %bb.3:
	v_add_u32_e32 v12, s16, v8
	v_mov_b32_e32 v13, 0
	v_lshl_add_u64 v[12:13], v[12:13], 2, v[2:3]
	flat_load_dword v14, v[12:13]
	v_add_u32_e32 v8, 0x100, v8
.LBB13_4:
	s_or_b64 exec, exec, s[2:3]
	v_cmp_lt_i32_e32 vcc, v8, v4
	v_mov_b32_e32 v18, 0
	v_mov_b32_e32 v16, 0
	s_and_saveexec_b64 s[2:3], vcc
	s_cbranch_execz .LBB13_6
; %bb.5:
	v_add_u32_e32 v12, s16, v8
	v_mov_b32_e32 v13, 0
	v_lshl_add_u64 v[12:13], v[12:13], 2, v[2:3]
	flat_load_dword v16, v[12:13]
	v_add_u32_e32 v8, 0x100, v8
.LBB13_6:
	s_or_b64 exec, exec, s[2:3]
	v_cmp_lt_i32_e32 vcc, v8, v4
	s_and_saveexec_b64 s[2:3], vcc
	s_cbranch_execz .LBB13_8
; %bb.7:
	v_add_u32_e32 v12, s16, v8
	v_mov_b32_e32 v13, 0
	v_lshl_add_u64 v[12:13], v[12:13], 2, v[2:3]
	flat_load_dword v18, v[12:13]
	v_add_u32_e32 v8, 0x100, v8
.LBB13_8:
	s_or_b64 exec, exec, s[2:3]
	v_cmp_lt_i32_e32 vcc, v8, v4
	v_mov_b32_e32 v22, 0
	v_mov_b32_e32 v20, 0
	s_and_saveexec_b64 s[2:3], vcc
	s_cbranch_execz .LBB13_10
; %bb.9:
	v_add_u32_e32 v12, s16, v8
	v_mov_b32_e32 v13, 0
	v_lshl_add_u64 v[12:13], v[12:13], 2, v[2:3]
	flat_load_dword v20, v[12:13]
	v_add_u32_e32 v8, 0x100, v8
.LBB13_10:
	;; [unrolled: 24-line block ×6, first 2 shown]
	s_or_b64 exec, exec, s[2:3]
	v_cmp_lt_i32_e32 vcc, v8, v4
	s_and_saveexec_b64 s[2:3], vcc
	s_cbranch_execz .LBB13_28
; %bb.27:
	v_add_u32_e32 v12, s16, v8
	v_mov_b32_e32 v13, 0
	v_lshl_add_u64 v[12:13], v[12:13], 2, v[2:3]
	flat_load_dword v13, v[12:13]
	v_add_u32_e32 v8, 0x100, v8
.LBB13_28:
	s_or_b64 exec, exec, s[2:3]
	v_cmp_lt_i32_e32 vcc, v8, v4
	v_mov_b32_e32 v7, 0
	v_mov_b32_e32 v11, 0
	s_and_saveexec_b64 s[2:3], vcc
	s_cbranch_execz .LBB13_31
; %bb.29:
	v_add_u32_e32 v26, s16, v8
	v_mov_b32_e32 v27, 0
	v_lshl_add_u64 v[26:27], v[26:27], 2, v[2:3]
	flat_load_dword v11, v[26:27]
	v_add_u32_e32 v8, 0x100, v8
	s_or_b64 exec, exec, s[2:3]
	v_cmp_lt_i32_e32 vcc, v8, v4
	s_and_saveexec_b64 s[2:3], vcc
	s_cbranch_execnz .LBB13_32
.LBB13_30:
	s_or_b64 exec, exec, s[2:3]
                                        ; implicit-def: $vgpr3
	s_and_saveexec_b64 s[8:9], s[0:1]
	s_cbranch_execnz .LBB13_33
	s_branch .LBB13_54
.LBB13_31:
	s_or_b64 exec, exec, s[2:3]
	v_cmp_lt_i32_e32 vcc, v8, v4
	s_and_saveexec_b64 s[2:3], vcc
	s_cbranch_execz .LBB13_30
.LBB13_32:
	v_add_u32_e32 v8, s16, v8
	v_mov_b32_e32 v9, 0
	v_lshl_add_u64 v[2:3], v[8:9], 2, v[2:3]
	flat_load_dword v7, v[2:3]
	s_or_b64 exec, exec, s[2:3]
                                        ; implicit-def: $vgpr3
	s_and_saveexec_b64 s[8:9], s[0:1]
	s_cbranch_execz .LBB13_54
.LBB13_33:
	s_mov_b32 s2, 0x40a00000
	s_waitcnt vmcnt(0) lgkmcnt(0)
	v_cmp_ge_f32_e32 vcc, s2, v10
                                        ; implicit-def: $vgpr3
	s_and_saveexec_b64 s[2:3], vcc
	s_xor_b64 s[4:5], exec, s[2:3]
	s_cbranch_execz .LBB13_43
; %bb.34:
	v_cmp_neq_f32_e32 vcc, 0, v10
	v_mov_b32_e32 v3, 0xff800000
	s_and_saveexec_b64 s[6:7], vcc
	s_cbranch_execz .LBB13_42
; %bb.35:
	v_cmp_ngt_f32_e32 vcc, 0, v10
	v_mov_b32_e32 v3, 0x7fc00000
	s_and_saveexec_b64 s[10:11], vcc
	s_cbranch_execz .LBB13_41
; %bb.36:
	v_mul_f32_e32 v2, v10, v10
	s_mov_b32 s2, 0x3727c5ac
	v_mul_f32_e32 v8, 0, v2
	v_cmp_ngt_f32_e32 vcc, s2, v10
                                        ; implicit-def: $vgpr9
	s_and_saveexec_b64 s[2:3], vcc
	s_xor_b64 s[2:3], exec, s[2:3]
	s_cbranch_execz .LBB13_38
; %bb.37:
	v_add_f32_e32 v3, 0x43f9c815, v8
	v_fmaak_f32 v3, v2, v3, 0x4829b65a
	v_fmaak_f32 v3, v2, v3, 0x4c38c9a1
	;; [unrolled: 1-line block ×3, first 2 shown]
	s_mov_b32 s12, 0xcf8ee29d
	v_mul_f32_e32 v9, v2, v3
	s_mov_b32 s13, 0x53f5f59c
	v_pk_add_f32 v[26:27], v[8:9], s[12:13]
	s_mov_b32 s12, 0x53e3ba8e
	s_mov_b32 s13, 0x578d3514
	v_pk_fma_f32 v[26:27], v[2:3], v[26:27], s[12:13] op_sel_hi:[0,1,1]
	s_mov_b32 s12, 0xd762b0a7
	s_mov_b32 s13, 0x5ae20a0c
	v_pk_fma_f32 v[26:27], v[2:3], v[26:27], s[12:13] op_sel_hi:[0,1,1]
	;; [unrolled: 3-line block ×3, first 2 shown]
	s_mov_b32 s12, 0xc0b90fdc
	s_mov_b32 s13, 0xc1f3c525
	v_pk_add_f32 v[28:29], v[2:3], s[12:13] op_sel_hi:[0,1]
	v_mul_f32_e32 v3, v28, v29
	v_mul_f32_e32 v3, v3, v26
	v_div_scale_f32 v9, s[12:13], v27, v27, v3
	v_rcp_f32_e32 v12, v9
	s_nop 0
	v_fma_f32 v26, -v9, v12, 1.0
	v_fmac_f32_e32 v12, v26, v12
	v_div_scale_f32 v26, vcc, v3, v27, v3
	v_mul_f32_e32 v28, v26, v12
	v_fma_f32 v29, -v9, v28, v26
	v_fmac_f32_e32 v28, v29, v12
	v_fma_f32 v9, -v9, v28, v26
	v_div_fmas_f32 v9, v9, v12, v28
	v_div_fixup_f32 v9, v9, v27, v3
.LBB13_38:
	s_andn2_saveexec_b64 s[2:3], s[2:3]
; %bb.39:
	v_mov_b32_e32 v3, 1.0
	v_fmamk_f32 v9, v2, 0xbe800000, v3
; %bb.40:
	s_or_b64 exec, exec, s[2:3]
	v_add_f32_e32 v3, 0x4673a1bf, v8
	v_fmaak_f32 v3, v2, v3, 0xcb5fc0fa
	v_add_f32_e32 v8, 0x44822913, v8
	v_fmaak_f32 v3, v2, v3, 0x4fa1fbc8
	v_fmaak_f32 v8, v2, v8, 0x4918dbb5
	;; [unrolled: 1-line block ×12, first 2 shown]
	v_div_scale_f32 v3, s[2:3], v8, v8, v2
	v_rcp_f32_e32 v12, v3
	s_mov_b32 s2, 0x800000
	v_cmp_gt_f32_e64 s[2:3], s2, v10
	s_mov_b32 s12, 0x3f317217
	v_fma_f32 v26, -v3, v12, 1.0
	v_fmac_f32_e32 v12, v26, v12
	v_div_scale_f32 v26, vcc, v2, v8, v2
	v_mul_f32_e32 v27, v26, v12
	v_fma_f32 v28, -v3, v27, v26
	v_fmac_f32_e32 v27, v28, v12
	v_fma_f32 v3, -v3, v27, v26
	v_mov_b32_e32 v26, 0x4f800000
	v_cndmask_b32_e64 v26, 1.0, v26, s[2:3]
	v_mul_f32_e32 v10, v10, v26
	v_log_f32_e32 v10, v10
	v_div_fmas_f32 v3, v3, v12, v27
	v_div_fixup_f32 v3, v3, v8, v2
	v_mul_f32_e32 v2, 0x3f317217, v10
	v_fma_f32 v8, v10, s12, -v2
	v_fmamk_f32 v8, v10, 0x3377d1cf, v8
	s_mov_b32 s12, 0x7f800000
	v_add_f32_e32 v2, v2, v8
	v_cmp_lt_f32_e64 vcc, |v10|, s12
	v_mov_b32_e32 v8, 0x41b17218
	v_cndmask_b32_e64 v8, 0, v8, s[2:3]
	v_cndmask_b32_e32 v2, v10, v2, vcc
	v_sub_f32_e32 v2, v2, v8
	v_mul_f32_e32 v2, 0x3f22f983, v2
	v_fmac_f32_e32 v3, v2, v9
.LBB13_41:
	s_or_b64 exec, exec, s[10:11]
.LBB13_42:
	s_or_b64 exec, exec, s[6:7]
                                        ; implicit-def: $vgpr10
.LBB13_43:
	s_andn2_saveexec_b64 s[10:11], s[4:5]
	s_cbranch_execz .LBB13_53
; %bb.44:
	v_add_f32_e32 v2, 0xbf490fdb, v10
	v_and_b32_e32 v3, 0x7fffffff, v2
	s_brev_b32 s2, 18
	v_cmp_nlt_f32_e64 s[12:13], |v2|, s2
	v_lshrrev_b32_e32 v27, 23, v3
                                        ; implicit-def: $vgpr8
                                        ; implicit-def: $vgpr9
	s_and_saveexec_b64 s[2:3], s[12:13]
	s_xor_b64 s[14:15], exec, s[2:3]
	s_cbranch_execz .LBB13_46
; %bb.45:
	v_add_u32_e32 v8, 0xffffff88, v27
	v_not_b32_e32 v12, 63
	v_cmp_lt_u32_e32 vcc, 63, v8
	s_mov_b32 s6, 0xfe5163ab
	v_mov_b32_e32 v9, 0
	v_cndmask_b32_e32 v12, 0, v12, vcc
	v_add_u32_e32 v8, v12, v8
	v_not_b32_e32 v12, 31
	v_cmp_lt_u32_e64 s[2:3], 31, v8
	s_nop 1
	v_cndmask_b32_e64 v26, 0, v12, s[2:3]
	v_add_u32_e32 v8, v26, v8
	v_cmp_lt_u32_e64 s[4:5], 31, v8
	s_nop 1
	v_cndmask_b32_e64 v12, 0, v12, s[4:5]
	v_add_u32_e32 v12, v12, v8
	v_and_b32_e32 v8, 0x7fffff, v3
	v_or_b32_e32 v26, 0x800000, v8
	v_mad_u64_u32 v[28:29], s[6:7], v26, s6, 0
	v_mov_b32_e32 v8, v29
	s_mov_b32 s6, 0x3c439041
	v_mad_u64_u32 v[30:31], s[6:7], v26, s6, v[8:9]
	v_mov_b32_e32 v8, v31
	s_mov_b32 s6, 0xdb629599
	;; [unrolled: 3-line block ×6, first 2 shown]
	v_mad_u64_u32 v[8:9], s[6:7], v26, s6, v[8:9]
	v_cndmask_b32_e32 v29, v38, v34, vcc
	v_cndmask_b32_e32 v8, v8, v36, vcc
	;; [unrolled: 1-line block ×3, first 2 shown]
	v_cndmask_b32_e64 v26, v8, v29, s[2:3]
	v_cndmask_b32_e64 v8, v9, v8, s[2:3]
	v_cndmask_b32_e32 v9, v36, v32, vcc
	v_cndmask_b32_e64 v29, v29, v9, s[2:3]
	v_sub_u32_e32 v31, 32, v12
	v_cmp_eq_u32_e64 s[6:7], 0, v12
	v_cndmask_b32_e32 v12, v34, v30, vcc
	v_cndmask_b32_e64 v8, v8, v26, s[4:5]
	v_cndmask_b32_e64 v26, v26, v29, s[4:5]
	v_cndmask_b32_e64 v9, v9, v12, s[2:3]
	v_alignbit_b32 v33, v8, v26, v31
	v_cndmask_b32_e64 v29, v29, v9, s[4:5]
	v_cndmask_b32_e64 v8, v33, v8, s[6:7]
	v_alignbit_b32 v30, v26, v29, v31
	v_cndmask_b32_e64 v26, v30, v26, s[6:7]
	v_bfe_u32 v34, v8, 29, 1
	v_cndmask_b32_e32 v28, v32, v28, vcc
	v_alignbit_b32 v30, v8, v26, 30
	v_sub_u32_e32 v35, 0, v34
	v_cndmask_b32_e64 v12, v12, v28, s[2:3]
	v_xor_b32_e32 v36, v30, v35
	v_cndmask_b32_e64 v9, v9, v12, s[4:5]
	v_alignbit_b32 v12, v29, v9, v31
	v_ffbh_u32_e32 v28, v36
	v_cndmask_b32_e64 v12, v12, v29, s[6:7]
	v_add_u32_e32 v28, 1, v28
	v_cmp_ne_u32_e32 vcc, v30, v35
	v_alignbit_b32 v26, v26, v12, 30
	v_alignbit_b32 v9, v12, v9, 30
	v_cndmask_b32_e32 v28, 33, v28, vcc
	v_xor_b32_e32 v26, v26, v35
	v_sub_u32_e32 v29, 32, v28
	v_xor_b32_e32 v9, v9, v35
	v_alignbit_b32 v30, v36, v26, v29
	v_alignbit_b32 v9, v26, v9, v29
	;; [unrolled: 1-line block ×3, first 2 shown]
	v_ffbh_u32_e32 v26, v12
	v_min_u32_e32 v26, 32, v26
	v_lshrrev_b32_e32 v33, 29, v8
	v_sub_u32_e32 v29, 31, v26
	v_alignbit_b32 v9, v12, v9, v29
	v_lshlrev_b32_e32 v12, 31, v33
	v_or_b32_e32 v29, 0x33800000, v12
	v_add_lshl_u32 v26, v26, v28, 23
	v_lshrrev_b32_e32 v9, 9, v9
	v_sub_u32_e32 v26, v29, v26
	v_or_b32_e32 v9, v26, v9
	v_alignbit_b32 v26, v28, v30, 9
	v_or_b32_e32 v12, v26, v12
	v_xor_b32_e32 v12, 1.0, v12
	s_mov_b32 s2, 0x3fc90fda
	v_mul_f32_e32 v26, 0x3fc90fda, v12
	v_fma_f32 v28, v12, s2, -v26
	v_fmamk_f32 v12, v12, 0x33a22168, v28
	v_fmac_f32_e32 v12, 0x3fc90fda, v9
	v_lshrrev_b32_e32 v8, 30, v8
	v_add_f32_e32 v9, v26, v12
	v_add_u32_e32 v8, v34, v8
	s_andn2_saveexec_b64 s[2:3], s[14:15]
	s_branch .LBB13_47
.LBB13_46:
	s_andn2_saveexec_b64 s[2:3], s[14:15]
.LBB13_47:
	s_mov_b32 s4, 0x3f22f983
	v_mul_f32_e64 v8, |v2|, s4
	v_rndne_f32_e32 v9, v8
	s_mov_b32 s4, 0xbfc90fda
	v_cvt_i32_f32_e32 v8, v9
	v_fma_f32 v12, v9, s4, |v2|
	v_fmamk_f32 v12, v9, 0xb3a22168, v12
	v_fmamk_f32 v9, v9, 0xa7c234c4, v12
; %bb.48:
	s_or_b64 exec, exec, s[2:3]
                                        ; implicit-def: $vgpr12
                                        ; implicit-def: $vgpr26
	s_and_saveexec_b64 s[2:3], s[12:13]
	s_xor_b64 s[12:13], exec, s[2:3]
	s_cbranch_execz .LBB13_50
; %bb.49:
	v_add_u32_e32 v12, 0xffffff88, v27
	v_not_b32_e32 v26, 63
	v_cmp_lt_u32_e32 vcc, 63, v12
	s_mov_b32 s6, 0xfe5163ab
	v_mov_b32_e32 v27, 0
	v_cndmask_b32_e32 v26, 0, v26, vcc
	v_add_u32_e32 v12, v26, v12
	v_not_b32_e32 v26, 31
	v_cmp_lt_u32_e64 s[2:3], 31, v12
	s_nop 1
	v_cndmask_b32_e64 v28, 0, v26, s[2:3]
	v_add_u32_e32 v12, v28, v12
	v_cmp_lt_u32_e64 s[4:5], 31, v12
	s_nop 1
	v_cndmask_b32_e64 v26, 0, v26, s[4:5]
	v_add_u32_e32 v12, v26, v12
	v_and_b32_e32 v26, 0x7fffff, v3
	v_or_b32_e32 v48, 0x800000, v26
	v_mad_u64_u32 v[28:29], s[6:7], v48, s6, 0
	v_mov_b32_e32 v26, v29
	s_mov_b32 s6, 0x3c439041
	v_mad_u64_u32 v[30:31], s[6:7], v48, s6, v[26:27]
	v_mov_b32_e32 v26, v31
	s_mov_b32 s6, 0xdb629599
	;; [unrolled: 3-line block ×6, first 2 shown]
	v_mad_u64_u32 v[26:27], s[6:7], v48, s6, v[26:27]
	v_cndmask_b32_e32 v29, v38, v34, vcc
	v_cndmask_b32_e32 v26, v26, v36, vcc
	v_cndmask_b32_e32 v27, v27, v38, vcc
	v_cndmask_b32_e64 v31, v26, v29, s[2:3]
	v_cndmask_b32_e64 v26, v27, v26, s[2:3]
	v_cndmask_b32_e32 v27, v36, v32, vcc
	v_cndmask_b32_e64 v29, v29, v27, s[2:3]
	v_cndmask_b32_e64 v26, v26, v31, s[4:5]
	;; [unrolled: 1-line block ×3, first 2 shown]
	v_sub_u32_e32 v33, 32, v12
	v_alignbit_b32 v35, v26, v31, v33
	v_cmp_eq_u32_e64 s[6:7], 0, v12
	v_cndmask_b32_e32 v28, v32, v28, vcc
	s_nop 0
	v_cndmask_b32_e64 v12, v35, v26, s[6:7]
	v_cndmask_b32_e32 v26, v34, v30, vcc
	v_cndmask_b32_e64 v27, v27, v26, s[2:3]
	v_cndmask_b32_e64 v29, v29, v27, s[4:5]
	v_alignbit_b32 v30, v31, v29, v33
	v_cndmask_b32_e64 v30, v30, v31, s[6:7]
	v_bfe_u32 v35, v12, 29, 1
	v_cndmask_b32_e64 v26, v26, v28, s[2:3]
	v_alignbit_b32 v31, v12, v30, 30
	v_sub_u32_e32 v36, 0, v35
	v_cndmask_b32_e64 v26, v27, v26, s[4:5]
	v_xor_b32_e32 v37, v31, v36
	v_alignbit_b32 v27, v29, v26, v33
	v_cndmask_b32_e64 v27, v27, v29, s[6:7]
	v_ffbh_u32_e32 v29, v37
	v_add_u32_e32 v29, 1, v29
	v_cmp_ne_u32_e32 vcc, v31, v36
	v_alignbit_b32 v28, v30, v27, 30
	v_alignbit_b32 v26, v27, v26, 30
	v_cndmask_b32_e32 v29, 33, v29, vcc
	v_xor_b32_e32 v28, v28, v36
	v_sub_u32_e32 v30, 32, v29
	v_xor_b32_e32 v26, v26, v36
	v_alignbit_b32 v31, v37, v28, v30
	v_alignbit_b32 v26, v28, v26, v30
	;; [unrolled: 1-line block ×3, first 2 shown]
	v_ffbh_u32_e32 v28, v27
	v_min_u32_e32 v28, 32, v28
	v_lshrrev_b32_e32 v34, 29, v12
	v_sub_u32_e32 v30, 31, v28
	v_alignbit_b32 v26, v27, v26, v30
	v_lshlrev_b32_e32 v27, 31, v34
	v_or_b32_e32 v30, 0x33800000, v27
	v_add_lshl_u32 v28, v28, v29, 23
	v_lshrrev_b32_e32 v26, 9, v26
	v_sub_u32_e32 v28, v30, v28
	v_or_b32_e32 v26, v28, v26
	v_alignbit_b32 v28, v29, v31, 9
	v_or_b32_e32 v27, v28, v27
	v_xor_b32_e32 v27, 1.0, v27
	s_mov_b32 s2, 0x3fc90fda
	v_mul_f32_e32 v28, 0x3fc90fda, v27
	v_fma_f32 v29, v27, s2, -v28
	v_fmamk_f32 v27, v27, 0x33a22168, v29
	v_fmac_f32_e32 v27, 0x3fc90fda, v26
	v_lshrrev_b32_e32 v12, 30, v12
	v_add_f32_e32 v26, v28, v27
	v_add_u32_e32 v12, v35, v12
	s_andn2_saveexec_b64 s[2:3], s[12:13]
	s_cbranch_execnz .LBB13_51
	s_branch .LBB13_52
.LBB13_50:
	s_andn2_saveexec_b64 s[2:3], s[12:13]
.LBB13_51:
	s_mov_b32 s4, 0x3f22f983
	v_mul_f32_e64 v12, |v2|, s4
	v_rndne_f32_e32 v26, v12
	s_mov_b32 s4, 0xbfc90fda
	v_cvt_i32_f32_e32 v12, v26
	v_fma_f32 v27, v26, s4, |v2|
	v_fmamk_f32 v27, v26, 0xb3a22168, v27
	v_fmamk_f32 v26, v26, 0xa7c234c4, v27
.LBB13_52:
	s_or_b64 exec, exec, s[2:3]
	v_mul_f32_e32 v27, v10, v10
	s_mov_b32 s4, 0x41c80000
	v_div_scale_f32 v28, s[2:3], v27, v27, s4
	v_rcp_f32_e32 v29, v28
	v_xor_b32_e32 v3, v3, v2
	s_mov_b32 s6, 0x40a00000
	v_mov_b32_e32 v36, 0xbf000004
	v_fma_f32 v30, -v28, v29, 1.0
	v_fmac_f32_e32 v29, v30, v29
	v_div_scale_f32 v30, vcc, s4, v27, s4
	v_mul_f32_e32 v31, v30, v29
	v_fma_f32 v32, -v28, v31, v30
	v_fmac_f32_e32 v31, v32, v29
	v_fma_f32 v28, -v28, v31, v30
	v_div_fmas_f32 v28, v28, v29, v31
	v_div_fixup_f32 v27, v28, v27, s4
	v_mov_b32_e32 v28, 0x3a50e985
	v_mov_b32_e32 v29, 0x3a725406
	v_fmac_f32_e32 v28, 0, v27
	v_fmac_f32_e32 v29, 0, v27
	v_fmaak_f32 v28, v27, v28, 0x3da9a586
	v_fmaak_f32 v29, v27, v29, 0x3daf5e2d
	;; [unrolled: 1-line block ×8, first 2 shown]
	v_mov_b32_e32 v30, 0xbc3a3a12
	v_fmaak_f32 v28, v27, v28, 0x40a9b425
	v_fmaak_f32 v29, v27, v29, 0x40a9cb2f
	v_fmac_f32_e32 v30, 0, v27
	v_mov_b32_e32 v31, 0x4280a2ba
	v_fma_f32 v29, v27, v29, 1.0
	v_fmaak_f32 v30, v27, v30, 0xbfa429da
	v_fmac_f32_e32 v31, 0, v27
	v_fma_f32 v28, v27, v28, 1.0
	v_fmaak_f32 v30, v27, v30, 0xc19c6e80
	v_fmaak_f32 v31, v27, v31, 0x44561b86
	v_div_scale_f32 v32, s[2:3], v29, v29, v28
	v_fmaak_f32 v30, v27, v30, 0xc2ba697b
	v_fmaak_f32 v31, v27, v31, 0x4572a66e
	v_rcp_f32_e32 v33, v32
	v_fmaak_f32 v30, v27, v30, 0xc331ae61
	v_fmaak_f32 v31, v27, v31, 0x45e243be
	;; [unrolled: 1-line block ×8, first 2 shown]
	v_fma_f32 v31, -v32, v33, 1.0
	v_fmac_f32_e32 v33, v31, v33
	v_div_scale_f32 v31, vcc, v28, v29, v28
	v_mul_f32_e32 v34, v31, v33
	v_fma_f32 v35, -v32, v34, v31
	v_fmac_f32_e32 v34, v35, v33
	v_fma_f32 v31, -v32, v34, v31
	v_div_fmas_f32 v31, v31, v33, v34
	v_div_fixup_f32 v28, v31, v29, v28
	v_mul_f32_e32 v29, v9, v9
	v_mov_b32_e32 v31, 0x3c0881c4
	v_fmamk_f32 v32, v29, 0xb94c1982, v31
	v_fmaak_f32 v32, v29, v32, 0xbe2aaa9d
	v_mul_f32_e32 v32, v29, v32
	v_fmac_f32_e32 v9, v9, v32
	v_mov_b32_e32 v32, 0xbab64f3b
	v_fmamk_f32 v34, v29, 0x37d75334, v32
	v_fmaak_f32 v34, v29, v34, 0x3d2aabf7
	v_fmaak_f32 v34, v29, v34, 0xbf000004
	v_fma_f32 v29, v29, v34, 1.0
	v_and_b32_e32 v34, 1, v8
	v_lshlrev_b32_e32 v8, 30, v8
	v_cmp_eq_u32_e32 vcc, 0, v34
	v_and_b32_e32 v8, 0x80000000, v8
	v_xor_b32_e32 v3, v3, v8
	v_cndmask_b32_e32 v9, v29, v9, vcc
	v_div_scale_f32 v8, s[2:3], v10, v10, s6
	v_xor_b32_e32 v3, v3, v9
	v_rcp_f32_e32 v9, v8
	s_movk_i32 s4, 0x1f8
	v_mov_b32_e32 v29, 0x7fc00000
	v_cmp_class_f32_e64 s[2:3], v2, s4
	v_mov_b32_e32 v33, 0xbe2aaa9d
	v_mov_b32_e32 v35, 0x3d2aabf7
	v_cndmask_b32_e64 v2, v29, v3, s[2:3]
	v_fma_f32 v3, -v8, v9, 1.0
	v_fmac_f32_e32 v9, v3, v9
	v_div_scale_f32 v3, vcc, s6, v10, s6
	v_mul_f32_e32 v34, v3, v9
	v_fma_f32 v37, -v8, v34, v3
	v_fmac_f32_e32 v34, v37, v9
	v_fma_f32 v3, -v8, v34, v3
	v_div_scale_f32 v8, s[4:5], v27, v27, v30
	v_rcp_f32_e32 v37, v8
	v_div_fmas_f32 v3, v3, v9, v34
	v_div_fixup_f32 v3, v3, v10, s6
	v_fma_f32 v9, -v8, v37, 1.0
	v_fmac_f32_e32 v37, v9, v37
	v_div_scale_f32 v9, vcc, v30, v27, v30
	v_mul_f32_e32 v34, v9, v37
	v_fma_f32 v38, -v8, v34, v9
	v_fmac_f32_e32 v34, v38, v37
	v_fma_f32 v8, -v8, v34, v9
	v_div_fmas_f32 v8, v8, v37, v34
	v_div_fixup_f32 v8, v8, v27, v30
	v_mul_f32_e32 v3, v3, v8
	v_mul_f32_e32 v8, v26, v26
	v_fmac_f32_e32 v31, 0xb94c1982, v8
	v_fmac_f32_e32 v33, v8, v31
	;; [unrolled: 1-line block ×3, first 2 shown]
	v_mul_f32_e32 v9, v8, v33
	v_fmac_f32_e32 v35, v8, v32
	v_fmac_f32_e32 v26, v26, v9
	;; [unrolled: 1-line block ×3, first 2 shown]
	v_and_b32_e32 v9, 1, v12
	v_fma_f32 v8, v8, v36, 1.0
	v_cmp_eq_u32_e32 vcc, 0, v9
	v_lshlrev_b32_e32 v9, 30, v12
	v_and_b32_e32 v9, 0x80000000, v9
	v_cndmask_b32_e64 v8, -v26, v8, vcc
	v_xor_b32_e32 v8, v9, v8
	v_cndmask_b32_e64 v8, v29, v8, s[2:3]
	s_mov_b32 s2, 0xf800000
	v_mul_f32_e32 v9, 0x4f800000, v10
	v_cmp_gt_f32_e32 vcc, s2, v10
	v_mul_f32_e32 v3, v3, v8
	v_fmac_f32_e32 v3, v28, v2
	v_cndmask_b32_e32 v9, v10, v9, vcc
	v_sqrt_f32_e32 v10, v9
	v_mul_f32_e32 v2, 0x3f4c422a, v3
	v_add_u32_e32 v3, -1, v10
	v_fma_f32 v8, -v3, v10, v9
	v_cmp_ge_f32_e64 s[2:3], 0, v8
	v_add_u32_e32 v8, 1, v10
	s_nop 0
	v_cndmask_b32_e64 v3, v10, v3, s[2:3]
	v_fma_f32 v10, -v8, v10, v9
	v_cmp_lt_f32_e64 s[2:3], 0, v10
	s_nop 1
	v_cndmask_b32_e64 v3, v3, v8, s[2:3]
	v_mul_f32_e32 v8, 0x37800000, v3
	v_cndmask_b32_e32 v3, v3, v8, vcc
	v_mov_b32_e32 v8, 0x260
	v_cmp_class_f32_e32 vcc, v9, v8
	s_nop 1
	v_cndmask_b32_e32 v3, v3, v9, vcc
	v_div_scale_f32 v8, s[2:3], v3, v3, v2
	v_rcp_f32_e32 v9, v8
	s_nop 0
	v_fma_f32 v10, -v8, v9, 1.0
	v_fmac_f32_e32 v9, v10, v9
	v_div_scale_f32 v10, vcc, v2, v3, v2
	v_mul_f32_e32 v12, v10, v9
	v_fma_f32 v26, -v8, v12, v10
	v_fmac_f32_e32 v12, v26, v9
	v_fma_f32 v8, -v8, v12, v10
	v_div_fmas_f32 v8, v8, v9, v12
	v_div_fixup_f32 v3, v8, v3, v2
.LBB13_53:
	s_or_b64 exec, exec, s[10:11]
.LBB13_54:
	s_or_b64 exec, exec, s[8:9]
	s_waitcnt vmcnt(0) lgkmcnt(0)
	v_add_u32_e32 v10, 0x100, v5
	v_cmp_lt_i32_e32 vcc, v10, v4
                                        ; implicit-def: $vgpr12
	s_and_saveexec_b64 s[8:9], vcc
	s_cbranch_execz .LBB13_76
; %bb.55:
	s_mov_b32 s2, 0x40a00000
	v_cmp_ge_f32_e32 vcc, s2, v14
                                        ; implicit-def: $vgpr12
	s_and_saveexec_b64 s[2:3], vcc
	s_xor_b64 s[4:5], exec, s[2:3]
	s_cbranch_execz .LBB13_65
; %bb.56:
	v_cmp_neq_f32_e32 vcc, 0, v14
	v_mov_b32_e32 v12, 0xff800000
	s_and_saveexec_b64 s[6:7], vcc
	s_cbranch_execz .LBB13_64
; %bb.57:
	v_cmp_ngt_f32_e32 vcc, 0, v14
	v_mov_b32_e32 v12, 0x7fc00000
	s_and_saveexec_b64 s[10:11], vcc
	s_cbranch_execz .LBB13_63
; %bb.58:
	v_mul_f32_e32 v2, v14, v14
	s_mov_b32 s2, 0x3727c5ac
	v_mul_f32_e32 v8, 0, v2
	v_cmp_ngt_f32_e32 vcc, s2, v14
                                        ; implicit-def: $vgpr9
	s_and_saveexec_b64 s[2:3], vcc
	s_xor_b64 s[2:3], exec, s[2:3]
	s_cbranch_execz .LBB13_60
; %bb.59:
	v_add_f32_e32 v9, 0x43f9c815, v8
	v_fmaak_f32 v9, v2, v9, 0x4829b65a
	v_fmaak_f32 v9, v2, v9, 0x4c38c9a1
	;; [unrolled: 1-line block ×3, first 2 shown]
	s_mov_b32 s12, 0xcf8ee29d
	v_mul_f32_e32 v9, v2, v9
	s_mov_b32 s13, 0x53f5f59c
	v_pk_add_f32 v[26:27], v[8:9], s[12:13]
	s_mov_b32 s12, 0x53e3ba8e
	s_mov_b32 s13, 0x578d3514
	v_pk_fma_f32 v[26:27], v[2:3], v[26:27], s[12:13] op_sel_hi:[0,1,1]
	s_mov_b32 s12, 0xd762b0a7
	s_mov_b32 s13, 0x5ae20a0c
	v_pk_fma_f32 v[26:27], v[2:3], v[26:27], s[12:13] op_sel_hi:[0,1,1]
	s_mov_b32 s12, 0x5a09f7c3
	s_mov_b32 s13, 0x5dbdf1a6
	v_pk_fma_f32 v[26:27], v[2:3], v[26:27], s[12:13] op_sel_hi:[0,1,1]
	s_mov_b32 s12, 0xc0b90fdc
	s_mov_b32 s13, 0xc1f3c525
	v_pk_add_f32 v[28:29], v[2:3], s[12:13] op_sel_hi:[0,1]
	v_mul_f32_e32 v9, v28, v29
	v_mul_f32_e32 v9, v9, v26
	v_div_scale_f32 v12, s[12:13], v27, v27, v9
	v_rcp_f32_e32 v26, v12
	s_nop 0
	v_fma_f32 v28, -v12, v26, 1.0
	v_fmac_f32_e32 v26, v28, v26
	v_div_scale_f32 v28, vcc, v9, v27, v9
	v_mul_f32_e32 v29, v28, v26
	v_fma_f32 v30, -v12, v29, v28
	v_fmac_f32_e32 v29, v30, v26
	v_fma_f32 v12, -v12, v29, v28
	v_div_fmas_f32 v12, v12, v26, v29
	v_div_fixup_f32 v9, v12, v27, v9
.LBB13_60:
	s_andn2_saveexec_b64 s[2:3], s[2:3]
; %bb.61:
	v_mov_b32_e32 v9, 1.0
	v_fmamk_f32 v9, v2, 0xbe800000, v9
; %bb.62:
	s_or_b64 exec, exec, s[2:3]
	v_add_f32_e32 v12, 0x4673a1bf, v8
	v_fmaak_f32 v12, v2, v12, 0xcb5fc0fa
	v_add_f32_e32 v8, 0x44822913, v8
	v_fmaak_f32 v12, v2, v12, 0x4fa1fbc8
	v_fmaak_f32 v8, v2, v8, 0x4918dbb5
	;; [unrolled: 1-line block ×12, first 2 shown]
	v_div_scale_f32 v12, s[2:3], v8, v8, v2
	v_rcp_f32_e32 v26, v12
	s_mov_b32 s2, 0x800000
	v_cmp_gt_f32_e64 s[2:3], s2, v14
	s_mov_b32 s12, 0x3f317217
	v_fma_f32 v27, -v12, v26, 1.0
	v_fmac_f32_e32 v26, v27, v26
	v_div_scale_f32 v27, vcc, v2, v8, v2
	v_mul_f32_e32 v28, v27, v26
	v_fma_f32 v29, -v12, v28, v27
	v_fmac_f32_e32 v28, v29, v26
	v_fma_f32 v12, -v12, v28, v27
	v_mov_b32_e32 v27, 0x4f800000
	v_cndmask_b32_e64 v27, 1.0, v27, s[2:3]
	v_mul_f32_e32 v14, v14, v27
	v_log_f32_e32 v14, v14
	v_div_fmas_f32 v12, v12, v26, v28
	v_div_fixup_f32 v12, v12, v8, v2
	v_mul_f32_e32 v2, 0x3f317217, v14
	v_fma_f32 v8, v14, s12, -v2
	v_fmamk_f32 v8, v14, 0x3377d1cf, v8
	s_mov_b32 s12, 0x7f800000
	v_add_f32_e32 v2, v2, v8
	v_cmp_lt_f32_e64 vcc, |v14|, s12
	v_mov_b32_e32 v8, 0x41b17218
	v_cndmask_b32_e64 v8, 0, v8, s[2:3]
	v_cndmask_b32_e32 v2, v14, v2, vcc
	v_sub_f32_e32 v2, v2, v8
	v_mul_f32_e32 v2, 0x3f22f983, v2
	v_fmac_f32_e32 v12, v2, v9
.LBB13_63:
	s_or_b64 exec, exec, s[10:11]
.LBB13_64:
	s_or_b64 exec, exec, s[6:7]
                                        ; implicit-def: $vgpr14
.LBB13_65:
	s_andn2_saveexec_b64 s[10:11], s[4:5]
	s_cbranch_execz .LBB13_75
; %bb.66:
	v_add_f32_e32 v2, 0xbf490fdb, v14
	v_and_b32_e32 v8, 0x7fffffff, v2
	s_brev_b32 s2, 18
	v_cmp_nlt_f32_e64 s[12:13], |v2|, s2
	v_lshrrev_b32_e32 v28, 23, v8
                                        ; implicit-def: $vgpr9
                                        ; implicit-def: $vgpr12
	s_and_saveexec_b64 s[2:3], s[12:13]
	s_xor_b64 s[14:15], exec, s[2:3]
	s_cbranch_execz .LBB13_68
; %bb.67:
	v_add_u32_e32 v9, 0xffffff88, v28
	v_not_b32_e32 v12, 63
	v_cmp_lt_u32_e32 vcc, 63, v9
	s_mov_b32 s6, 0xfe5163ab
	v_mov_b32_e32 v27, 0
	v_cndmask_b32_e32 v12, 0, v12, vcc
	v_add_u32_e32 v9, v12, v9
	v_not_b32_e32 v12, 31
	v_cmp_lt_u32_e64 s[2:3], 31, v9
	s_nop 1
	v_cndmask_b32_e64 v26, 0, v12, s[2:3]
	v_add_u32_e32 v9, v26, v9
	v_cmp_lt_u32_e64 s[4:5], 31, v9
	s_nop 1
	v_cndmask_b32_e64 v12, 0, v12, s[4:5]
	v_add_u32_e32 v9, v12, v9
	v_and_b32_e32 v12, 0x7fffff, v8
	v_or_b32_e32 v12, 0x800000, v12
	v_mad_u64_u32 v[30:31], s[6:7], v12, s6, 0
	v_mov_b32_e32 v26, v31
	s_mov_b32 s6, 0x3c439041
	v_mad_u64_u32 v[32:33], s[6:7], v12, s6, v[26:27]
	v_mov_b32_e32 v26, v33
	s_mov_b32 s6, 0xdb629599
	;; [unrolled: 3-line block ×6, first 2 shown]
	v_mad_u64_u32 v[26:27], s[6:7], v12, s6, v[26:27]
	v_cndmask_b32_e32 v29, v48, v36, vcc
	v_cndmask_b32_e32 v12, v26, v38, vcc
	;; [unrolled: 1-line block ×3, first 2 shown]
	v_cndmask_b32_e64 v26, v12, v29, s[2:3]
	v_cndmask_b32_e64 v12, v27, v12, s[2:3]
	v_cndmask_b32_e32 v27, v38, v34, vcc
	v_cndmask_b32_e64 v29, v29, v27, s[2:3]
	v_cndmask_b32_e64 v12, v12, v26, s[4:5]
	;; [unrolled: 1-line block ×3, first 2 shown]
	v_sub_u32_e32 v31, 32, v9
	v_alignbit_b32 v33, v12, v26, v31
	v_cmp_eq_u32_e64 s[6:7], 0, v9
	v_cndmask_b32_e32 v30, v34, v30, vcc
	s_nop 0
	v_cndmask_b32_e64 v9, v33, v12, s[6:7]
	v_cndmask_b32_e32 v12, v36, v32, vcc
	v_cndmask_b32_e64 v27, v27, v12, s[2:3]
	v_cndmask_b32_e64 v29, v29, v27, s[4:5]
	v_alignbit_b32 v32, v26, v29, v31
	v_cndmask_b32_e64 v26, v32, v26, s[6:7]
	v_bfe_u32 v35, v9, 29, 1
	v_cndmask_b32_e64 v12, v12, v30, s[2:3]
	v_alignbit_b32 v32, v9, v26, 30
	v_sub_u32_e32 v36, 0, v35
	v_cndmask_b32_e64 v12, v27, v12, s[4:5]
	v_xor_b32_e32 v37, v32, v36
	v_alignbit_b32 v27, v29, v12, v31
	v_cndmask_b32_e64 v27, v27, v29, s[6:7]
	v_ffbh_u32_e32 v29, v37
	v_add_u32_e32 v29, 1, v29
	v_cmp_ne_u32_e32 vcc, v32, v36
	v_alignbit_b32 v26, v26, v27, 30
	v_alignbit_b32 v12, v27, v12, 30
	v_cndmask_b32_e32 v29, 33, v29, vcc
	v_xor_b32_e32 v26, v26, v36
	v_sub_u32_e32 v30, 32, v29
	v_xor_b32_e32 v12, v12, v36
	v_alignbit_b32 v31, v37, v26, v30
	v_alignbit_b32 v12, v26, v12, v30
	;; [unrolled: 1-line block ×3, first 2 shown]
	v_ffbh_u32_e32 v27, v26
	v_min_u32_e32 v27, 32, v27
	v_lshrrev_b32_e32 v33, 29, v9
	v_sub_u32_e32 v30, 31, v27
	v_alignbit_b32 v12, v26, v12, v30
	v_lshlrev_b32_e32 v26, 31, v33
	v_or_b32_e32 v30, 0x33800000, v26
	v_add_lshl_u32 v27, v27, v29, 23
	v_lshrrev_b32_e32 v12, 9, v12
	v_sub_u32_e32 v27, v30, v27
	v_or_b32_e32 v12, v27, v12
	v_alignbit_b32 v27, v29, v31, 9
	v_or_b32_e32 v26, v27, v26
	v_xor_b32_e32 v26, 1.0, v26
	s_mov_b32 s2, 0x3fc90fda
	v_mul_f32_e32 v27, 0x3fc90fda, v26
	v_fma_f32 v29, v26, s2, -v27
	v_fmamk_f32 v26, v26, 0x33a22168, v29
	v_fmac_f32_e32 v26, 0x3fc90fda, v12
	v_lshrrev_b32_e32 v9, 30, v9
	v_add_f32_e32 v12, v27, v26
	v_add_u32_e32 v9, v35, v9
	s_andn2_saveexec_b64 s[2:3], s[14:15]
	s_branch .LBB13_69
.LBB13_68:
	s_andn2_saveexec_b64 s[2:3], s[14:15]
.LBB13_69:
	s_mov_b32 s4, 0x3f22f983
	v_mul_f32_e64 v9, |v2|, s4
	v_rndne_f32_e32 v12, v9
	s_mov_b32 s4, 0xbfc90fda
	v_cvt_i32_f32_e32 v9, v12
	v_fma_f32 v26, v12, s4, |v2|
	v_fmamk_f32 v26, v12, 0xb3a22168, v26
	v_fmamk_f32 v12, v12, 0xa7c234c4, v26
; %bb.70:
	s_or_b64 exec, exec, s[2:3]
                                        ; implicit-def: $vgpr26
                                        ; implicit-def: $vgpr27
	s_and_saveexec_b64 s[2:3], s[12:13]
	s_xor_b64 s[12:13], exec, s[2:3]
	s_cbranch_execz .LBB13_72
; %bb.71:
	v_add_u32_e32 v26, 0xffffff88, v28
	v_not_b32_e32 v28, 63
	v_cmp_lt_u32_e32 vcc, 63, v26
	s_mov_b32 s6, 0xfe5163ab
	v_mov_b32_e32 v27, 0
	v_cndmask_b32_e32 v28, 0, v28, vcc
	v_add_u32_e32 v26, v28, v26
	v_not_b32_e32 v28, 31
	v_cmp_lt_u32_e64 s[2:3], 31, v26
	s_nop 1
	v_cndmask_b32_e64 v29, 0, v28, s[2:3]
	v_add_u32_e32 v26, v29, v26
	v_cmp_lt_u32_e64 s[4:5], 31, v26
	s_nop 1
	v_cndmask_b32_e64 v28, 0, v28, s[4:5]
	v_add_u32_e32 v48, v28, v26
	v_and_b32_e32 v26, 0x7fffff, v8
	v_or_b32_e32 v49, 0x800000, v26
	v_mad_u64_u32 v[28:29], s[6:7], v49, s6, 0
	v_mov_b32_e32 v26, v29
	s_mov_b32 s6, 0x3c439041
	v_mad_u64_u32 v[30:31], s[6:7], v49, s6, v[26:27]
	v_mov_b32_e32 v26, v31
	s_mov_b32 s6, 0xdb629599
	;; [unrolled: 3-line block ×6, first 2 shown]
	v_mad_u64_u32 v[26:27], s[6:7], v49, s6, v[26:27]
	v_cndmask_b32_e32 v29, v38, v34, vcc
	v_cndmask_b32_e32 v26, v26, v36, vcc
	;; [unrolled: 1-line block ×3, first 2 shown]
	v_cndmask_b32_e64 v31, v26, v29, s[2:3]
	v_cndmask_b32_e64 v26, v27, v26, s[2:3]
	v_cndmask_b32_e32 v27, v36, v32, vcc
	v_cndmask_b32_e64 v29, v29, v27, s[2:3]
	v_cndmask_b32_e32 v30, v34, v30, vcc
	v_cndmask_b32_e64 v26, v26, v31, s[4:5]
	v_cndmask_b32_e64 v31, v31, v29, s[4:5]
	v_sub_u32_e32 v33, 32, v48
	v_cndmask_b32_e64 v27, v27, v30, s[2:3]
	v_alignbit_b32 v35, v26, v31, v33
	v_cmp_eq_u32_e64 s[6:7], 0, v48
	v_cndmask_b32_e64 v29, v29, v27, s[4:5]
	v_alignbit_b32 v34, v31, v29, v33
	v_cndmask_b32_e64 v26, v35, v26, s[6:7]
	v_cndmask_b32_e64 v31, v34, v31, s[6:7]
	v_bfe_u32 v36, v26, 29, 1
	v_cndmask_b32_e32 v28, v32, v28, vcc
	v_alignbit_b32 v34, v26, v31, 30
	v_sub_u32_e32 v37, 0, v36
	v_cndmask_b32_e64 v28, v30, v28, s[2:3]
	v_xor_b32_e32 v38, v34, v37
	v_cndmask_b32_e64 v27, v27, v28, s[4:5]
	v_alignbit_b32 v28, v29, v27, v33
	v_ffbh_u32_e32 v30, v38
	v_cndmask_b32_e64 v28, v28, v29, s[6:7]
	v_add_u32_e32 v30, 1, v30
	v_cmp_ne_u32_e32 vcc, v34, v37
	v_alignbit_b32 v29, v31, v28, 30
	v_alignbit_b32 v27, v28, v27, 30
	v_cndmask_b32_e32 v30, 33, v30, vcc
	v_xor_b32_e32 v29, v29, v37
	v_sub_u32_e32 v31, 32, v30
	v_xor_b32_e32 v27, v27, v37
	v_alignbit_b32 v32, v38, v29, v31
	v_alignbit_b32 v27, v29, v27, v31
	;; [unrolled: 1-line block ×3, first 2 shown]
	v_ffbh_u32_e32 v29, v28
	v_min_u32_e32 v29, 32, v29
	v_lshrrev_b32_e32 v35, 29, v26
	v_sub_u32_e32 v31, 31, v29
	v_alignbit_b32 v27, v28, v27, v31
	v_lshlrev_b32_e32 v28, 31, v35
	v_or_b32_e32 v31, 0x33800000, v28
	v_add_lshl_u32 v29, v29, v30, 23
	v_lshrrev_b32_e32 v27, 9, v27
	v_sub_u32_e32 v29, v31, v29
	v_or_b32_e32 v27, v29, v27
	v_alignbit_b32 v29, v30, v32, 9
	v_or_b32_e32 v28, v29, v28
	v_xor_b32_e32 v28, 1.0, v28
	s_mov_b32 s2, 0x3fc90fda
	v_mul_f32_e32 v29, 0x3fc90fda, v28
	v_fma_f32 v30, v28, s2, -v29
	v_fmamk_f32 v28, v28, 0x33a22168, v30
	v_fmac_f32_e32 v28, 0x3fc90fda, v27
	v_lshrrev_b32_e32 v26, 30, v26
	v_add_f32_e32 v27, v29, v28
	v_add_u32_e32 v26, v36, v26
	s_andn2_saveexec_b64 s[2:3], s[12:13]
	s_cbranch_execnz .LBB13_73
	s_branch .LBB13_74
.LBB13_72:
	s_andn2_saveexec_b64 s[2:3], s[12:13]
.LBB13_73:
	s_mov_b32 s4, 0x3f22f983
	v_mul_f32_e64 v26, |v2|, s4
	v_rndne_f32_e32 v27, v26
	s_mov_b32 s4, 0xbfc90fda
	v_cvt_i32_f32_e32 v26, v27
	v_fma_f32 v28, v27, s4, |v2|
	v_fmamk_f32 v28, v27, 0xb3a22168, v28
	v_fmamk_f32 v27, v27, 0xa7c234c4, v28
.LBB13_74:
	s_or_b64 exec, exec, s[2:3]
	v_mul_f32_e32 v28, v14, v14
	s_mov_b32 s4, 0x41c80000
	v_div_scale_f32 v29, s[2:3], v28, v28, s4
	v_rcp_f32_e32 v30, v29
	v_xor_b32_e32 v8, v8, v2
	s_mov_b32 s6, 0x40a00000
	v_mov_b32_e32 v37, 0xbf000004
	v_fma_f32 v31, -v29, v30, 1.0
	v_fmac_f32_e32 v30, v31, v30
	v_div_scale_f32 v31, vcc, s4, v28, s4
	v_mul_f32_e32 v32, v31, v30
	v_fma_f32 v33, -v29, v32, v31
	v_fmac_f32_e32 v32, v33, v30
	v_fma_f32 v29, -v29, v32, v31
	v_div_fmas_f32 v29, v29, v30, v32
	v_div_fixup_f32 v28, v29, v28, s4
	v_mov_b32_e32 v29, 0x3a50e985
	v_mov_b32_e32 v30, 0x3a725406
	v_fmac_f32_e32 v29, 0, v28
	v_fmac_f32_e32 v30, 0, v28
	v_fmaak_f32 v29, v28, v29, 0x3da9a586
	v_fmaak_f32 v30, v28, v30, 0x3daf5e2d
	;; [unrolled: 1-line block ×8, first 2 shown]
	v_mov_b32_e32 v31, 0xbc3a3a12
	v_fmaak_f32 v29, v28, v29, 0x40a9b425
	v_fmaak_f32 v30, v28, v30, 0x40a9cb2f
	v_fmac_f32_e32 v31, 0, v28
	v_mov_b32_e32 v32, 0x4280a2ba
	v_fma_f32 v30, v28, v30, 1.0
	v_fmaak_f32 v31, v28, v31, 0xbfa429da
	v_fmac_f32_e32 v32, 0, v28
	v_fma_f32 v29, v28, v29, 1.0
	v_fmaak_f32 v31, v28, v31, 0xc19c6e80
	v_fmaak_f32 v32, v28, v32, 0x44561b86
	v_div_scale_f32 v33, s[2:3], v30, v30, v29
	v_fmaak_f32 v31, v28, v31, 0xc2ba697b
	v_fmaak_f32 v32, v28, v32, 0x4572a66e
	v_rcp_f32_e32 v34, v33
	v_fmaak_f32 v31, v28, v31, 0xc331ae61
	v_fmaak_f32 v32, v28, v32, 0x45e243be
	;; [unrolled: 1-line block ×8, first 2 shown]
	v_fma_f32 v32, -v33, v34, 1.0
	v_fmac_f32_e32 v34, v32, v34
	v_div_scale_f32 v32, vcc, v29, v30, v29
	v_mul_f32_e32 v35, v32, v34
	v_fma_f32 v36, -v33, v35, v32
	v_fmac_f32_e32 v35, v36, v34
	v_fma_f32 v32, -v33, v35, v32
	v_div_fmas_f32 v32, v32, v34, v35
	v_div_fixup_f32 v29, v32, v30, v29
	v_mul_f32_e32 v30, v12, v12
	v_mov_b32_e32 v32, 0x3c0881c4
	v_fmamk_f32 v33, v30, 0xb94c1982, v32
	v_fmaak_f32 v33, v30, v33, 0xbe2aaa9d
	v_mul_f32_e32 v33, v30, v33
	v_fmac_f32_e32 v12, v12, v33
	v_mov_b32_e32 v33, 0xbab64f3b
	v_fmamk_f32 v35, v30, 0x37d75334, v33
	v_fmaak_f32 v35, v30, v35, 0x3d2aabf7
	v_fmaak_f32 v35, v30, v35, 0xbf000004
	v_fma_f32 v30, v30, v35, 1.0
	v_and_b32_e32 v35, 1, v9
	v_lshlrev_b32_e32 v9, 30, v9
	v_cmp_eq_u32_e32 vcc, 0, v35
	v_and_b32_e32 v9, 0x80000000, v9
	v_xor_b32_e32 v8, v8, v9
	v_cndmask_b32_e32 v12, v30, v12, vcc
	v_div_scale_f32 v9, s[2:3], v14, v14, s6
	v_xor_b32_e32 v8, v8, v12
	v_rcp_f32_e32 v12, v9
	s_movk_i32 s4, 0x1f8
	v_mov_b32_e32 v30, 0x7fc00000
	v_cmp_class_f32_e64 s[2:3], v2, s4
	v_mov_b32_e32 v34, 0xbe2aaa9d
	v_mov_b32_e32 v36, 0x3d2aabf7
	v_cndmask_b32_e64 v2, v30, v8, s[2:3]
	v_fma_f32 v8, -v9, v12, 1.0
	v_fmac_f32_e32 v12, v8, v12
	v_div_scale_f32 v8, vcc, s6, v14, s6
	v_mul_f32_e32 v35, v8, v12
	v_fma_f32 v38, -v9, v35, v8
	v_fmac_f32_e32 v35, v38, v12
	v_fma_f32 v8, -v9, v35, v8
	v_div_scale_f32 v9, s[4:5], v28, v28, v31
	v_rcp_f32_e32 v38, v9
	v_div_fmas_f32 v8, v8, v12, v35
	v_div_fixup_f32 v8, v8, v14, s6
	v_fma_f32 v12, -v9, v38, 1.0
	v_fmac_f32_e32 v38, v12, v38
	v_div_scale_f32 v12, vcc, v31, v28, v31
	v_mul_f32_e32 v35, v12, v38
	v_fma_f32 v39, -v9, v35, v12
	v_fmac_f32_e32 v35, v39, v38
	v_fma_f32 v9, -v9, v35, v12
	v_div_fmas_f32 v9, v9, v38, v35
	v_div_fixup_f32 v9, v9, v28, v31
	v_mul_f32_e32 v8, v8, v9
	v_mul_f32_e32 v9, v27, v27
	v_fmac_f32_e32 v32, 0xb94c1982, v9
	v_fmac_f32_e32 v34, v9, v32
	;; [unrolled: 1-line block ×3, first 2 shown]
	v_mul_f32_e32 v12, v9, v34
	v_fmac_f32_e32 v36, v9, v33
	v_fmac_f32_e32 v27, v27, v12
	;; [unrolled: 1-line block ×3, first 2 shown]
	v_and_b32_e32 v12, 1, v26
	v_fma_f32 v9, v9, v37, 1.0
	v_cmp_eq_u32_e32 vcc, 0, v12
	v_lshlrev_b32_e32 v12, 30, v26
	v_and_b32_e32 v12, 0x80000000, v12
	v_cndmask_b32_e64 v9, -v27, v9, vcc
	v_xor_b32_e32 v9, v12, v9
	v_cndmask_b32_e64 v9, v30, v9, s[2:3]
	s_mov_b32 s2, 0xf800000
	v_mul_f32_e32 v12, 0x4f800000, v14
	v_cmp_gt_f32_e32 vcc, s2, v14
	v_mul_f32_e32 v8, v8, v9
	v_fmac_f32_e32 v8, v29, v2
	v_cndmask_b32_e32 v12, v14, v12, vcc
	v_sqrt_f32_e32 v14, v12
	v_mul_f32_e32 v2, 0x3f4c422a, v8
	v_add_u32_e32 v8, -1, v14
	v_fma_f32 v9, -v8, v14, v12
	v_cmp_ge_f32_e64 s[2:3], 0, v9
	v_add_u32_e32 v9, 1, v14
	s_nop 0
	v_cndmask_b32_e64 v8, v14, v8, s[2:3]
	v_fma_f32 v14, -v9, v14, v12
	v_cmp_lt_f32_e64 s[2:3], 0, v14
	s_nop 1
	v_cndmask_b32_e64 v8, v8, v9, s[2:3]
	v_mul_f32_e32 v9, 0x37800000, v8
	v_cndmask_b32_e32 v8, v8, v9, vcc
	v_mov_b32_e32 v9, 0x260
	v_cmp_class_f32_e32 vcc, v12, v9
	s_nop 1
	v_cndmask_b32_e32 v8, v8, v12, vcc
	v_div_scale_f32 v9, s[2:3], v8, v8, v2
	v_rcp_f32_e32 v12, v9
	s_nop 0
	v_fma_f32 v14, -v9, v12, 1.0
	v_fmac_f32_e32 v12, v14, v12
	v_div_scale_f32 v14, vcc, v2, v8, v2
	v_mul_f32_e32 v26, v14, v12
	v_fma_f32 v27, -v9, v26, v14
	v_fmac_f32_e32 v26, v27, v12
	v_fma_f32 v9, -v9, v26, v14
	v_div_fmas_f32 v9, v9, v12, v26
	v_div_fixup_f32 v12, v9, v8, v2
.LBB13_75:
	s_or_b64 exec, exec, s[10:11]
.LBB13_76:
	s_or_b64 exec, exec, s[8:9]
	v_add_u32_e32 v2, 0x200, v5
	v_cmp_lt_i32_e32 vcc, v2, v4
                                        ; implicit-def: $vgpr14
	s_and_saveexec_b64 s[8:9], vcc
	s_cbranch_execz .LBB13_98
; %bb.77:
	s_mov_b32 s2, 0x40a00000
	v_cmp_ge_f32_e32 vcc, s2, v16
                                        ; implicit-def: $vgpr14
	s_and_saveexec_b64 s[2:3], vcc
	s_xor_b64 s[4:5], exec, s[2:3]
	s_cbranch_execz .LBB13_87
; %bb.78:
	v_cmp_neq_f32_e32 vcc, 0, v16
	v_mov_b32_e32 v14, 0xff800000
	s_and_saveexec_b64 s[6:7], vcc
	s_cbranch_execz .LBB13_86
; %bb.79:
	v_cmp_ngt_f32_e32 vcc, 0, v16
	v_mov_b32_e32 v14, 0x7fc00000
	s_and_saveexec_b64 s[10:11], vcc
	s_cbranch_execz .LBB13_85
; %bb.80:
	v_mul_f32_e32 v2, v16, v16
	s_mov_b32 s2, 0x3727c5ac
	v_mul_f32_e32 v8, 0, v2
	v_cmp_ngt_f32_e32 vcc, s2, v16
                                        ; implicit-def: $vgpr9
	s_and_saveexec_b64 s[2:3], vcc
	s_xor_b64 s[2:3], exec, s[2:3]
	s_cbranch_execz .LBB13_82
; %bb.81:
	v_add_f32_e32 v9, 0x43f9c815, v8
	v_fmaak_f32 v9, v2, v9, 0x4829b65a
	v_fmaak_f32 v9, v2, v9, 0x4c38c9a1
	;; [unrolled: 1-line block ×3, first 2 shown]
	s_mov_b32 s12, 0xcf8ee29d
	v_mul_f32_e32 v9, v2, v9
	s_mov_b32 s13, 0x53f5f59c
	v_pk_add_f32 v[26:27], v[8:9], s[12:13]
	s_mov_b32 s12, 0x53e3ba8e
	s_mov_b32 s13, 0x578d3514
	v_pk_fma_f32 v[26:27], v[2:3], v[26:27], s[12:13] op_sel_hi:[0,1,1]
	s_mov_b32 s12, 0xd762b0a7
	s_mov_b32 s13, 0x5ae20a0c
	v_pk_fma_f32 v[26:27], v[2:3], v[26:27], s[12:13] op_sel_hi:[0,1,1]
	s_mov_b32 s12, 0x5a09f7c3
	s_mov_b32 s13, 0x5dbdf1a6
	v_pk_fma_f32 v[26:27], v[2:3], v[26:27], s[12:13] op_sel_hi:[0,1,1]
	s_mov_b32 s12, 0xc0b90fdc
	s_mov_b32 s13, 0xc1f3c525
	v_pk_add_f32 v[28:29], v[2:3], s[12:13] op_sel_hi:[0,1]
	v_mul_f32_e32 v9, v28, v29
	v_mul_f32_e32 v9, v9, v26
	v_div_scale_f32 v14, s[12:13], v27, v27, v9
	v_rcp_f32_e32 v26, v14
	s_nop 0
	v_fma_f32 v28, -v14, v26, 1.0
	v_fmac_f32_e32 v26, v28, v26
	v_div_scale_f32 v28, vcc, v9, v27, v9
	v_mul_f32_e32 v29, v28, v26
	v_fma_f32 v30, -v14, v29, v28
	v_fmac_f32_e32 v29, v30, v26
	v_fma_f32 v14, -v14, v29, v28
	v_div_fmas_f32 v14, v14, v26, v29
	v_div_fixup_f32 v9, v14, v27, v9
.LBB13_82:
	s_andn2_saveexec_b64 s[2:3], s[2:3]
; %bb.83:
	v_mov_b32_e32 v9, 1.0
	v_fmamk_f32 v9, v2, 0xbe800000, v9
; %bb.84:
	s_or_b64 exec, exec, s[2:3]
	v_add_f32_e32 v14, 0x4673a1bf, v8
	v_fmaak_f32 v14, v2, v14, 0xcb5fc0fa
	v_add_f32_e32 v8, 0x44822913, v8
	v_fmaak_f32 v14, v2, v14, 0x4fa1fbc8
	v_fmaak_f32 v8, v2, v8, 0x4918dbb5
	;; [unrolled: 1-line block ×12, first 2 shown]
	v_div_scale_f32 v14, s[2:3], v8, v8, v2
	v_rcp_f32_e32 v26, v14
	s_mov_b32 s2, 0x800000
	v_cmp_gt_f32_e64 s[2:3], s2, v16
	s_mov_b32 s12, 0x3f317217
	v_fma_f32 v27, -v14, v26, 1.0
	v_fmac_f32_e32 v26, v27, v26
	v_div_scale_f32 v27, vcc, v2, v8, v2
	v_mul_f32_e32 v28, v27, v26
	v_fma_f32 v29, -v14, v28, v27
	v_fmac_f32_e32 v28, v29, v26
	v_fma_f32 v14, -v14, v28, v27
	v_mov_b32_e32 v27, 0x4f800000
	v_cndmask_b32_e64 v27, 1.0, v27, s[2:3]
	v_mul_f32_e32 v16, v16, v27
	v_log_f32_e32 v16, v16
	v_div_fmas_f32 v14, v14, v26, v28
	v_div_fixup_f32 v14, v14, v8, v2
	v_mul_f32_e32 v2, 0x3f317217, v16
	v_fma_f32 v8, v16, s12, -v2
	v_fmamk_f32 v8, v16, 0x3377d1cf, v8
	s_mov_b32 s12, 0x7f800000
	v_add_f32_e32 v2, v2, v8
	v_cmp_lt_f32_e64 vcc, |v16|, s12
	v_mov_b32_e32 v8, 0x41b17218
	v_cndmask_b32_e64 v8, 0, v8, s[2:3]
	v_cndmask_b32_e32 v2, v16, v2, vcc
	v_sub_f32_e32 v2, v2, v8
	v_mul_f32_e32 v2, 0x3f22f983, v2
	v_fmac_f32_e32 v14, v2, v9
.LBB13_85:
	s_or_b64 exec, exec, s[10:11]
.LBB13_86:
	s_or_b64 exec, exec, s[6:7]
                                        ; implicit-def: $vgpr16
.LBB13_87:
	s_andn2_saveexec_b64 s[10:11], s[4:5]
	s_cbranch_execz .LBB13_97
; %bb.88:
	v_add_f32_e32 v2, 0xbf490fdb, v16
	v_and_b32_e32 v8, 0x7fffffff, v2
	s_brev_b32 s2, 18
	v_cmp_nlt_f32_e64 s[12:13], |v2|, s2
	v_lshrrev_b32_e32 v28, 23, v8
                                        ; implicit-def: $vgpr9
                                        ; implicit-def: $vgpr14
	s_and_saveexec_b64 s[2:3], s[12:13]
	s_xor_b64 s[14:15], exec, s[2:3]
	s_cbranch_execz .LBB13_90
; %bb.89:
	v_add_u32_e32 v9, 0xffffff88, v28
	v_not_b32_e32 v14, 63
	v_cmp_lt_u32_e32 vcc, 63, v9
	s_mov_b32 s6, 0xfe5163ab
	v_mov_b32_e32 v27, 0
	v_cndmask_b32_e32 v14, 0, v14, vcc
	v_add_u32_e32 v9, v14, v9
	v_not_b32_e32 v14, 31
	v_cmp_lt_u32_e64 s[2:3], 31, v9
	s_nop 1
	v_cndmask_b32_e64 v26, 0, v14, s[2:3]
	v_add_u32_e32 v9, v26, v9
	v_cmp_lt_u32_e64 s[4:5], 31, v9
	s_nop 1
	v_cndmask_b32_e64 v14, 0, v14, s[4:5]
	v_add_u32_e32 v9, v14, v9
	v_and_b32_e32 v14, 0x7fffff, v8
	v_or_b32_e32 v14, 0x800000, v14
	v_mad_u64_u32 v[30:31], s[6:7], v14, s6, 0
	v_mov_b32_e32 v26, v31
	s_mov_b32 s6, 0x3c439041
	v_mad_u64_u32 v[32:33], s[6:7], v14, s6, v[26:27]
	v_mov_b32_e32 v26, v33
	s_mov_b32 s6, 0xdb629599
	;; [unrolled: 3-line block ×6, first 2 shown]
	v_mad_u64_u32 v[26:27], s[6:7], v14, s6, v[26:27]
	v_cndmask_b32_e32 v29, v48, v36, vcc
	v_cndmask_b32_e32 v14, v26, v38, vcc
	;; [unrolled: 1-line block ×3, first 2 shown]
	v_cndmask_b32_e64 v26, v14, v29, s[2:3]
	v_cndmask_b32_e64 v14, v27, v14, s[2:3]
	v_cndmask_b32_e32 v27, v38, v34, vcc
	v_cndmask_b32_e64 v29, v29, v27, s[2:3]
	v_cndmask_b32_e64 v14, v14, v26, s[4:5]
	;; [unrolled: 1-line block ×3, first 2 shown]
	v_sub_u32_e32 v31, 32, v9
	v_alignbit_b32 v33, v14, v26, v31
	v_cmp_eq_u32_e64 s[6:7], 0, v9
	v_cndmask_b32_e32 v30, v34, v30, vcc
	s_nop 0
	v_cndmask_b32_e64 v9, v33, v14, s[6:7]
	v_cndmask_b32_e32 v14, v36, v32, vcc
	v_cndmask_b32_e64 v27, v27, v14, s[2:3]
	v_cndmask_b32_e64 v29, v29, v27, s[4:5]
	v_alignbit_b32 v32, v26, v29, v31
	v_cndmask_b32_e64 v26, v32, v26, s[6:7]
	v_bfe_u32 v35, v9, 29, 1
	v_cndmask_b32_e64 v14, v14, v30, s[2:3]
	v_alignbit_b32 v32, v9, v26, 30
	v_sub_u32_e32 v36, 0, v35
	v_cndmask_b32_e64 v14, v27, v14, s[4:5]
	v_xor_b32_e32 v37, v32, v36
	v_alignbit_b32 v27, v29, v14, v31
	v_cndmask_b32_e64 v27, v27, v29, s[6:7]
	v_ffbh_u32_e32 v29, v37
	v_add_u32_e32 v29, 1, v29
	v_cmp_ne_u32_e32 vcc, v32, v36
	v_alignbit_b32 v26, v26, v27, 30
	v_alignbit_b32 v14, v27, v14, 30
	v_cndmask_b32_e32 v29, 33, v29, vcc
	v_xor_b32_e32 v26, v26, v36
	v_sub_u32_e32 v30, 32, v29
	v_xor_b32_e32 v14, v14, v36
	v_alignbit_b32 v31, v37, v26, v30
	v_alignbit_b32 v14, v26, v14, v30
	;; [unrolled: 1-line block ×3, first 2 shown]
	v_ffbh_u32_e32 v27, v26
	v_min_u32_e32 v27, 32, v27
	v_lshrrev_b32_e32 v33, 29, v9
	v_sub_u32_e32 v30, 31, v27
	v_alignbit_b32 v14, v26, v14, v30
	v_lshlrev_b32_e32 v26, 31, v33
	v_or_b32_e32 v30, 0x33800000, v26
	v_add_lshl_u32 v27, v27, v29, 23
	v_lshrrev_b32_e32 v14, 9, v14
	v_sub_u32_e32 v27, v30, v27
	v_or_b32_e32 v14, v27, v14
	v_alignbit_b32 v27, v29, v31, 9
	v_or_b32_e32 v26, v27, v26
	v_xor_b32_e32 v26, 1.0, v26
	s_mov_b32 s2, 0x3fc90fda
	v_mul_f32_e32 v27, 0x3fc90fda, v26
	v_fma_f32 v29, v26, s2, -v27
	v_fmamk_f32 v26, v26, 0x33a22168, v29
	v_fmac_f32_e32 v26, 0x3fc90fda, v14
	v_lshrrev_b32_e32 v9, 30, v9
	v_add_f32_e32 v14, v27, v26
	v_add_u32_e32 v9, v35, v9
	s_andn2_saveexec_b64 s[2:3], s[14:15]
	s_branch .LBB13_91
.LBB13_90:
	s_andn2_saveexec_b64 s[2:3], s[14:15]
.LBB13_91:
	s_mov_b32 s4, 0x3f22f983
	v_mul_f32_e64 v9, |v2|, s4
	v_rndne_f32_e32 v14, v9
	s_mov_b32 s4, 0xbfc90fda
	v_cvt_i32_f32_e32 v9, v14
	v_fma_f32 v26, v14, s4, |v2|
	v_fmamk_f32 v26, v14, 0xb3a22168, v26
	v_fmamk_f32 v14, v14, 0xa7c234c4, v26
; %bb.92:
	s_or_b64 exec, exec, s[2:3]
                                        ; implicit-def: $vgpr26
                                        ; implicit-def: $vgpr27
	s_and_saveexec_b64 s[2:3], s[12:13]
	s_xor_b64 s[12:13], exec, s[2:3]
	s_cbranch_execz .LBB13_94
; %bb.93:
	v_add_u32_e32 v26, 0xffffff88, v28
	v_not_b32_e32 v28, 63
	v_cmp_lt_u32_e32 vcc, 63, v26
	s_mov_b32 s6, 0xfe5163ab
	v_mov_b32_e32 v27, 0
	v_cndmask_b32_e32 v28, 0, v28, vcc
	v_add_u32_e32 v26, v28, v26
	v_not_b32_e32 v28, 31
	v_cmp_lt_u32_e64 s[2:3], 31, v26
	s_nop 1
	v_cndmask_b32_e64 v29, 0, v28, s[2:3]
	v_add_u32_e32 v26, v29, v26
	v_cmp_lt_u32_e64 s[4:5], 31, v26
	s_nop 1
	v_cndmask_b32_e64 v28, 0, v28, s[4:5]
	v_add_u32_e32 v48, v28, v26
	v_and_b32_e32 v26, 0x7fffff, v8
	v_or_b32_e32 v49, 0x800000, v26
	v_mad_u64_u32 v[28:29], s[6:7], v49, s6, 0
	v_mov_b32_e32 v26, v29
	s_mov_b32 s6, 0x3c439041
	v_mad_u64_u32 v[30:31], s[6:7], v49, s6, v[26:27]
	v_mov_b32_e32 v26, v31
	s_mov_b32 s6, 0xdb629599
	;; [unrolled: 3-line block ×6, first 2 shown]
	v_mad_u64_u32 v[26:27], s[6:7], v49, s6, v[26:27]
	v_cndmask_b32_e32 v29, v38, v34, vcc
	v_cndmask_b32_e32 v26, v26, v36, vcc
	;; [unrolled: 1-line block ×3, first 2 shown]
	v_cndmask_b32_e64 v31, v26, v29, s[2:3]
	v_cndmask_b32_e64 v26, v27, v26, s[2:3]
	v_cndmask_b32_e32 v27, v36, v32, vcc
	v_cndmask_b32_e64 v29, v29, v27, s[2:3]
	v_cndmask_b32_e32 v30, v34, v30, vcc
	v_cndmask_b32_e64 v26, v26, v31, s[4:5]
	v_cndmask_b32_e64 v31, v31, v29, s[4:5]
	v_sub_u32_e32 v33, 32, v48
	v_cndmask_b32_e64 v27, v27, v30, s[2:3]
	v_alignbit_b32 v35, v26, v31, v33
	v_cmp_eq_u32_e64 s[6:7], 0, v48
	v_cndmask_b32_e64 v29, v29, v27, s[4:5]
	v_alignbit_b32 v34, v31, v29, v33
	v_cndmask_b32_e64 v26, v35, v26, s[6:7]
	v_cndmask_b32_e64 v31, v34, v31, s[6:7]
	v_bfe_u32 v36, v26, 29, 1
	v_cndmask_b32_e32 v28, v32, v28, vcc
	v_alignbit_b32 v34, v26, v31, 30
	v_sub_u32_e32 v37, 0, v36
	v_cndmask_b32_e64 v28, v30, v28, s[2:3]
	v_xor_b32_e32 v38, v34, v37
	v_cndmask_b32_e64 v27, v27, v28, s[4:5]
	v_alignbit_b32 v28, v29, v27, v33
	v_ffbh_u32_e32 v30, v38
	v_cndmask_b32_e64 v28, v28, v29, s[6:7]
	v_add_u32_e32 v30, 1, v30
	v_cmp_ne_u32_e32 vcc, v34, v37
	v_alignbit_b32 v29, v31, v28, 30
	v_alignbit_b32 v27, v28, v27, 30
	v_cndmask_b32_e32 v30, 33, v30, vcc
	v_xor_b32_e32 v29, v29, v37
	v_sub_u32_e32 v31, 32, v30
	v_xor_b32_e32 v27, v27, v37
	v_alignbit_b32 v32, v38, v29, v31
	v_alignbit_b32 v27, v29, v27, v31
	;; [unrolled: 1-line block ×3, first 2 shown]
	v_ffbh_u32_e32 v29, v28
	v_min_u32_e32 v29, 32, v29
	v_lshrrev_b32_e32 v35, 29, v26
	v_sub_u32_e32 v31, 31, v29
	v_alignbit_b32 v27, v28, v27, v31
	v_lshlrev_b32_e32 v28, 31, v35
	v_or_b32_e32 v31, 0x33800000, v28
	v_add_lshl_u32 v29, v29, v30, 23
	v_lshrrev_b32_e32 v27, 9, v27
	v_sub_u32_e32 v29, v31, v29
	v_or_b32_e32 v27, v29, v27
	v_alignbit_b32 v29, v30, v32, 9
	v_or_b32_e32 v28, v29, v28
	v_xor_b32_e32 v28, 1.0, v28
	s_mov_b32 s2, 0x3fc90fda
	v_mul_f32_e32 v29, 0x3fc90fda, v28
	v_fma_f32 v30, v28, s2, -v29
	v_fmamk_f32 v28, v28, 0x33a22168, v30
	v_fmac_f32_e32 v28, 0x3fc90fda, v27
	v_lshrrev_b32_e32 v26, 30, v26
	v_add_f32_e32 v27, v29, v28
	v_add_u32_e32 v26, v36, v26
	s_andn2_saveexec_b64 s[2:3], s[12:13]
	s_cbranch_execnz .LBB13_95
	s_branch .LBB13_96
.LBB13_94:
	s_andn2_saveexec_b64 s[2:3], s[12:13]
.LBB13_95:
	s_mov_b32 s4, 0x3f22f983
	v_mul_f32_e64 v26, |v2|, s4
	v_rndne_f32_e32 v27, v26
	s_mov_b32 s4, 0xbfc90fda
	v_cvt_i32_f32_e32 v26, v27
	v_fma_f32 v28, v27, s4, |v2|
	v_fmamk_f32 v28, v27, 0xb3a22168, v28
	v_fmamk_f32 v27, v27, 0xa7c234c4, v28
.LBB13_96:
	s_or_b64 exec, exec, s[2:3]
	v_mul_f32_e32 v28, v16, v16
	s_mov_b32 s4, 0x41c80000
	v_div_scale_f32 v29, s[2:3], v28, v28, s4
	v_rcp_f32_e32 v30, v29
	v_xor_b32_e32 v8, v8, v2
	s_mov_b32 s6, 0x40a00000
	v_mov_b32_e32 v37, 0xbf000004
	v_fma_f32 v31, -v29, v30, 1.0
	v_fmac_f32_e32 v30, v31, v30
	v_div_scale_f32 v31, vcc, s4, v28, s4
	v_mul_f32_e32 v32, v31, v30
	v_fma_f32 v33, -v29, v32, v31
	v_fmac_f32_e32 v32, v33, v30
	v_fma_f32 v29, -v29, v32, v31
	v_div_fmas_f32 v29, v29, v30, v32
	v_div_fixup_f32 v28, v29, v28, s4
	v_mov_b32_e32 v29, 0x3a50e985
	v_mov_b32_e32 v30, 0x3a725406
	v_fmac_f32_e32 v29, 0, v28
	v_fmac_f32_e32 v30, 0, v28
	v_fmaak_f32 v29, v28, v29, 0x3da9a586
	v_fmaak_f32 v30, v28, v30, 0x3daf5e2d
	;; [unrolled: 1-line block ×8, first 2 shown]
	v_mov_b32_e32 v31, 0xbc3a3a12
	v_fmaak_f32 v29, v28, v29, 0x40a9b425
	v_fmaak_f32 v30, v28, v30, 0x40a9cb2f
	v_fmac_f32_e32 v31, 0, v28
	v_mov_b32_e32 v32, 0x4280a2ba
	v_fma_f32 v30, v28, v30, 1.0
	v_fmaak_f32 v31, v28, v31, 0xbfa429da
	v_fmac_f32_e32 v32, 0, v28
	v_fma_f32 v29, v28, v29, 1.0
	v_fmaak_f32 v31, v28, v31, 0xc19c6e80
	v_fmaak_f32 v32, v28, v32, 0x44561b86
	v_div_scale_f32 v33, s[2:3], v30, v30, v29
	v_fmaak_f32 v31, v28, v31, 0xc2ba697b
	v_fmaak_f32 v32, v28, v32, 0x4572a66e
	v_rcp_f32_e32 v34, v33
	v_fmaak_f32 v31, v28, v31, 0xc331ae61
	v_fmaak_f32 v32, v28, v32, 0x45e243be
	;; [unrolled: 1-line block ×8, first 2 shown]
	v_fma_f32 v32, -v33, v34, 1.0
	v_fmac_f32_e32 v34, v32, v34
	v_div_scale_f32 v32, vcc, v29, v30, v29
	v_mul_f32_e32 v35, v32, v34
	v_fma_f32 v36, -v33, v35, v32
	v_fmac_f32_e32 v35, v36, v34
	v_fma_f32 v32, -v33, v35, v32
	v_div_fmas_f32 v32, v32, v34, v35
	v_div_fixup_f32 v29, v32, v30, v29
	v_mul_f32_e32 v30, v14, v14
	v_mov_b32_e32 v32, 0x3c0881c4
	v_fmamk_f32 v33, v30, 0xb94c1982, v32
	v_fmaak_f32 v33, v30, v33, 0xbe2aaa9d
	v_mul_f32_e32 v33, v30, v33
	v_fmac_f32_e32 v14, v14, v33
	v_mov_b32_e32 v33, 0xbab64f3b
	v_fmamk_f32 v35, v30, 0x37d75334, v33
	v_fmaak_f32 v35, v30, v35, 0x3d2aabf7
	v_fmaak_f32 v35, v30, v35, 0xbf000004
	v_fma_f32 v30, v30, v35, 1.0
	v_and_b32_e32 v35, 1, v9
	v_lshlrev_b32_e32 v9, 30, v9
	v_cmp_eq_u32_e32 vcc, 0, v35
	v_and_b32_e32 v9, 0x80000000, v9
	v_xor_b32_e32 v8, v8, v9
	v_cndmask_b32_e32 v14, v30, v14, vcc
	v_div_scale_f32 v9, s[2:3], v16, v16, s6
	v_xor_b32_e32 v8, v8, v14
	v_rcp_f32_e32 v14, v9
	s_movk_i32 s4, 0x1f8
	v_mov_b32_e32 v30, 0x7fc00000
	v_cmp_class_f32_e64 s[2:3], v2, s4
	v_mov_b32_e32 v34, 0xbe2aaa9d
	v_mov_b32_e32 v36, 0x3d2aabf7
	v_cndmask_b32_e64 v2, v30, v8, s[2:3]
	v_fma_f32 v8, -v9, v14, 1.0
	v_fmac_f32_e32 v14, v8, v14
	v_div_scale_f32 v8, vcc, s6, v16, s6
	v_mul_f32_e32 v35, v8, v14
	v_fma_f32 v38, -v9, v35, v8
	v_fmac_f32_e32 v35, v38, v14
	v_fma_f32 v8, -v9, v35, v8
	v_div_scale_f32 v9, s[4:5], v28, v28, v31
	v_rcp_f32_e32 v38, v9
	v_div_fmas_f32 v8, v8, v14, v35
	v_div_fixup_f32 v8, v8, v16, s6
	v_fma_f32 v14, -v9, v38, 1.0
	v_fmac_f32_e32 v38, v14, v38
	v_div_scale_f32 v14, vcc, v31, v28, v31
	v_mul_f32_e32 v35, v14, v38
	v_fma_f32 v39, -v9, v35, v14
	v_fmac_f32_e32 v35, v39, v38
	v_fma_f32 v9, -v9, v35, v14
	v_div_fmas_f32 v9, v9, v38, v35
	v_div_fixup_f32 v9, v9, v28, v31
	v_mul_f32_e32 v8, v8, v9
	v_mul_f32_e32 v9, v27, v27
	v_fmac_f32_e32 v32, 0xb94c1982, v9
	v_fmac_f32_e32 v34, v9, v32
	;; [unrolled: 1-line block ×3, first 2 shown]
	v_mul_f32_e32 v14, v9, v34
	v_fmac_f32_e32 v36, v9, v33
	v_fmac_f32_e32 v27, v27, v14
	;; [unrolled: 1-line block ×3, first 2 shown]
	v_and_b32_e32 v14, 1, v26
	v_fma_f32 v9, v9, v37, 1.0
	v_cmp_eq_u32_e32 vcc, 0, v14
	v_lshlrev_b32_e32 v14, 30, v26
	v_and_b32_e32 v14, 0x80000000, v14
	v_cndmask_b32_e64 v9, -v27, v9, vcc
	v_xor_b32_e32 v9, v14, v9
	v_cndmask_b32_e64 v9, v30, v9, s[2:3]
	s_mov_b32 s2, 0xf800000
	v_mul_f32_e32 v14, 0x4f800000, v16
	v_cmp_gt_f32_e32 vcc, s2, v16
	v_mul_f32_e32 v8, v8, v9
	v_fmac_f32_e32 v8, v29, v2
	v_cndmask_b32_e32 v14, v16, v14, vcc
	v_sqrt_f32_e32 v16, v14
	v_mul_f32_e32 v2, 0x3f4c422a, v8
	v_add_u32_e32 v8, -1, v16
	v_fma_f32 v9, -v8, v16, v14
	v_cmp_ge_f32_e64 s[2:3], 0, v9
	v_add_u32_e32 v9, 1, v16
	s_nop 0
	v_cndmask_b32_e64 v8, v16, v8, s[2:3]
	v_fma_f32 v16, -v9, v16, v14
	v_cmp_lt_f32_e64 s[2:3], 0, v16
	s_nop 1
	v_cndmask_b32_e64 v8, v8, v9, s[2:3]
	v_mul_f32_e32 v9, 0x37800000, v8
	v_cndmask_b32_e32 v8, v8, v9, vcc
	v_mov_b32_e32 v9, 0x260
	v_cmp_class_f32_e32 vcc, v14, v9
	s_nop 1
	v_cndmask_b32_e32 v8, v8, v14, vcc
	v_div_scale_f32 v9, s[2:3], v8, v8, v2
	v_rcp_f32_e32 v14, v9
	s_nop 0
	v_fma_f32 v16, -v9, v14, 1.0
	v_fmac_f32_e32 v14, v16, v14
	v_div_scale_f32 v16, vcc, v2, v8, v2
	v_mul_f32_e32 v26, v16, v14
	v_fma_f32 v27, -v9, v26, v16
	v_fmac_f32_e32 v26, v27, v14
	v_fma_f32 v9, -v9, v26, v16
	v_div_fmas_f32 v9, v9, v14, v26
	v_div_fixup_f32 v14, v9, v8, v2
.LBB13_97:
	s_or_b64 exec, exec, s[10:11]
.LBB13_98:
	s_or_b64 exec, exec, s[8:9]
	v_add_u32_e32 v2, 0x300, v5
	v_cmp_lt_i32_e32 vcc, v2, v4
                                        ; implicit-def: $vgpr16
	s_and_saveexec_b64 s[8:9], vcc
	s_cbranch_execz .LBB13_120
; %bb.99:
	s_mov_b32 s2, 0x40a00000
	v_cmp_ge_f32_e32 vcc, s2, v18
                                        ; implicit-def: $vgpr16
	s_and_saveexec_b64 s[2:3], vcc
	s_xor_b64 s[4:5], exec, s[2:3]
	s_cbranch_execz .LBB13_109
; %bb.100:
	v_cmp_neq_f32_e32 vcc, 0, v18
	v_mov_b32_e32 v16, 0xff800000
	s_and_saveexec_b64 s[6:7], vcc
	s_cbranch_execz .LBB13_108
; %bb.101:
	v_cmp_ngt_f32_e32 vcc, 0, v18
	v_mov_b32_e32 v16, 0x7fc00000
	s_and_saveexec_b64 s[10:11], vcc
	s_cbranch_execz .LBB13_107
; %bb.102:
	v_mul_f32_e32 v2, v18, v18
	s_mov_b32 s2, 0x3727c5ac
	v_mul_f32_e32 v8, 0, v2
	v_cmp_ngt_f32_e32 vcc, s2, v18
                                        ; implicit-def: $vgpr9
	s_and_saveexec_b64 s[2:3], vcc
	s_xor_b64 s[2:3], exec, s[2:3]
	s_cbranch_execz .LBB13_104
; %bb.103:
	v_add_f32_e32 v9, 0x43f9c815, v8
	v_fmaak_f32 v9, v2, v9, 0x4829b65a
	v_fmaak_f32 v9, v2, v9, 0x4c38c9a1
	;; [unrolled: 1-line block ×3, first 2 shown]
	s_mov_b32 s12, 0xcf8ee29d
	v_mul_f32_e32 v9, v2, v9
	s_mov_b32 s13, 0x53f5f59c
	v_pk_add_f32 v[26:27], v[8:9], s[12:13]
	s_mov_b32 s12, 0x53e3ba8e
	s_mov_b32 s13, 0x578d3514
	v_pk_fma_f32 v[26:27], v[2:3], v[26:27], s[12:13] op_sel_hi:[0,1,1]
	s_mov_b32 s12, 0xd762b0a7
	s_mov_b32 s13, 0x5ae20a0c
	v_pk_fma_f32 v[26:27], v[2:3], v[26:27], s[12:13] op_sel_hi:[0,1,1]
	;; [unrolled: 3-line block ×3, first 2 shown]
	s_mov_b32 s12, 0xc0b90fdc
	s_mov_b32 s13, 0xc1f3c525
	v_pk_add_f32 v[28:29], v[2:3], s[12:13] op_sel_hi:[0,1]
	v_mul_f32_e32 v9, v28, v29
	v_mul_f32_e32 v9, v9, v26
	v_div_scale_f32 v16, s[12:13], v27, v27, v9
	v_rcp_f32_e32 v26, v16
	s_nop 0
	v_fma_f32 v28, -v16, v26, 1.0
	v_fmac_f32_e32 v26, v28, v26
	v_div_scale_f32 v28, vcc, v9, v27, v9
	v_mul_f32_e32 v29, v28, v26
	v_fma_f32 v30, -v16, v29, v28
	v_fmac_f32_e32 v29, v30, v26
	v_fma_f32 v16, -v16, v29, v28
	v_div_fmas_f32 v16, v16, v26, v29
	v_div_fixup_f32 v9, v16, v27, v9
.LBB13_104:
	s_andn2_saveexec_b64 s[2:3], s[2:3]
; %bb.105:
	v_mov_b32_e32 v9, 1.0
	v_fmamk_f32 v9, v2, 0xbe800000, v9
; %bb.106:
	s_or_b64 exec, exec, s[2:3]
	v_add_f32_e32 v16, 0x4673a1bf, v8
	v_fmaak_f32 v16, v2, v16, 0xcb5fc0fa
	v_add_f32_e32 v8, 0x44822913, v8
	v_fmaak_f32 v16, v2, v16, 0x4fa1fbc8
	v_fmaak_f32 v8, v2, v8, 0x4918dbb5
	;; [unrolled: 1-line block ×12, first 2 shown]
	v_div_scale_f32 v16, s[2:3], v8, v8, v2
	v_rcp_f32_e32 v26, v16
	s_mov_b32 s2, 0x800000
	v_cmp_gt_f32_e64 s[2:3], s2, v18
	s_mov_b32 s12, 0x3f317217
	v_fma_f32 v27, -v16, v26, 1.0
	v_fmac_f32_e32 v26, v27, v26
	v_div_scale_f32 v27, vcc, v2, v8, v2
	v_mul_f32_e32 v28, v27, v26
	v_fma_f32 v29, -v16, v28, v27
	v_fmac_f32_e32 v28, v29, v26
	v_fma_f32 v16, -v16, v28, v27
	v_mov_b32_e32 v27, 0x4f800000
	v_cndmask_b32_e64 v27, 1.0, v27, s[2:3]
	v_mul_f32_e32 v18, v18, v27
	v_log_f32_e32 v18, v18
	v_div_fmas_f32 v16, v16, v26, v28
	v_div_fixup_f32 v16, v16, v8, v2
	v_mul_f32_e32 v2, 0x3f317217, v18
	v_fma_f32 v8, v18, s12, -v2
	v_fmamk_f32 v8, v18, 0x3377d1cf, v8
	s_mov_b32 s12, 0x7f800000
	v_add_f32_e32 v2, v2, v8
	v_cmp_lt_f32_e64 vcc, |v18|, s12
	v_mov_b32_e32 v8, 0x41b17218
	v_cndmask_b32_e64 v8, 0, v8, s[2:3]
	v_cndmask_b32_e32 v2, v18, v2, vcc
	v_sub_f32_e32 v2, v2, v8
	v_mul_f32_e32 v2, 0x3f22f983, v2
	v_fmac_f32_e32 v16, v2, v9
.LBB13_107:
	s_or_b64 exec, exec, s[10:11]
.LBB13_108:
	s_or_b64 exec, exec, s[6:7]
                                        ; implicit-def: $vgpr18
.LBB13_109:
	s_andn2_saveexec_b64 s[10:11], s[4:5]
	s_cbranch_execz .LBB13_119
; %bb.110:
	v_add_f32_e32 v2, 0xbf490fdb, v18
	v_and_b32_e32 v8, 0x7fffffff, v2
	s_brev_b32 s2, 18
	v_cmp_nlt_f32_e64 s[12:13], |v2|, s2
	v_lshrrev_b32_e32 v28, 23, v8
                                        ; implicit-def: $vgpr9
                                        ; implicit-def: $vgpr16
	s_and_saveexec_b64 s[2:3], s[12:13]
	s_xor_b64 s[14:15], exec, s[2:3]
	s_cbranch_execz .LBB13_112
; %bb.111:
	v_add_u32_e32 v9, 0xffffff88, v28
	v_not_b32_e32 v16, 63
	v_cmp_lt_u32_e32 vcc, 63, v9
	s_mov_b32 s6, 0xfe5163ab
	v_mov_b32_e32 v27, 0
	v_cndmask_b32_e32 v16, 0, v16, vcc
	v_add_u32_e32 v9, v16, v9
	v_not_b32_e32 v16, 31
	v_cmp_lt_u32_e64 s[2:3], 31, v9
	s_nop 1
	v_cndmask_b32_e64 v26, 0, v16, s[2:3]
	v_add_u32_e32 v9, v26, v9
	v_cmp_lt_u32_e64 s[4:5], 31, v9
	s_nop 1
	v_cndmask_b32_e64 v16, 0, v16, s[4:5]
	v_add_u32_e32 v9, v16, v9
	v_and_b32_e32 v16, 0x7fffff, v8
	v_or_b32_e32 v16, 0x800000, v16
	v_mad_u64_u32 v[30:31], s[6:7], v16, s6, 0
	v_mov_b32_e32 v26, v31
	s_mov_b32 s6, 0x3c439041
	v_mad_u64_u32 v[32:33], s[6:7], v16, s6, v[26:27]
	v_mov_b32_e32 v26, v33
	s_mov_b32 s6, 0xdb629599
	;; [unrolled: 3-line block ×6, first 2 shown]
	v_mad_u64_u32 v[26:27], s[6:7], v16, s6, v[26:27]
	v_cndmask_b32_e32 v29, v48, v36, vcc
	v_cndmask_b32_e32 v16, v26, v38, vcc
	;; [unrolled: 1-line block ×3, first 2 shown]
	v_cndmask_b32_e64 v26, v16, v29, s[2:3]
	v_cndmask_b32_e64 v16, v27, v16, s[2:3]
	v_cndmask_b32_e32 v27, v38, v34, vcc
	v_cndmask_b32_e64 v29, v29, v27, s[2:3]
	v_cndmask_b32_e64 v16, v16, v26, s[4:5]
	;; [unrolled: 1-line block ×3, first 2 shown]
	v_sub_u32_e32 v31, 32, v9
	v_alignbit_b32 v33, v16, v26, v31
	v_cmp_eq_u32_e64 s[6:7], 0, v9
	v_cndmask_b32_e32 v30, v34, v30, vcc
	s_nop 0
	v_cndmask_b32_e64 v9, v33, v16, s[6:7]
	v_cndmask_b32_e32 v16, v36, v32, vcc
	v_cndmask_b32_e64 v27, v27, v16, s[2:3]
	v_cndmask_b32_e64 v29, v29, v27, s[4:5]
	v_alignbit_b32 v32, v26, v29, v31
	v_cndmask_b32_e64 v26, v32, v26, s[6:7]
	v_bfe_u32 v35, v9, 29, 1
	v_cndmask_b32_e64 v16, v16, v30, s[2:3]
	v_alignbit_b32 v32, v9, v26, 30
	v_sub_u32_e32 v36, 0, v35
	v_cndmask_b32_e64 v16, v27, v16, s[4:5]
	v_xor_b32_e32 v37, v32, v36
	v_alignbit_b32 v27, v29, v16, v31
	v_cndmask_b32_e64 v27, v27, v29, s[6:7]
	v_ffbh_u32_e32 v29, v37
	v_add_u32_e32 v29, 1, v29
	v_cmp_ne_u32_e32 vcc, v32, v36
	v_alignbit_b32 v26, v26, v27, 30
	v_alignbit_b32 v16, v27, v16, 30
	v_cndmask_b32_e32 v29, 33, v29, vcc
	v_xor_b32_e32 v26, v26, v36
	v_sub_u32_e32 v30, 32, v29
	v_xor_b32_e32 v16, v16, v36
	v_alignbit_b32 v31, v37, v26, v30
	v_alignbit_b32 v16, v26, v16, v30
	;; [unrolled: 1-line block ×3, first 2 shown]
	v_ffbh_u32_e32 v27, v26
	v_min_u32_e32 v27, 32, v27
	v_lshrrev_b32_e32 v33, 29, v9
	v_sub_u32_e32 v30, 31, v27
	v_alignbit_b32 v16, v26, v16, v30
	v_lshlrev_b32_e32 v26, 31, v33
	v_or_b32_e32 v30, 0x33800000, v26
	v_add_lshl_u32 v27, v27, v29, 23
	v_lshrrev_b32_e32 v16, 9, v16
	v_sub_u32_e32 v27, v30, v27
	v_or_b32_e32 v16, v27, v16
	v_alignbit_b32 v27, v29, v31, 9
	v_or_b32_e32 v26, v27, v26
	v_xor_b32_e32 v26, 1.0, v26
	s_mov_b32 s2, 0x3fc90fda
	v_mul_f32_e32 v27, 0x3fc90fda, v26
	v_fma_f32 v29, v26, s2, -v27
	v_fmamk_f32 v26, v26, 0x33a22168, v29
	v_fmac_f32_e32 v26, 0x3fc90fda, v16
	v_lshrrev_b32_e32 v9, 30, v9
	v_add_f32_e32 v16, v27, v26
	v_add_u32_e32 v9, v35, v9
	s_andn2_saveexec_b64 s[2:3], s[14:15]
	s_branch .LBB13_113
.LBB13_112:
	s_andn2_saveexec_b64 s[2:3], s[14:15]
.LBB13_113:
	s_mov_b32 s4, 0x3f22f983
	v_mul_f32_e64 v9, |v2|, s4
	v_rndne_f32_e32 v16, v9
	s_mov_b32 s4, 0xbfc90fda
	v_cvt_i32_f32_e32 v9, v16
	v_fma_f32 v26, v16, s4, |v2|
	v_fmamk_f32 v26, v16, 0xb3a22168, v26
	v_fmamk_f32 v16, v16, 0xa7c234c4, v26
; %bb.114:
	s_or_b64 exec, exec, s[2:3]
                                        ; implicit-def: $vgpr26
                                        ; implicit-def: $vgpr27
	s_and_saveexec_b64 s[2:3], s[12:13]
	s_xor_b64 s[12:13], exec, s[2:3]
	s_cbranch_execz .LBB13_116
; %bb.115:
	v_add_u32_e32 v26, 0xffffff88, v28
	v_not_b32_e32 v28, 63
	v_cmp_lt_u32_e32 vcc, 63, v26
	s_mov_b32 s6, 0xfe5163ab
	v_mov_b32_e32 v27, 0
	v_cndmask_b32_e32 v28, 0, v28, vcc
	v_add_u32_e32 v26, v28, v26
	v_not_b32_e32 v28, 31
	v_cmp_lt_u32_e64 s[2:3], 31, v26
	s_nop 1
	v_cndmask_b32_e64 v29, 0, v28, s[2:3]
	v_add_u32_e32 v26, v29, v26
	v_cmp_lt_u32_e64 s[4:5], 31, v26
	s_nop 1
	v_cndmask_b32_e64 v28, 0, v28, s[4:5]
	v_add_u32_e32 v48, v28, v26
	v_and_b32_e32 v26, 0x7fffff, v8
	v_or_b32_e32 v49, 0x800000, v26
	v_mad_u64_u32 v[28:29], s[6:7], v49, s6, 0
	v_mov_b32_e32 v26, v29
	s_mov_b32 s6, 0x3c439041
	v_mad_u64_u32 v[30:31], s[6:7], v49, s6, v[26:27]
	v_mov_b32_e32 v26, v31
	s_mov_b32 s6, 0xdb629599
	;; [unrolled: 3-line block ×6, first 2 shown]
	v_mad_u64_u32 v[26:27], s[6:7], v49, s6, v[26:27]
	v_cndmask_b32_e32 v29, v38, v34, vcc
	v_cndmask_b32_e32 v26, v26, v36, vcc
	;; [unrolled: 1-line block ×3, first 2 shown]
	v_cndmask_b32_e64 v31, v26, v29, s[2:3]
	v_cndmask_b32_e64 v26, v27, v26, s[2:3]
	v_cndmask_b32_e32 v27, v36, v32, vcc
	v_cndmask_b32_e64 v29, v29, v27, s[2:3]
	v_cndmask_b32_e32 v30, v34, v30, vcc
	v_cndmask_b32_e64 v26, v26, v31, s[4:5]
	v_cndmask_b32_e64 v31, v31, v29, s[4:5]
	v_sub_u32_e32 v33, 32, v48
	v_cndmask_b32_e64 v27, v27, v30, s[2:3]
	v_alignbit_b32 v35, v26, v31, v33
	v_cmp_eq_u32_e64 s[6:7], 0, v48
	v_cndmask_b32_e64 v29, v29, v27, s[4:5]
	v_alignbit_b32 v34, v31, v29, v33
	v_cndmask_b32_e64 v26, v35, v26, s[6:7]
	v_cndmask_b32_e64 v31, v34, v31, s[6:7]
	v_bfe_u32 v36, v26, 29, 1
	v_cndmask_b32_e32 v28, v32, v28, vcc
	v_alignbit_b32 v34, v26, v31, 30
	v_sub_u32_e32 v37, 0, v36
	v_cndmask_b32_e64 v28, v30, v28, s[2:3]
	v_xor_b32_e32 v38, v34, v37
	v_cndmask_b32_e64 v27, v27, v28, s[4:5]
	v_alignbit_b32 v28, v29, v27, v33
	v_ffbh_u32_e32 v30, v38
	v_cndmask_b32_e64 v28, v28, v29, s[6:7]
	v_add_u32_e32 v30, 1, v30
	v_cmp_ne_u32_e32 vcc, v34, v37
	v_alignbit_b32 v29, v31, v28, 30
	v_alignbit_b32 v27, v28, v27, 30
	v_cndmask_b32_e32 v30, 33, v30, vcc
	v_xor_b32_e32 v29, v29, v37
	v_sub_u32_e32 v31, 32, v30
	v_xor_b32_e32 v27, v27, v37
	v_alignbit_b32 v32, v38, v29, v31
	v_alignbit_b32 v27, v29, v27, v31
	v_alignbit_b32 v28, v32, v27, 9
	v_ffbh_u32_e32 v29, v28
	v_min_u32_e32 v29, 32, v29
	v_lshrrev_b32_e32 v35, 29, v26
	v_sub_u32_e32 v31, 31, v29
	v_alignbit_b32 v27, v28, v27, v31
	v_lshlrev_b32_e32 v28, 31, v35
	v_or_b32_e32 v31, 0x33800000, v28
	v_add_lshl_u32 v29, v29, v30, 23
	v_lshrrev_b32_e32 v27, 9, v27
	v_sub_u32_e32 v29, v31, v29
	v_or_b32_e32 v27, v29, v27
	v_alignbit_b32 v29, v30, v32, 9
	v_or_b32_e32 v28, v29, v28
	v_xor_b32_e32 v28, 1.0, v28
	s_mov_b32 s2, 0x3fc90fda
	v_mul_f32_e32 v29, 0x3fc90fda, v28
	v_fma_f32 v30, v28, s2, -v29
	v_fmamk_f32 v28, v28, 0x33a22168, v30
	v_fmac_f32_e32 v28, 0x3fc90fda, v27
	v_lshrrev_b32_e32 v26, 30, v26
	v_add_f32_e32 v27, v29, v28
	v_add_u32_e32 v26, v36, v26
	s_andn2_saveexec_b64 s[2:3], s[12:13]
	s_cbranch_execnz .LBB13_117
	s_branch .LBB13_118
.LBB13_116:
	s_andn2_saveexec_b64 s[2:3], s[12:13]
.LBB13_117:
	s_mov_b32 s4, 0x3f22f983
	v_mul_f32_e64 v26, |v2|, s4
	v_rndne_f32_e32 v27, v26
	s_mov_b32 s4, 0xbfc90fda
	v_cvt_i32_f32_e32 v26, v27
	v_fma_f32 v28, v27, s4, |v2|
	v_fmamk_f32 v28, v27, 0xb3a22168, v28
	v_fmamk_f32 v27, v27, 0xa7c234c4, v28
.LBB13_118:
	s_or_b64 exec, exec, s[2:3]
	v_mul_f32_e32 v28, v18, v18
	s_mov_b32 s4, 0x41c80000
	v_div_scale_f32 v29, s[2:3], v28, v28, s4
	v_rcp_f32_e32 v30, v29
	v_xor_b32_e32 v8, v8, v2
	s_mov_b32 s6, 0x40a00000
	v_mov_b32_e32 v37, 0xbf000004
	v_fma_f32 v31, -v29, v30, 1.0
	v_fmac_f32_e32 v30, v31, v30
	v_div_scale_f32 v31, vcc, s4, v28, s4
	v_mul_f32_e32 v32, v31, v30
	v_fma_f32 v33, -v29, v32, v31
	v_fmac_f32_e32 v32, v33, v30
	v_fma_f32 v29, -v29, v32, v31
	v_div_fmas_f32 v29, v29, v30, v32
	v_div_fixup_f32 v28, v29, v28, s4
	v_mov_b32_e32 v29, 0x3a50e985
	v_mov_b32_e32 v30, 0x3a725406
	v_fmac_f32_e32 v29, 0, v28
	v_fmac_f32_e32 v30, 0, v28
	v_fmaak_f32 v29, v28, v29, 0x3da9a586
	v_fmaak_f32 v30, v28, v30, 0x3daf5e2d
	;; [unrolled: 1-line block ×8, first 2 shown]
	v_mov_b32_e32 v31, 0xbc3a3a12
	v_fmaak_f32 v29, v28, v29, 0x40a9b425
	v_fmaak_f32 v30, v28, v30, 0x40a9cb2f
	v_fmac_f32_e32 v31, 0, v28
	v_mov_b32_e32 v32, 0x4280a2ba
	v_fma_f32 v30, v28, v30, 1.0
	v_fmaak_f32 v31, v28, v31, 0xbfa429da
	v_fmac_f32_e32 v32, 0, v28
	v_fma_f32 v29, v28, v29, 1.0
	v_fmaak_f32 v31, v28, v31, 0xc19c6e80
	v_fmaak_f32 v32, v28, v32, 0x44561b86
	v_div_scale_f32 v33, s[2:3], v30, v30, v29
	v_fmaak_f32 v31, v28, v31, 0xc2ba697b
	v_fmaak_f32 v32, v28, v32, 0x4572a66e
	v_rcp_f32_e32 v34, v33
	v_fmaak_f32 v31, v28, v31, 0xc331ae61
	v_fmaak_f32 v32, v28, v32, 0x45e243be
	;; [unrolled: 1-line block ×8, first 2 shown]
	v_fma_f32 v32, -v33, v34, 1.0
	v_fmac_f32_e32 v34, v32, v34
	v_div_scale_f32 v32, vcc, v29, v30, v29
	v_mul_f32_e32 v35, v32, v34
	v_fma_f32 v36, -v33, v35, v32
	v_fmac_f32_e32 v35, v36, v34
	v_fma_f32 v32, -v33, v35, v32
	v_div_fmas_f32 v32, v32, v34, v35
	v_div_fixup_f32 v29, v32, v30, v29
	v_mul_f32_e32 v30, v16, v16
	v_mov_b32_e32 v32, 0x3c0881c4
	v_fmamk_f32 v33, v30, 0xb94c1982, v32
	v_fmaak_f32 v33, v30, v33, 0xbe2aaa9d
	v_mul_f32_e32 v33, v30, v33
	v_fmac_f32_e32 v16, v16, v33
	v_mov_b32_e32 v33, 0xbab64f3b
	v_fmamk_f32 v35, v30, 0x37d75334, v33
	v_fmaak_f32 v35, v30, v35, 0x3d2aabf7
	v_fmaak_f32 v35, v30, v35, 0xbf000004
	v_fma_f32 v30, v30, v35, 1.0
	v_and_b32_e32 v35, 1, v9
	v_lshlrev_b32_e32 v9, 30, v9
	v_cmp_eq_u32_e32 vcc, 0, v35
	v_and_b32_e32 v9, 0x80000000, v9
	v_xor_b32_e32 v8, v8, v9
	v_cndmask_b32_e32 v16, v30, v16, vcc
	v_div_scale_f32 v9, s[2:3], v18, v18, s6
	v_xor_b32_e32 v8, v8, v16
	v_rcp_f32_e32 v16, v9
	s_movk_i32 s4, 0x1f8
	v_mov_b32_e32 v30, 0x7fc00000
	v_cmp_class_f32_e64 s[2:3], v2, s4
	v_mov_b32_e32 v34, 0xbe2aaa9d
	v_mov_b32_e32 v36, 0x3d2aabf7
	v_cndmask_b32_e64 v2, v30, v8, s[2:3]
	v_fma_f32 v8, -v9, v16, 1.0
	v_fmac_f32_e32 v16, v8, v16
	v_div_scale_f32 v8, vcc, s6, v18, s6
	v_mul_f32_e32 v35, v8, v16
	v_fma_f32 v38, -v9, v35, v8
	v_fmac_f32_e32 v35, v38, v16
	v_fma_f32 v8, -v9, v35, v8
	v_div_scale_f32 v9, s[4:5], v28, v28, v31
	v_rcp_f32_e32 v38, v9
	v_div_fmas_f32 v8, v8, v16, v35
	v_div_fixup_f32 v8, v8, v18, s6
	v_fma_f32 v16, -v9, v38, 1.0
	v_fmac_f32_e32 v38, v16, v38
	v_div_scale_f32 v16, vcc, v31, v28, v31
	v_mul_f32_e32 v35, v16, v38
	v_fma_f32 v39, -v9, v35, v16
	v_fmac_f32_e32 v35, v39, v38
	v_fma_f32 v9, -v9, v35, v16
	v_div_fmas_f32 v9, v9, v38, v35
	v_div_fixup_f32 v9, v9, v28, v31
	v_mul_f32_e32 v8, v8, v9
	v_mul_f32_e32 v9, v27, v27
	v_fmac_f32_e32 v32, 0xb94c1982, v9
	v_fmac_f32_e32 v34, v9, v32
	;; [unrolled: 1-line block ×3, first 2 shown]
	v_mul_f32_e32 v16, v9, v34
	v_fmac_f32_e32 v36, v9, v33
	v_fmac_f32_e32 v27, v27, v16
	v_fmac_f32_e32 v37, v9, v36
	v_and_b32_e32 v16, 1, v26
	v_fma_f32 v9, v9, v37, 1.0
	v_cmp_eq_u32_e32 vcc, 0, v16
	v_lshlrev_b32_e32 v16, 30, v26
	v_and_b32_e32 v16, 0x80000000, v16
	v_cndmask_b32_e64 v9, -v27, v9, vcc
	v_xor_b32_e32 v9, v16, v9
	v_cndmask_b32_e64 v9, v30, v9, s[2:3]
	s_mov_b32 s2, 0xf800000
	v_mul_f32_e32 v16, 0x4f800000, v18
	v_cmp_gt_f32_e32 vcc, s2, v18
	v_mul_f32_e32 v8, v8, v9
	v_fmac_f32_e32 v8, v29, v2
	v_cndmask_b32_e32 v16, v18, v16, vcc
	v_sqrt_f32_e32 v18, v16
	v_mul_f32_e32 v2, 0x3f4c422a, v8
	v_add_u32_e32 v8, -1, v18
	v_fma_f32 v9, -v8, v18, v16
	v_cmp_ge_f32_e64 s[2:3], 0, v9
	v_add_u32_e32 v9, 1, v18
	s_nop 0
	v_cndmask_b32_e64 v8, v18, v8, s[2:3]
	v_fma_f32 v18, -v9, v18, v16
	v_cmp_lt_f32_e64 s[2:3], 0, v18
	s_nop 1
	v_cndmask_b32_e64 v8, v8, v9, s[2:3]
	v_mul_f32_e32 v9, 0x37800000, v8
	v_cndmask_b32_e32 v8, v8, v9, vcc
	v_mov_b32_e32 v9, 0x260
	v_cmp_class_f32_e32 vcc, v16, v9
	s_nop 1
	v_cndmask_b32_e32 v8, v8, v16, vcc
	v_div_scale_f32 v9, s[2:3], v8, v8, v2
	v_rcp_f32_e32 v16, v9
	s_nop 0
	v_fma_f32 v18, -v9, v16, 1.0
	v_fmac_f32_e32 v16, v18, v16
	v_div_scale_f32 v18, vcc, v2, v8, v2
	v_mul_f32_e32 v26, v18, v16
	v_fma_f32 v27, -v9, v26, v18
	v_fmac_f32_e32 v26, v27, v16
	v_fma_f32 v9, -v9, v26, v18
	v_div_fmas_f32 v9, v9, v16, v26
	v_div_fixup_f32 v16, v9, v8, v2
.LBB13_119:
	s_or_b64 exec, exec, s[10:11]
.LBB13_120:
	s_or_b64 exec, exec, s[8:9]
	v_or_b32_e32 v2, 0x400, v5
	v_cmp_lt_i32_e32 vcc, v2, v4
                                        ; implicit-def: $vgpr18
	s_and_saveexec_b64 s[8:9], vcc
	s_cbranch_execz .LBB13_142
; %bb.121:
	s_mov_b32 s2, 0x40a00000
	v_cmp_ge_f32_e32 vcc, s2, v20
                                        ; implicit-def: $vgpr18
	s_and_saveexec_b64 s[2:3], vcc
	s_xor_b64 s[4:5], exec, s[2:3]
	s_cbranch_execz .LBB13_131
; %bb.122:
	v_cmp_neq_f32_e32 vcc, 0, v20
	v_mov_b32_e32 v18, 0xff800000
	s_and_saveexec_b64 s[6:7], vcc
	s_cbranch_execz .LBB13_130
; %bb.123:
	v_cmp_ngt_f32_e32 vcc, 0, v20
	v_mov_b32_e32 v18, 0x7fc00000
	s_and_saveexec_b64 s[10:11], vcc
	s_cbranch_execz .LBB13_129
; %bb.124:
	v_mul_f32_e32 v2, v20, v20
	s_mov_b32 s2, 0x3727c5ac
	v_mul_f32_e32 v8, 0, v2
	v_cmp_ngt_f32_e32 vcc, s2, v20
                                        ; implicit-def: $vgpr9
	s_and_saveexec_b64 s[2:3], vcc
	s_xor_b64 s[2:3], exec, s[2:3]
	s_cbranch_execz .LBB13_126
; %bb.125:
	v_add_f32_e32 v9, 0x43f9c815, v8
	v_fmaak_f32 v9, v2, v9, 0x4829b65a
	v_fmaak_f32 v9, v2, v9, 0x4c38c9a1
	;; [unrolled: 1-line block ×3, first 2 shown]
	s_mov_b32 s12, 0xcf8ee29d
	v_mul_f32_e32 v9, v2, v9
	s_mov_b32 s13, 0x53f5f59c
	v_pk_add_f32 v[26:27], v[8:9], s[12:13]
	s_mov_b32 s12, 0x53e3ba8e
	s_mov_b32 s13, 0x578d3514
	v_pk_fma_f32 v[26:27], v[2:3], v[26:27], s[12:13] op_sel_hi:[0,1,1]
	s_mov_b32 s12, 0xd762b0a7
	s_mov_b32 s13, 0x5ae20a0c
	v_pk_fma_f32 v[26:27], v[2:3], v[26:27], s[12:13] op_sel_hi:[0,1,1]
	;; [unrolled: 3-line block ×3, first 2 shown]
	s_mov_b32 s12, 0xc0b90fdc
	s_mov_b32 s13, 0xc1f3c525
	v_pk_add_f32 v[28:29], v[2:3], s[12:13] op_sel_hi:[0,1]
	v_mul_f32_e32 v9, v28, v29
	v_mul_f32_e32 v9, v9, v26
	v_div_scale_f32 v18, s[12:13], v27, v27, v9
	v_rcp_f32_e32 v26, v18
	s_nop 0
	v_fma_f32 v28, -v18, v26, 1.0
	v_fmac_f32_e32 v26, v28, v26
	v_div_scale_f32 v28, vcc, v9, v27, v9
	v_mul_f32_e32 v29, v28, v26
	v_fma_f32 v30, -v18, v29, v28
	v_fmac_f32_e32 v29, v30, v26
	v_fma_f32 v18, -v18, v29, v28
	v_div_fmas_f32 v18, v18, v26, v29
	v_div_fixup_f32 v9, v18, v27, v9
.LBB13_126:
	s_andn2_saveexec_b64 s[2:3], s[2:3]
; %bb.127:
	v_mov_b32_e32 v9, 1.0
	v_fmamk_f32 v9, v2, 0xbe800000, v9
; %bb.128:
	s_or_b64 exec, exec, s[2:3]
	v_add_f32_e32 v18, 0x4673a1bf, v8
	v_fmaak_f32 v18, v2, v18, 0xcb5fc0fa
	v_add_f32_e32 v8, 0x44822913, v8
	v_fmaak_f32 v18, v2, v18, 0x4fa1fbc8
	v_fmaak_f32 v8, v2, v8, 0x4918dbb5
	;; [unrolled: 1-line block ×12, first 2 shown]
	v_div_scale_f32 v18, s[2:3], v8, v8, v2
	v_rcp_f32_e32 v26, v18
	s_mov_b32 s2, 0x800000
	v_cmp_gt_f32_e64 s[2:3], s2, v20
	s_mov_b32 s12, 0x3f317217
	v_fma_f32 v27, -v18, v26, 1.0
	v_fmac_f32_e32 v26, v27, v26
	v_div_scale_f32 v27, vcc, v2, v8, v2
	v_mul_f32_e32 v28, v27, v26
	v_fma_f32 v29, -v18, v28, v27
	v_fmac_f32_e32 v28, v29, v26
	v_fma_f32 v18, -v18, v28, v27
	v_mov_b32_e32 v27, 0x4f800000
	v_cndmask_b32_e64 v27, 1.0, v27, s[2:3]
	v_mul_f32_e32 v20, v20, v27
	v_log_f32_e32 v20, v20
	v_div_fmas_f32 v18, v18, v26, v28
	v_div_fixup_f32 v18, v18, v8, v2
	v_mul_f32_e32 v2, 0x3f317217, v20
	v_fma_f32 v8, v20, s12, -v2
	v_fmamk_f32 v8, v20, 0x3377d1cf, v8
	s_mov_b32 s12, 0x7f800000
	v_add_f32_e32 v2, v2, v8
	v_cmp_lt_f32_e64 vcc, |v20|, s12
	v_mov_b32_e32 v8, 0x41b17218
	v_cndmask_b32_e64 v8, 0, v8, s[2:3]
	v_cndmask_b32_e32 v2, v20, v2, vcc
	v_sub_f32_e32 v2, v2, v8
	v_mul_f32_e32 v2, 0x3f22f983, v2
	v_fmac_f32_e32 v18, v2, v9
.LBB13_129:
	s_or_b64 exec, exec, s[10:11]
.LBB13_130:
	s_or_b64 exec, exec, s[6:7]
                                        ; implicit-def: $vgpr20
.LBB13_131:
	s_andn2_saveexec_b64 s[10:11], s[4:5]
	s_cbranch_execz .LBB13_141
; %bb.132:
	v_add_f32_e32 v2, 0xbf490fdb, v20
	v_and_b32_e32 v8, 0x7fffffff, v2
	s_brev_b32 s2, 18
	v_cmp_nlt_f32_e64 s[12:13], |v2|, s2
	v_lshrrev_b32_e32 v28, 23, v8
                                        ; implicit-def: $vgpr9
                                        ; implicit-def: $vgpr18
	s_and_saveexec_b64 s[2:3], s[12:13]
	s_xor_b64 s[14:15], exec, s[2:3]
	s_cbranch_execz .LBB13_134
; %bb.133:
	v_add_u32_e32 v9, 0xffffff88, v28
	v_not_b32_e32 v18, 63
	v_cmp_lt_u32_e32 vcc, 63, v9
	s_mov_b32 s6, 0xfe5163ab
	v_mov_b32_e32 v27, 0
	v_cndmask_b32_e32 v18, 0, v18, vcc
	v_add_u32_e32 v9, v18, v9
	v_not_b32_e32 v18, 31
	v_cmp_lt_u32_e64 s[2:3], 31, v9
	s_nop 1
	v_cndmask_b32_e64 v26, 0, v18, s[2:3]
	v_add_u32_e32 v9, v26, v9
	v_cmp_lt_u32_e64 s[4:5], 31, v9
	s_nop 1
	v_cndmask_b32_e64 v18, 0, v18, s[4:5]
	v_add_u32_e32 v9, v18, v9
	v_and_b32_e32 v18, 0x7fffff, v8
	v_or_b32_e32 v18, 0x800000, v18
	v_mad_u64_u32 v[30:31], s[6:7], v18, s6, 0
	v_mov_b32_e32 v26, v31
	s_mov_b32 s6, 0x3c439041
	v_mad_u64_u32 v[32:33], s[6:7], v18, s6, v[26:27]
	v_mov_b32_e32 v26, v33
	s_mov_b32 s6, 0xdb629599
	v_mad_u64_u32 v[34:35], s[6:7], v18, s6, v[26:27]
	v_mov_b32_e32 v26, v35
	s_mov_b32 s6, 0xf534ddc0
	v_mad_u64_u32 v[36:37], s[6:7], v18, s6, v[26:27]
	v_mov_b32_e32 v26, v37
	s_mov_b32 s6, 0xfc2757d1
	v_mad_u64_u32 v[38:39], s[6:7], v18, s6, v[26:27]
	v_mov_b32_e32 v26, v39
	s_mov_b32 s6, 0x4e441529
	v_mad_u64_u32 v[48:49], s[6:7], v18, s6, v[26:27]
	v_mov_b32_e32 v26, v49
	s_mov_b32 s6, 0xa2f9836e
	v_mad_u64_u32 v[26:27], s[6:7], v18, s6, v[26:27]
	v_cndmask_b32_e32 v29, v48, v36, vcc
	v_cndmask_b32_e32 v18, v26, v38, vcc
	;; [unrolled: 1-line block ×3, first 2 shown]
	v_cndmask_b32_e64 v26, v18, v29, s[2:3]
	v_cndmask_b32_e64 v18, v27, v18, s[2:3]
	v_cndmask_b32_e32 v27, v38, v34, vcc
	v_cndmask_b32_e64 v29, v29, v27, s[2:3]
	v_cndmask_b32_e64 v18, v18, v26, s[4:5]
	;; [unrolled: 1-line block ×3, first 2 shown]
	v_sub_u32_e32 v31, 32, v9
	v_alignbit_b32 v33, v18, v26, v31
	v_cmp_eq_u32_e64 s[6:7], 0, v9
	v_cndmask_b32_e32 v30, v34, v30, vcc
	s_nop 0
	v_cndmask_b32_e64 v9, v33, v18, s[6:7]
	v_cndmask_b32_e32 v18, v36, v32, vcc
	v_cndmask_b32_e64 v27, v27, v18, s[2:3]
	v_cndmask_b32_e64 v29, v29, v27, s[4:5]
	v_alignbit_b32 v32, v26, v29, v31
	v_cndmask_b32_e64 v26, v32, v26, s[6:7]
	v_bfe_u32 v35, v9, 29, 1
	v_cndmask_b32_e64 v18, v18, v30, s[2:3]
	v_alignbit_b32 v32, v9, v26, 30
	v_sub_u32_e32 v36, 0, v35
	v_cndmask_b32_e64 v18, v27, v18, s[4:5]
	v_xor_b32_e32 v37, v32, v36
	v_alignbit_b32 v27, v29, v18, v31
	v_cndmask_b32_e64 v27, v27, v29, s[6:7]
	v_ffbh_u32_e32 v29, v37
	v_add_u32_e32 v29, 1, v29
	v_cmp_ne_u32_e32 vcc, v32, v36
	v_alignbit_b32 v26, v26, v27, 30
	v_alignbit_b32 v18, v27, v18, 30
	v_cndmask_b32_e32 v29, 33, v29, vcc
	v_xor_b32_e32 v26, v26, v36
	v_sub_u32_e32 v30, 32, v29
	v_xor_b32_e32 v18, v18, v36
	v_alignbit_b32 v31, v37, v26, v30
	v_alignbit_b32 v18, v26, v18, v30
	;; [unrolled: 1-line block ×3, first 2 shown]
	v_ffbh_u32_e32 v27, v26
	v_min_u32_e32 v27, 32, v27
	v_lshrrev_b32_e32 v33, 29, v9
	v_sub_u32_e32 v30, 31, v27
	v_alignbit_b32 v18, v26, v18, v30
	v_lshlrev_b32_e32 v26, 31, v33
	v_or_b32_e32 v30, 0x33800000, v26
	v_add_lshl_u32 v27, v27, v29, 23
	v_lshrrev_b32_e32 v18, 9, v18
	v_sub_u32_e32 v27, v30, v27
	v_or_b32_e32 v18, v27, v18
	v_alignbit_b32 v27, v29, v31, 9
	v_or_b32_e32 v26, v27, v26
	v_xor_b32_e32 v26, 1.0, v26
	s_mov_b32 s2, 0x3fc90fda
	v_mul_f32_e32 v27, 0x3fc90fda, v26
	v_fma_f32 v29, v26, s2, -v27
	v_fmamk_f32 v26, v26, 0x33a22168, v29
	v_fmac_f32_e32 v26, 0x3fc90fda, v18
	v_lshrrev_b32_e32 v9, 30, v9
	v_add_f32_e32 v18, v27, v26
	v_add_u32_e32 v9, v35, v9
	s_andn2_saveexec_b64 s[2:3], s[14:15]
	s_branch .LBB13_135
.LBB13_134:
	s_andn2_saveexec_b64 s[2:3], s[14:15]
.LBB13_135:
	s_mov_b32 s4, 0x3f22f983
	v_mul_f32_e64 v9, |v2|, s4
	v_rndne_f32_e32 v18, v9
	s_mov_b32 s4, 0xbfc90fda
	v_cvt_i32_f32_e32 v9, v18
	v_fma_f32 v26, v18, s4, |v2|
	v_fmamk_f32 v26, v18, 0xb3a22168, v26
	v_fmamk_f32 v18, v18, 0xa7c234c4, v26
; %bb.136:
	s_or_b64 exec, exec, s[2:3]
                                        ; implicit-def: $vgpr26
                                        ; implicit-def: $vgpr27
	s_and_saveexec_b64 s[2:3], s[12:13]
	s_xor_b64 s[12:13], exec, s[2:3]
	s_cbranch_execz .LBB13_138
; %bb.137:
	v_add_u32_e32 v26, 0xffffff88, v28
	v_not_b32_e32 v28, 63
	v_cmp_lt_u32_e32 vcc, 63, v26
	s_mov_b32 s6, 0xfe5163ab
	v_mov_b32_e32 v27, 0
	v_cndmask_b32_e32 v28, 0, v28, vcc
	v_add_u32_e32 v26, v28, v26
	v_not_b32_e32 v28, 31
	v_cmp_lt_u32_e64 s[2:3], 31, v26
	s_nop 1
	v_cndmask_b32_e64 v29, 0, v28, s[2:3]
	v_add_u32_e32 v26, v29, v26
	v_cmp_lt_u32_e64 s[4:5], 31, v26
	s_nop 1
	v_cndmask_b32_e64 v28, 0, v28, s[4:5]
	v_add_u32_e32 v48, v28, v26
	v_and_b32_e32 v26, 0x7fffff, v8
	v_or_b32_e32 v49, 0x800000, v26
	v_mad_u64_u32 v[28:29], s[6:7], v49, s6, 0
	v_mov_b32_e32 v26, v29
	s_mov_b32 s6, 0x3c439041
	v_mad_u64_u32 v[30:31], s[6:7], v49, s6, v[26:27]
	v_mov_b32_e32 v26, v31
	s_mov_b32 s6, 0xdb629599
	v_mad_u64_u32 v[32:33], s[6:7], v49, s6, v[26:27]
	v_mov_b32_e32 v26, v33
	s_mov_b32 s6, 0xf534ddc0
	v_mad_u64_u32 v[34:35], s[6:7], v49, s6, v[26:27]
	v_mov_b32_e32 v26, v35
	s_mov_b32 s6, 0xfc2757d1
	v_mad_u64_u32 v[36:37], s[6:7], v49, s6, v[26:27]
	v_mov_b32_e32 v26, v37
	s_mov_b32 s6, 0x4e441529
	v_mad_u64_u32 v[38:39], s[6:7], v49, s6, v[26:27]
	v_mov_b32_e32 v26, v39
	s_mov_b32 s6, 0xa2f9836e
	v_mad_u64_u32 v[26:27], s[6:7], v49, s6, v[26:27]
	v_cndmask_b32_e32 v29, v38, v34, vcc
	v_cndmask_b32_e32 v26, v26, v36, vcc
	;; [unrolled: 1-line block ×3, first 2 shown]
	v_cndmask_b32_e64 v31, v26, v29, s[2:3]
	v_cndmask_b32_e64 v26, v27, v26, s[2:3]
	v_cndmask_b32_e32 v27, v36, v32, vcc
	v_cndmask_b32_e64 v29, v29, v27, s[2:3]
	v_cndmask_b32_e32 v30, v34, v30, vcc
	v_cndmask_b32_e64 v26, v26, v31, s[4:5]
	v_cndmask_b32_e64 v31, v31, v29, s[4:5]
	v_sub_u32_e32 v33, 32, v48
	v_cndmask_b32_e64 v27, v27, v30, s[2:3]
	v_alignbit_b32 v35, v26, v31, v33
	v_cmp_eq_u32_e64 s[6:7], 0, v48
	v_cndmask_b32_e64 v29, v29, v27, s[4:5]
	v_alignbit_b32 v34, v31, v29, v33
	v_cndmask_b32_e64 v26, v35, v26, s[6:7]
	v_cndmask_b32_e64 v31, v34, v31, s[6:7]
	v_bfe_u32 v36, v26, 29, 1
	v_cndmask_b32_e32 v28, v32, v28, vcc
	v_alignbit_b32 v34, v26, v31, 30
	v_sub_u32_e32 v37, 0, v36
	v_cndmask_b32_e64 v28, v30, v28, s[2:3]
	v_xor_b32_e32 v38, v34, v37
	v_cndmask_b32_e64 v27, v27, v28, s[4:5]
	v_alignbit_b32 v28, v29, v27, v33
	v_ffbh_u32_e32 v30, v38
	v_cndmask_b32_e64 v28, v28, v29, s[6:7]
	v_add_u32_e32 v30, 1, v30
	v_cmp_ne_u32_e32 vcc, v34, v37
	v_alignbit_b32 v29, v31, v28, 30
	v_alignbit_b32 v27, v28, v27, 30
	v_cndmask_b32_e32 v30, 33, v30, vcc
	v_xor_b32_e32 v29, v29, v37
	v_sub_u32_e32 v31, 32, v30
	v_xor_b32_e32 v27, v27, v37
	v_alignbit_b32 v32, v38, v29, v31
	v_alignbit_b32 v27, v29, v27, v31
	;; [unrolled: 1-line block ×3, first 2 shown]
	v_ffbh_u32_e32 v29, v28
	v_min_u32_e32 v29, 32, v29
	v_lshrrev_b32_e32 v35, 29, v26
	v_sub_u32_e32 v31, 31, v29
	v_alignbit_b32 v27, v28, v27, v31
	v_lshlrev_b32_e32 v28, 31, v35
	v_or_b32_e32 v31, 0x33800000, v28
	v_add_lshl_u32 v29, v29, v30, 23
	v_lshrrev_b32_e32 v27, 9, v27
	v_sub_u32_e32 v29, v31, v29
	v_or_b32_e32 v27, v29, v27
	v_alignbit_b32 v29, v30, v32, 9
	v_or_b32_e32 v28, v29, v28
	v_xor_b32_e32 v28, 1.0, v28
	s_mov_b32 s2, 0x3fc90fda
	v_mul_f32_e32 v29, 0x3fc90fda, v28
	v_fma_f32 v30, v28, s2, -v29
	v_fmamk_f32 v28, v28, 0x33a22168, v30
	v_fmac_f32_e32 v28, 0x3fc90fda, v27
	v_lshrrev_b32_e32 v26, 30, v26
	v_add_f32_e32 v27, v29, v28
	v_add_u32_e32 v26, v36, v26
	s_andn2_saveexec_b64 s[2:3], s[12:13]
	s_cbranch_execnz .LBB13_139
	s_branch .LBB13_140
.LBB13_138:
	s_andn2_saveexec_b64 s[2:3], s[12:13]
.LBB13_139:
	s_mov_b32 s4, 0x3f22f983
	v_mul_f32_e64 v26, |v2|, s4
	v_rndne_f32_e32 v27, v26
	s_mov_b32 s4, 0xbfc90fda
	v_cvt_i32_f32_e32 v26, v27
	v_fma_f32 v28, v27, s4, |v2|
	v_fmamk_f32 v28, v27, 0xb3a22168, v28
	v_fmamk_f32 v27, v27, 0xa7c234c4, v28
.LBB13_140:
	s_or_b64 exec, exec, s[2:3]
	v_mul_f32_e32 v28, v20, v20
	s_mov_b32 s4, 0x41c80000
	v_div_scale_f32 v29, s[2:3], v28, v28, s4
	v_rcp_f32_e32 v30, v29
	v_xor_b32_e32 v8, v8, v2
	s_mov_b32 s6, 0x40a00000
	v_mov_b32_e32 v37, 0xbf000004
	v_fma_f32 v31, -v29, v30, 1.0
	v_fmac_f32_e32 v30, v31, v30
	v_div_scale_f32 v31, vcc, s4, v28, s4
	v_mul_f32_e32 v32, v31, v30
	v_fma_f32 v33, -v29, v32, v31
	v_fmac_f32_e32 v32, v33, v30
	v_fma_f32 v29, -v29, v32, v31
	v_div_fmas_f32 v29, v29, v30, v32
	v_div_fixup_f32 v28, v29, v28, s4
	v_mov_b32_e32 v29, 0x3a50e985
	v_mov_b32_e32 v30, 0x3a725406
	v_fmac_f32_e32 v29, 0, v28
	v_fmac_f32_e32 v30, 0, v28
	v_fmaak_f32 v29, v28, v29, 0x3da9a586
	v_fmaak_f32 v30, v28, v30, 0x3daf5e2d
	;; [unrolled: 1-line block ×8, first 2 shown]
	v_mov_b32_e32 v31, 0xbc3a3a12
	v_fmaak_f32 v29, v28, v29, 0x40a9b425
	v_fmaak_f32 v30, v28, v30, 0x40a9cb2f
	v_fmac_f32_e32 v31, 0, v28
	v_mov_b32_e32 v32, 0x4280a2ba
	v_fma_f32 v30, v28, v30, 1.0
	v_fmaak_f32 v31, v28, v31, 0xbfa429da
	v_fmac_f32_e32 v32, 0, v28
	v_fma_f32 v29, v28, v29, 1.0
	v_fmaak_f32 v31, v28, v31, 0xc19c6e80
	v_fmaak_f32 v32, v28, v32, 0x44561b86
	v_div_scale_f32 v33, s[2:3], v30, v30, v29
	v_fmaak_f32 v31, v28, v31, 0xc2ba697b
	v_fmaak_f32 v32, v28, v32, 0x4572a66e
	v_rcp_f32_e32 v34, v33
	v_fmaak_f32 v31, v28, v31, 0xc331ae61
	v_fmaak_f32 v32, v28, v32, 0x45e243be
	;; [unrolled: 1-line block ×8, first 2 shown]
	v_fma_f32 v32, -v33, v34, 1.0
	v_fmac_f32_e32 v34, v32, v34
	v_div_scale_f32 v32, vcc, v29, v30, v29
	v_mul_f32_e32 v35, v32, v34
	v_fma_f32 v36, -v33, v35, v32
	v_fmac_f32_e32 v35, v36, v34
	v_fma_f32 v32, -v33, v35, v32
	v_div_fmas_f32 v32, v32, v34, v35
	v_div_fixup_f32 v29, v32, v30, v29
	v_mul_f32_e32 v30, v18, v18
	v_mov_b32_e32 v32, 0x3c0881c4
	v_fmamk_f32 v33, v30, 0xb94c1982, v32
	v_fmaak_f32 v33, v30, v33, 0xbe2aaa9d
	v_mul_f32_e32 v33, v30, v33
	v_fmac_f32_e32 v18, v18, v33
	v_mov_b32_e32 v33, 0xbab64f3b
	v_fmamk_f32 v35, v30, 0x37d75334, v33
	v_fmaak_f32 v35, v30, v35, 0x3d2aabf7
	v_fmaak_f32 v35, v30, v35, 0xbf000004
	v_fma_f32 v30, v30, v35, 1.0
	v_and_b32_e32 v35, 1, v9
	v_lshlrev_b32_e32 v9, 30, v9
	v_cmp_eq_u32_e32 vcc, 0, v35
	v_and_b32_e32 v9, 0x80000000, v9
	v_xor_b32_e32 v8, v8, v9
	v_cndmask_b32_e32 v18, v30, v18, vcc
	v_div_scale_f32 v9, s[2:3], v20, v20, s6
	v_xor_b32_e32 v8, v8, v18
	v_rcp_f32_e32 v18, v9
	s_movk_i32 s4, 0x1f8
	v_mov_b32_e32 v30, 0x7fc00000
	v_cmp_class_f32_e64 s[2:3], v2, s4
	v_mov_b32_e32 v34, 0xbe2aaa9d
	v_mov_b32_e32 v36, 0x3d2aabf7
	v_cndmask_b32_e64 v2, v30, v8, s[2:3]
	v_fma_f32 v8, -v9, v18, 1.0
	v_fmac_f32_e32 v18, v8, v18
	v_div_scale_f32 v8, vcc, s6, v20, s6
	v_mul_f32_e32 v35, v8, v18
	v_fma_f32 v38, -v9, v35, v8
	v_fmac_f32_e32 v35, v38, v18
	v_fma_f32 v8, -v9, v35, v8
	v_div_scale_f32 v9, s[4:5], v28, v28, v31
	v_rcp_f32_e32 v38, v9
	v_div_fmas_f32 v8, v8, v18, v35
	v_div_fixup_f32 v8, v8, v20, s6
	v_fma_f32 v18, -v9, v38, 1.0
	v_fmac_f32_e32 v38, v18, v38
	v_div_scale_f32 v18, vcc, v31, v28, v31
	v_mul_f32_e32 v35, v18, v38
	v_fma_f32 v39, -v9, v35, v18
	v_fmac_f32_e32 v35, v39, v38
	v_fma_f32 v9, -v9, v35, v18
	v_div_fmas_f32 v9, v9, v38, v35
	v_div_fixup_f32 v9, v9, v28, v31
	v_mul_f32_e32 v8, v8, v9
	v_mul_f32_e32 v9, v27, v27
	v_fmac_f32_e32 v32, 0xb94c1982, v9
	v_fmac_f32_e32 v34, v9, v32
	;; [unrolled: 1-line block ×3, first 2 shown]
	v_mul_f32_e32 v18, v9, v34
	v_fmac_f32_e32 v36, v9, v33
	v_fmac_f32_e32 v27, v27, v18
	;; [unrolled: 1-line block ×3, first 2 shown]
	v_and_b32_e32 v18, 1, v26
	v_fma_f32 v9, v9, v37, 1.0
	v_cmp_eq_u32_e32 vcc, 0, v18
	v_lshlrev_b32_e32 v18, 30, v26
	v_and_b32_e32 v18, 0x80000000, v18
	v_cndmask_b32_e64 v9, -v27, v9, vcc
	v_xor_b32_e32 v9, v18, v9
	v_cndmask_b32_e64 v9, v30, v9, s[2:3]
	s_mov_b32 s2, 0xf800000
	v_mul_f32_e32 v18, 0x4f800000, v20
	v_cmp_gt_f32_e32 vcc, s2, v20
	v_mul_f32_e32 v8, v8, v9
	v_fmac_f32_e32 v8, v29, v2
	v_cndmask_b32_e32 v18, v20, v18, vcc
	v_sqrt_f32_e32 v20, v18
	v_mul_f32_e32 v2, 0x3f4c422a, v8
	v_add_u32_e32 v8, -1, v20
	v_fma_f32 v9, -v8, v20, v18
	v_cmp_ge_f32_e64 s[2:3], 0, v9
	v_add_u32_e32 v9, 1, v20
	s_nop 0
	v_cndmask_b32_e64 v8, v20, v8, s[2:3]
	v_fma_f32 v20, -v9, v20, v18
	v_cmp_lt_f32_e64 s[2:3], 0, v20
	s_nop 1
	v_cndmask_b32_e64 v8, v8, v9, s[2:3]
	v_mul_f32_e32 v9, 0x37800000, v8
	v_cndmask_b32_e32 v8, v8, v9, vcc
	v_mov_b32_e32 v9, 0x260
	v_cmp_class_f32_e32 vcc, v18, v9
	s_nop 1
	v_cndmask_b32_e32 v8, v8, v18, vcc
	v_div_scale_f32 v9, s[2:3], v8, v8, v2
	v_rcp_f32_e32 v18, v9
	s_nop 0
	v_fma_f32 v20, -v9, v18, 1.0
	v_fmac_f32_e32 v18, v20, v18
	v_div_scale_f32 v20, vcc, v2, v8, v2
	v_mul_f32_e32 v26, v20, v18
	v_fma_f32 v27, -v9, v26, v20
	v_fmac_f32_e32 v26, v27, v18
	v_fma_f32 v9, -v9, v26, v20
	v_div_fmas_f32 v9, v9, v18, v26
	v_div_fixup_f32 v18, v9, v8, v2
.LBB13_141:
	s_or_b64 exec, exec, s[10:11]
.LBB13_142:
	s_or_b64 exec, exec, s[8:9]
	v_add_u32_e32 v2, 0x500, v5
	v_cmp_lt_i32_e32 vcc, v2, v4
                                        ; implicit-def: $vgpr20
	s_and_saveexec_b64 s[8:9], vcc
	s_cbranch_execz .LBB13_164
; %bb.143:
	s_mov_b32 s2, 0x40a00000
	v_cmp_ge_f32_e32 vcc, s2, v22
                                        ; implicit-def: $vgpr20
	s_and_saveexec_b64 s[2:3], vcc
	s_xor_b64 s[4:5], exec, s[2:3]
	s_cbranch_execz .LBB13_153
; %bb.144:
	v_cmp_neq_f32_e32 vcc, 0, v22
	v_mov_b32_e32 v20, 0xff800000
	s_and_saveexec_b64 s[6:7], vcc
	s_cbranch_execz .LBB13_152
; %bb.145:
	v_cmp_ngt_f32_e32 vcc, 0, v22
	v_mov_b32_e32 v20, 0x7fc00000
	s_and_saveexec_b64 s[10:11], vcc
	s_cbranch_execz .LBB13_151
; %bb.146:
	v_mul_f32_e32 v2, v22, v22
	s_mov_b32 s2, 0x3727c5ac
	v_mul_f32_e32 v8, 0, v2
	v_cmp_ngt_f32_e32 vcc, s2, v22
                                        ; implicit-def: $vgpr9
	s_and_saveexec_b64 s[2:3], vcc
	s_xor_b64 s[2:3], exec, s[2:3]
	s_cbranch_execz .LBB13_148
; %bb.147:
	v_add_f32_e32 v9, 0x43f9c815, v8
	v_fmaak_f32 v9, v2, v9, 0x4829b65a
	v_fmaak_f32 v9, v2, v9, 0x4c38c9a1
	;; [unrolled: 1-line block ×3, first 2 shown]
	s_mov_b32 s12, 0xcf8ee29d
	v_mul_f32_e32 v9, v2, v9
	s_mov_b32 s13, 0x53f5f59c
	v_pk_add_f32 v[26:27], v[8:9], s[12:13]
	s_mov_b32 s12, 0x53e3ba8e
	s_mov_b32 s13, 0x578d3514
	v_pk_fma_f32 v[26:27], v[2:3], v[26:27], s[12:13] op_sel_hi:[0,1,1]
	s_mov_b32 s12, 0xd762b0a7
	s_mov_b32 s13, 0x5ae20a0c
	v_pk_fma_f32 v[26:27], v[2:3], v[26:27], s[12:13] op_sel_hi:[0,1,1]
	;; [unrolled: 3-line block ×3, first 2 shown]
	s_mov_b32 s12, 0xc0b90fdc
	s_mov_b32 s13, 0xc1f3c525
	v_pk_add_f32 v[28:29], v[2:3], s[12:13] op_sel_hi:[0,1]
	v_mul_f32_e32 v9, v28, v29
	v_mul_f32_e32 v9, v9, v26
	v_div_scale_f32 v20, s[12:13], v27, v27, v9
	v_rcp_f32_e32 v26, v20
	s_nop 0
	v_fma_f32 v28, -v20, v26, 1.0
	v_fmac_f32_e32 v26, v28, v26
	v_div_scale_f32 v28, vcc, v9, v27, v9
	v_mul_f32_e32 v29, v28, v26
	v_fma_f32 v30, -v20, v29, v28
	v_fmac_f32_e32 v29, v30, v26
	v_fma_f32 v20, -v20, v29, v28
	v_div_fmas_f32 v20, v20, v26, v29
	v_div_fixup_f32 v9, v20, v27, v9
.LBB13_148:
	s_andn2_saveexec_b64 s[2:3], s[2:3]
; %bb.149:
	v_mov_b32_e32 v9, 1.0
	v_fmamk_f32 v9, v2, 0xbe800000, v9
; %bb.150:
	s_or_b64 exec, exec, s[2:3]
	v_add_f32_e32 v20, 0x4673a1bf, v8
	v_fmaak_f32 v20, v2, v20, 0xcb5fc0fa
	v_add_f32_e32 v8, 0x44822913, v8
	v_fmaak_f32 v20, v2, v20, 0x4fa1fbc8
	v_fmaak_f32 v8, v2, v8, 0x4918dbb5
	;; [unrolled: 1-line block ×12, first 2 shown]
	v_div_scale_f32 v20, s[2:3], v8, v8, v2
	v_rcp_f32_e32 v26, v20
	s_mov_b32 s2, 0x800000
	v_cmp_gt_f32_e64 s[2:3], s2, v22
	s_mov_b32 s12, 0x3f317217
	v_fma_f32 v27, -v20, v26, 1.0
	v_fmac_f32_e32 v26, v27, v26
	v_div_scale_f32 v27, vcc, v2, v8, v2
	v_mul_f32_e32 v28, v27, v26
	v_fma_f32 v29, -v20, v28, v27
	v_fmac_f32_e32 v28, v29, v26
	v_fma_f32 v20, -v20, v28, v27
	v_mov_b32_e32 v27, 0x4f800000
	v_cndmask_b32_e64 v27, 1.0, v27, s[2:3]
	v_mul_f32_e32 v22, v22, v27
	v_log_f32_e32 v22, v22
	v_div_fmas_f32 v20, v20, v26, v28
	v_div_fixup_f32 v20, v20, v8, v2
	v_mul_f32_e32 v2, 0x3f317217, v22
	v_fma_f32 v8, v22, s12, -v2
	v_fmamk_f32 v8, v22, 0x3377d1cf, v8
	s_mov_b32 s12, 0x7f800000
	v_add_f32_e32 v2, v2, v8
	v_cmp_lt_f32_e64 vcc, |v22|, s12
	v_mov_b32_e32 v8, 0x41b17218
	v_cndmask_b32_e64 v8, 0, v8, s[2:3]
	v_cndmask_b32_e32 v2, v22, v2, vcc
	v_sub_f32_e32 v2, v2, v8
	v_mul_f32_e32 v2, 0x3f22f983, v2
	v_fmac_f32_e32 v20, v2, v9
.LBB13_151:
	s_or_b64 exec, exec, s[10:11]
.LBB13_152:
	s_or_b64 exec, exec, s[6:7]
                                        ; implicit-def: $vgpr22
.LBB13_153:
	s_andn2_saveexec_b64 s[10:11], s[4:5]
	s_cbranch_execz .LBB13_163
; %bb.154:
	v_add_f32_e32 v2, 0xbf490fdb, v22
	v_and_b32_e32 v8, 0x7fffffff, v2
	s_brev_b32 s2, 18
	v_cmp_nlt_f32_e64 s[12:13], |v2|, s2
	v_lshrrev_b32_e32 v28, 23, v8
                                        ; implicit-def: $vgpr9
                                        ; implicit-def: $vgpr20
	s_and_saveexec_b64 s[2:3], s[12:13]
	s_xor_b64 s[14:15], exec, s[2:3]
	s_cbranch_execz .LBB13_156
; %bb.155:
	v_add_u32_e32 v9, 0xffffff88, v28
	v_not_b32_e32 v20, 63
	v_cmp_lt_u32_e32 vcc, 63, v9
	s_mov_b32 s6, 0xfe5163ab
	v_mov_b32_e32 v27, 0
	v_cndmask_b32_e32 v20, 0, v20, vcc
	v_add_u32_e32 v9, v20, v9
	v_not_b32_e32 v20, 31
	v_cmp_lt_u32_e64 s[2:3], 31, v9
	s_nop 1
	v_cndmask_b32_e64 v26, 0, v20, s[2:3]
	v_add_u32_e32 v9, v26, v9
	v_cmp_lt_u32_e64 s[4:5], 31, v9
	s_nop 1
	v_cndmask_b32_e64 v20, 0, v20, s[4:5]
	v_add_u32_e32 v9, v20, v9
	v_and_b32_e32 v20, 0x7fffff, v8
	v_or_b32_e32 v20, 0x800000, v20
	v_mad_u64_u32 v[30:31], s[6:7], v20, s6, 0
	v_mov_b32_e32 v26, v31
	s_mov_b32 s6, 0x3c439041
	v_mad_u64_u32 v[32:33], s[6:7], v20, s6, v[26:27]
	v_mov_b32_e32 v26, v33
	s_mov_b32 s6, 0xdb629599
	;; [unrolled: 3-line block ×6, first 2 shown]
	v_mad_u64_u32 v[26:27], s[6:7], v20, s6, v[26:27]
	v_cndmask_b32_e32 v29, v48, v36, vcc
	v_cndmask_b32_e32 v20, v26, v38, vcc
	;; [unrolled: 1-line block ×3, first 2 shown]
	v_cndmask_b32_e64 v26, v20, v29, s[2:3]
	v_cndmask_b32_e64 v20, v27, v20, s[2:3]
	v_cndmask_b32_e32 v27, v38, v34, vcc
	v_cndmask_b32_e64 v29, v29, v27, s[2:3]
	v_cndmask_b32_e64 v20, v20, v26, s[4:5]
	;; [unrolled: 1-line block ×3, first 2 shown]
	v_sub_u32_e32 v31, 32, v9
	v_alignbit_b32 v33, v20, v26, v31
	v_cmp_eq_u32_e64 s[6:7], 0, v9
	v_cndmask_b32_e32 v30, v34, v30, vcc
	s_nop 0
	v_cndmask_b32_e64 v9, v33, v20, s[6:7]
	v_cndmask_b32_e32 v20, v36, v32, vcc
	v_cndmask_b32_e64 v27, v27, v20, s[2:3]
	v_cndmask_b32_e64 v29, v29, v27, s[4:5]
	v_alignbit_b32 v32, v26, v29, v31
	v_cndmask_b32_e64 v26, v32, v26, s[6:7]
	v_bfe_u32 v35, v9, 29, 1
	v_cndmask_b32_e64 v20, v20, v30, s[2:3]
	v_alignbit_b32 v32, v9, v26, 30
	v_sub_u32_e32 v36, 0, v35
	v_cndmask_b32_e64 v20, v27, v20, s[4:5]
	v_xor_b32_e32 v37, v32, v36
	v_alignbit_b32 v27, v29, v20, v31
	v_cndmask_b32_e64 v27, v27, v29, s[6:7]
	v_ffbh_u32_e32 v29, v37
	v_add_u32_e32 v29, 1, v29
	v_cmp_ne_u32_e32 vcc, v32, v36
	v_alignbit_b32 v26, v26, v27, 30
	v_alignbit_b32 v20, v27, v20, 30
	v_cndmask_b32_e32 v29, 33, v29, vcc
	v_xor_b32_e32 v26, v26, v36
	v_sub_u32_e32 v30, 32, v29
	v_xor_b32_e32 v20, v20, v36
	v_alignbit_b32 v31, v37, v26, v30
	v_alignbit_b32 v20, v26, v20, v30
	;; [unrolled: 1-line block ×3, first 2 shown]
	v_ffbh_u32_e32 v27, v26
	v_min_u32_e32 v27, 32, v27
	v_lshrrev_b32_e32 v33, 29, v9
	v_sub_u32_e32 v30, 31, v27
	v_alignbit_b32 v20, v26, v20, v30
	v_lshlrev_b32_e32 v26, 31, v33
	v_or_b32_e32 v30, 0x33800000, v26
	v_add_lshl_u32 v27, v27, v29, 23
	v_lshrrev_b32_e32 v20, 9, v20
	v_sub_u32_e32 v27, v30, v27
	v_or_b32_e32 v20, v27, v20
	v_alignbit_b32 v27, v29, v31, 9
	v_or_b32_e32 v26, v27, v26
	v_xor_b32_e32 v26, 1.0, v26
	s_mov_b32 s2, 0x3fc90fda
	v_mul_f32_e32 v27, 0x3fc90fda, v26
	v_fma_f32 v29, v26, s2, -v27
	v_fmamk_f32 v26, v26, 0x33a22168, v29
	v_fmac_f32_e32 v26, 0x3fc90fda, v20
	v_lshrrev_b32_e32 v9, 30, v9
	v_add_f32_e32 v20, v27, v26
	v_add_u32_e32 v9, v35, v9
	s_andn2_saveexec_b64 s[2:3], s[14:15]
	s_branch .LBB13_157
.LBB13_156:
	s_andn2_saveexec_b64 s[2:3], s[14:15]
.LBB13_157:
	s_mov_b32 s4, 0x3f22f983
	v_mul_f32_e64 v9, |v2|, s4
	v_rndne_f32_e32 v20, v9
	s_mov_b32 s4, 0xbfc90fda
	v_cvt_i32_f32_e32 v9, v20
	v_fma_f32 v26, v20, s4, |v2|
	v_fmamk_f32 v26, v20, 0xb3a22168, v26
	v_fmamk_f32 v20, v20, 0xa7c234c4, v26
; %bb.158:
	s_or_b64 exec, exec, s[2:3]
                                        ; implicit-def: $vgpr26
                                        ; implicit-def: $vgpr27
	s_and_saveexec_b64 s[2:3], s[12:13]
	s_xor_b64 s[12:13], exec, s[2:3]
	s_cbranch_execz .LBB13_160
; %bb.159:
	v_add_u32_e32 v26, 0xffffff88, v28
	v_not_b32_e32 v28, 63
	v_cmp_lt_u32_e32 vcc, 63, v26
	s_mov_b32 s6, 0xfe5163ab
	v_mov_b32_e32 v27, 0
	v_cndmask_b32_e32 v28, 0, v28, vcc
	v_add_u32_e32 v26, v28, v26
	v_not_b32_e32 v28, 31
	v_cmp_lt_u32_e64 s[2:3], 31, v26
	s_nop 1
	v_cndmask_b32_e64 v29, 0, v28, s[2:3]
	v_add_u32_e32 v26, v29, v26
	v_cmp_lt_u32_e64 s[4:5], 31, v26
	s_nop 1
	v_cndmask_b32_e64 v28, 0, v28, s[4:5]
	v_add_u32_e32 v48, v28, v26
	v_and_b32_e32 v26, 0x7fffff, v8
	v_or_b32_e32 v49, 0x800000, v26
	v_mad_u64_u32 v[28:29], s[6:7], v49, s6, 0
	v_mov_b32_e32 v26, v29
	s_mov_b32 s6, 0x3c439041
	v_mad_u64_u32 v[30:31], s[6:7], v49, s6, v[26:27]
	v_mov_b32_e32 v26, v31
	s_mov_b32 s6, 0xdb629599
	;; [unrolled: 3-line block ×6, first 2 shown]
	v_mad_u64_u32 v[26:27], s[6:7], v49, s6, v[26:27]
	v_cndmask_b32_e32 v29, v38, v34, vcc
	v_cndmask_b32_e32 v26, v26, v36, vcc
	;; [unrolled: 1-line block ×3, first 2 shown]
	v_cndmask_b32_e64 v31, v26, v29, s[2:3]
	v_cndmask_b32_e64 v26, v27, v26, s[2:3]
	v_cndmask_b32_e32 v27, v36, v32, vcc
	v_cndmask_b32_e64 v29, v29, v27, s[2:3]
	v_cndmask_b32_e32 v30, v34, v30, vcc
	v_cndmask_b32_e64 v26, v26, v31, s[4:5]
	v_cndmask_b32_e64 v31, v31, v29, s[4:5]
	v_sub_u32_e32 v33, 32, v48
	v_cndmask_b32_e64 v27, v27, v30, s[2:3]
	v_alignbit_b32 v35, v26, v31, v33
	v_cmp_eq_u32_e64 s[6:7], 0, v48
	v_cndmask_b32_e64 v29, v29, v27, s[4:5]
	v_alignbit_b32 v34, v31, v29, v33
	v_cndmask_b32_e64 v26, v35, v26, s[6:7]
	v_cndmask_b32_e64 v31, v34, v31, s[6:7]
	v_bfe_u32 v36, v26, 29, 1
	v_cndmask_b32_e32 v28, v32, v28, vcc
	v_alignbit_b32 v34, v26, v31, 30
	v_sub_u32_e32 v37, 0, v36
	v_cndmask_b32_e64 v28, v30, v28, s[2:3]
	v_xor_b32_e32 v38, v34, v37
	v_cndmask_b32_e64 v27, v27, v28, s[4:5]
	v_alignbit_b32 v28, v29, v27, v33
	v_ffbh_u32_e32 v30, v38
	v_cndmask_b32_e64 v28, v28, v29, s[6:7]
	v_add_u32_e32 v30, 1, v30
	v_cmp_ne_u32_e32 vcc, v34, v37
	v_alignbit_b32 v29, v31, v28, 30
	v_alignbit_b32 v27, v28, v27, 30
	v_cndmask_b32_e32 v30, 33, v30, vcc
	v_xor_b32_e32 v29, v29, v37
	v_sub_u32_e32 v31, 32, v30
	v_xor_b32_e32 v27, v27, v37
	v_alignbit_b32 v32, v38, v29, v31
	v_alignbit_b32 v27, v29, v27, v31
	;; [unrolled: 1-line block ×3, first 2 shown]
	v_ffbh_u32_e32 v29, v28
	v_min_u32_e32 v29, 32, v29
	v_lshrrev_b32_e32 v35, 29, v26
	v_sub_u32_e32 v31, 31, v29
	v_alignbit_b32 v27, v28, v27, v31
	v_lshlrev_b32_e32 v28, 31, v35
	v_or_b32_e32 v31, 0x33800000, v28
	v_add_lshl_u32 v29, v29, v30, 23
	v_lshrrev_b32_e32 v27, 9, v27
	v_sub_u32_e32 v29, v31, v29
	v_or_b32_e32 v27, v29, v27
	v_alignbit_b32 v29, v30, v32, 9
	v_or_b32_e32 v28, v29, v28
	v_xor_b32_e32 v28, 1.0, v28
	s_mov_b32 s2, 0x3fc90fda
	v_mul_f32_e32 v29, 0x3fc90fda, v28
	v_fma_f32 v30, v28, s2, -v29
	v_fmamk_f32 v28, v28, 0x33a22168, v30
	v_fmac_f32_e32 v28, 0x3fc90fda, v27
	v_lshrrev_b32_e32 v26, 30, v26
	v_add_f32_e32 v27, v29, v28
	v_add_u32_e32 v26, v36, v26
	s_andn2_saveexec_b64 s[2:3], s[12:13]
	s_cbranch_execnz .LBB13_161
	s_branch .LBB13_162
.LBB13_160:
	s_andn2_saveexec_b64 s[2:3], s[12:13]
.LBB13_161:
	s_mov_b32 s4, 0x3f22f983
	v_mul_f32_e64 v26, |v2|, s4
	v_rndne_f32_e32 v27, v26
	s_mov_b32 s4, 0xbfc90fda
	v_cvt_i32_f32_e32 v26, v27
	v_fma_f32 v28, v27, s4, |v2|
	v_fmamk_f32 v28, v27, 0xb3a22168, v28
	v_fmamk_f32 v27, v27, 0xa7c234c4, v28
.LBB13_162:
	s_or_b64 exec, exec, s[2:3]
	v_mul_f32_e32 v28, v22, v22
	s_mov_b32 s4, 0x41c80000
	v_div_scale_f32 v29, s[2:3], v28, v28, s4
	v_rcp_f32_e32 v30, v29
	v_xor_b32_e32 v8, v8, v2
	s_mov_b32 s6, 0x40a00000
	v_mov_b32_e32 v37, 0xbf000004
	v_fma_f32 v31, -v29, v30, 1.0
	v_fmac_f32_e32 v30, v31, v30
	v_div_scale_f32 v31, vcc, s4, v28, s4
	v_mul_f32_e32 v32, v31, v30
	v_fma_f32 v33, -v29, v32, v31
	v_fmac_f32_e32 v32, v33, v30
	v_fma_f32 v29, -v29, v32, v31
	v_div_fmas_f32 v29, v29, v30, v32
	v_div_fixup_f32 v28, v29, v28, s4
	v_mov_b32_e32 v29, 0x3a50e985
	v_mov_b32_e32 v30, 0x3a725406
	v_fmac_f32_e32 v29, 0, v28
	v_fmac_f32_e32 v30, 0, v28
	v_fmaak_f32 v29, v28, v29, 0x3da9a586
	v_fmaak_f32 v30, v28, v30, 0x3daf5e2d
	;; [unrolled: 1-line block ×8, first 2 shown]
	v_mov_b32_e32 v31, 0xbc3a3a12
	v_fmaak_f32 v29, v28, v29, 0x40a9b425
	v_fmaak_f32 v30, v28, v30, 0x40a9cb2f
	v_fmac_f32_e32 v31, 0, v28
	v_mov_b32_e32 v32, 0x4280a2ba
	v_fma_f32 v30, v28, v30, 1.0
	v_fmaak_f32 v31, v28, v31, 0xbfa429da
	v_fmac_f32_e32 v32, 0, v28
	v_fma_f32 v29, v28, v29, 1.0
	v_fmaak_f32 v31, v28, v31, 0xc19c6e80
	v_fmaak_f32 v32, v28, v32, 0x44561b86
	v_div_scale_f32 v33, s[2:3], v30, v30, v29
	v_fmaak_f32 v31, v28, v31, 0xc2ba697b
	v_fmaak_f32 v32, v28, v32, 0x4572a66e
	v_rcp_f32_e32 v34, v33
	v_fmaak_f32 v31, v28, v31, 0xc331ae61
	v_fmaak_f32 v32, v28, v32, 0x45e243be
	;; [unrolled: 1-line block ×8, first 2 shown]
	v_fma_f32 v32, -v33, v34, 1.0
	v_fmac_f32_e32 v34, v32, v34
	v_div_scale_f32 v32, vcc, v29, v30, v29
	v_mul_f32_e32 v35, v32, v34
	v_fma_f32 v36, -v33, v35, v32
	v_fmac_f32_e32 v35, v36, v34
	v_fma_f32 v32, -v33, v35, v32
	v_div_fmas_f32 v32, v32, v34, v35
	v_div_fixup_f32 v29, v32, v30, v29
	v_mul_f32_e32 v30, v20, v20
	v_mov_b32_e32 v32, 0x3c0881c4
	v_fmamk_f32 v33, v30, 0xb94c1982, v32
	v_fmaak_f32 v33, v30, v33, 0xbe2aaa9d
	v_mul_f32_e32 v33, v30, v33
	v_fmac_f32_e32 v20, v20, v33
	v_mov_b32_e32 v33, 0xbab64f3b
	v_fmamk_f32 v35, v30, 0x37d75334, v33
	v_fmaak_f32 v35, v30, v35, 0x3d2aabf7
	v_fmaak_f32 v35, v30, v35, 0xbf000004
	v_fma_f32 v30, v30, v35, 1.0
	v_and_b32_e32 v35, 1, v9
	v_lshlrev_b32_e32 v9, 30, v9
	v_cmp_eq_u32_e32 vcc, 0, v35
	v_and_b32_e32 v9, 0x80000000, v9
	v_xor_b32_e32 v8, v8, v9
	v_cndmask_b32_e32 v20, v30, v20, vcc
	v_div_scale_f32 v9, s[2:3], v22, v22, s6
	v_xor_b32_e32 v8, v8, v20
	v_rcp_f32_e32 v20, v9
	s_movk_i32 s4, 0x1f8
	v_mov_b32_e32 v30, 0x7fc00000
	v_cmp_class_f32_e64 s[2:3], v2, s4
	v_mov_b32_e32 v34, 0xbe2aaa9d
	v_mov_b32_e32 v36, 0x3d2aabf7
	v_cndmask_b32_e64 v2, v30, v8, s[2:3]
	v_fma_f32 v8, -v9, v20, 1.0
	v_fmac_f32_e32 v20, v8, v20
	v_div_scale_f32 v8, vcc, s6, v22, s6
	v_mul_f32_e32 v35, v8, v20
	v_fma_f32 v38, -v9, v35, v8
	v_fmac_f32_e32 v35, v38, v20
	v_fma_f32 v8, -v9, v35, v8
	v_div_scale_f32 v9, s[4:5], v28, v28, v31
	v_rcp_f32_e32 v38, v9
	v_div_fmas_f32 v8, v8, v20, v35
	v_div_fixup_f32 v8, v8, v22, s6
	v_fma_f32 v20, -v9, v38, 1.0
	v_fmac_f32_e32 v38, v20, v38
	v_div_scale_f32 v20, vcc, v31, v28, v31
	v_mul_f32_e32 v35, v20, v38
	v_fma_f32 v39, -v9, v35, v20
	v_fmac_f32_e32 v35, v39, v38
	v_fma_f32 v9, -v9, v35, v20
	v_div_fmas_f32 v9, v9, v38, v35
	v_div_fixup_f32 v9, v9, v28, v31
	v_mul_f32_e32 v8, v8, v9
	v_mul_f32_e32 v9, v27, v27
	v_fmac_f32_e32 v32, 0xb94c1982, v9
	v_fmac_f32_e32 v34, v9, v32
	;; [unrolled: 1-line block ×3, first 2 shown]
	v_mul_f32_e32 v20, v9, v34
	v_fmac_f32_e32 v36, v9, v33
	v_fmac_f32_e32 v27, v27, v20
	;; [unrolled: 1-line block ×3, first 2 shown]
	v_and_b32_e32 v20, 1, v26
	v_fma_f32 v9, v9, v37, 1.0
	v_cmp_eq_u32_e32 vcc, 0, v20
	v_lshlrev_b32_e32 v20, 30, v26
	v_and_b32_e32 v20, 0x80000000, v20
	v_cndmask_b32_e64 v9, -v27, v9, vcc
	v_xor_b32_e32 v9, v20, v9
	v_cndmask_b32_e64 v9, v30, v9, s[2:3]
	s_mov_b32 s2, 0xf800000
	v_mul_f32_e32 v20, 0x4f800000, v22
	v_cmp_gt_f32_e32 vcc, s2, v22
	v_mul_f32_e32 v8, v8, v9
	v_fmac_f32_e32 v8, v29, v2
	v_cndmask_b32_e32 v20, v22, v20, vcc
	v_sqrt_f32_e32 v22, v20
	v_mul_f32_e32 v2, 0x3f4c422a, v8
	v_add_u32_e32 v8, -1, v22
	v_fma_f32 v9, -v8, v22, v20
	v_cmp_ge_f32_e64 s[2:3], 0, v9
	v_add_u32_e32 v9, 1, v22
	s_nop 0
	v_cndmask_b32_e64 v8, v22, v8, s[2:3]
	v_fma_f32 v22, -v9, v22, v20
	v_cmp_lt_f32_e64 s[2:3], 0, v22
	s_nop 1
	v_cndmask_b32_e64 v8, v8, v9, s[2:3]
	v_mul_f32_e32 v9, 0x37800000, v8
	v_cndmask_b32_e32 v8, v8, v9, vcc
	v_mov_b32_e32 v9, 0x260
	v_cmp_class_f32_e32 vcc, v20, v9
	s_nop 1
	v_cndmask_b32_e32 v8, v8, v20, vcc
	v_div_scale_f32 v9, s[2:3], v8, v8, v2
	v_rcp_f32_e32 v20, v9
	s_nop 0
	v_fma_f32 v22, -v9, v20, 1.0
	v_fmac_f32_e32 v20, v22, v20
	v_div_scale_f32 v22, vcc, v2, v8, v2
	v_mul_f32_e32 v26, v22, v20
	v_fma_f32 v27, -v9, v26, v22
	v_fmac_f32_e32 v26, v27, v20
	v_fma_f32 v9, -v9, v26, v22
	v_div_fmas_f32 v9, v9, v20, v26
	v_div_fixup_f32 v20, v9, v8, v2
.LBB13_163:
	s_or_b64 exec, exec, s[10:11]
.LBB13_164:
	s_or_b64 exec, exec, s[8:9]
	v_add_u32_e32 v2, 0x600, v5
	v_cmp_lt_i32_e32 vcc, v2, v4
                                        ; implicit-def: $vgpr22
	s_and_saveexec_b64 s[8:9], vcc
	s_cbranch_execz .LBB13_186
; %bb.165:
	s_mov_b32 s2, 0x40a00000
	v_cmp_ge_f32_e32 vcc, s2, v24
                                        ; implicit-def: $vgpr22
	s_and_saveexec_b64 s[2:3], vcc
	s_xor_b64 s[4:5], exec, s[2:3]
	s_cbranch_execz .LBB13_175
; %bb.166:
	v_cmp_neq_f32_e32 vcc, 0, v24
	v_mov_b32_e32 v22, 0xff800000
	s_and_saveexec_b64 s[6:7], vcc
	s_cbranch_execz .LBB13_174
; %bb.167:
	v_cmp_ngt_f32_e32 vcc, 0, v24
	v_mov_b32_e32 v22, 0x7fc00000
	s_and_saveexec_b64 s[10:11], vcc
	s_cbranch_execz .LBB13_173
; %bb.168:
	v_mul_f32_e32 v2, v24, v24
	s_mov_b32 s2, 0x3727c5ac
	v_mul_f32_e32 v8, 0, v2
	v_cmp_ngt_f32_e32 vcc, s2, v24
                                        ; implicit-def: $vgpr9
	s_and_saveexec_b64 s[2:3], vcc
	s_xor_b64 s[2:3], exec, s[2:3]
	s_cbranch_execz .LBB13_170
; %bb.169:
	v_add_f32_e32 v9, 0x43f9c815, v8
	v_fmaak_f32 v9, v2, v9, 0x4829b65a
	v_fmaak_f32 v9, v2, v9, 0x4c38c9a1
	;; [unrolled: 1-line block ×3, first 2 shown]
	s_mov_b32 s12, 0xcf8ee29d
	v_mul_f32_e32 v9, v2, v9
	s_mov_b32 s13, 0x53f5f59c
	v_pk_add_f32 v[26:27], v[8:9], s[12:13]
	s_mov_b32 s12, 0x53e3ba8e
	s_mov_b32 s13, 0x578d3514
	v_pk_fma_f32 v[26:27], v[2:3], v[26:27], s[12:13] op_sel_hi:[0,1,1]
	s_mov_b32 s12, 0xd762b0a7
	s_mov_b32 s13, 0x5ae20a0c
	v_pk_fma_f32 v[26:27], v[2:3], v[26:27], s[12:13] op_sel_hi:[0,1,1]
	s_mov_b32 s12, 0x5a09f7c3
	s_mov_b32 s13, 0x5dbdf1a6
	v_pk_fma_f32 v[26:27], v[2:3], v[26:27], s[12:13] op_sel_hi:[0,1,1]
	s_mov_b32 s12, 0xc0b90fdc
	s_mov_b32 s13, 0xc1f3c525
	v_pk_add_f32 v[28:29], v[2:3], s[12:13] op_sel_hi:[0,1]
	v_mul_f32_e32 v9, v28, v29
	v_mul_f32_e32 v9, v9, v26
	v_div_scale_f32 v22, s[12:13], v27, v27, v9
	v_rcp_f32_e32 v26, v22
	s_nop 0
	v_fma_f32 v28, -v22, v26, 1.0
	v_fmac_f32_e32 v26, v28, v26
	v_div_scale_f32 v28, vcc, v9, v27, v9
	v_mul_f32_e32 v29, v28, v26
	v_fma_f32 v30, -v22, v29, v28
	v_fmac_f32_e32 v29, v30, v26
	v_fma_f32 v22, -v22, v29, v28
	v_div_fmas_f32 v22, v22, v26, v29
	v_div_fixup_f32 v9, v22, v27, v9
.LBB13_170:
	s_andn2_saveexec_b64 s[2:3], s[2:3]
; %bb.171:
	v_mov_b32_e32 v9, 1.0
	v_fmamk_f32 v9, v2, 0xbe800000, v9
; %bb.172:
	s_or_b64 exec, exec, s[2:3]
	v_add_f32_e32 v22, 0x4673a1bf, v8
	v_fmaak_f32 v22, v2, v22, 0xcb5fc0fa
	v_add_f32_e32 v8, 0x44822913, v8
	v_fmaak_f32 v22, v2, v22, 0x4fa1fbc8
	v_fmaak_f32 v8, v2, v8, 0x4918dbb5
	;; [unrolled: 1-line block ×12, first 2 shown]
	v_div_scale_f32 v22, s[2:3], v8, v8, v2
	v_rcp_f32_e32 v26, v22
	s_mov_b32 s2, 0x800000
	v_cmp_gt_f32_e64 s[2:3], s2, v24
	s_mov_b32 s12, 0x3f317217
	v_fma_f32 v27, -v22, v26, 1.0
	v_fmac_f32_e32 v26, v27, v26
	v_div_scale_f32 v27, vcc, v2, v8, v2
	v_mul_f32_e32 v28, v27, v26
	v_fma_f32 v29, -v22, v28, v27
	v_fmac_f32_e32 v28, v29, v26
	v_fma_f32 v22, -v22, v28, v27
	v_mov_b32_e32 v27, 0x4f800000
	v_cndmask_b32_e64 v27, 1.0, v27, s[2:3]
	v_mul_f32_e32 v24, v24, v27
	v_log_f32_e32 v24, v24
	v_div_fmas_f32 v22, v22, v26, v28
	v_div_fixup_f32 v22, v22, v8, v2
	v_mul_f32_e32 v2, 0x3f317217, v24
	v_fma_f32 v8, v24, s12, -v2
	v_fmamk_f32 v8, v24, 0x3377d1cf, v8
	s_mov_b32 s12, 0x7f800000
	v_add_f32_e32 v2, v2, v8
	v_cmp_lt_f32_e64 vcc, |v24|, s12
	v_mov_b32_e32 v8, 0x41b17218
	v_cndmask_b32_e64 v8, 0, v8, s[2:3]
	v_cndmask_b32_e32 v2, v24, v2, vcc
	v_sub_f32_e32 v2, v2, v8
	v_mul_f32_e32 v2, 0x3f22f983, v2
	v_fmac_f32_e32 v22, v2, v9
.LBB13_173:
	s_or_b64 exec, exec, s[10:11]
.LBB13_174:
	s_or_b64 exec, exec, s[6:7]
                                        ; implicit-def: $vgpr24
.LBB13_175:
	s_andn2_saveexec_b64 s[10:11], s[4:5]
	s_cbranch_execz .LBB13_185
; %bb.176:
	v_add_f32_e32 v2, 0xbf490fdb, v24
	v_and_b32_e32 v8, 0x7fffffff, v2
	s_brev_b32 s2, 18
	v_cmp_nlt_f32_e64 s[12:13], |v2|, s2
	v_lshrrev_b32_e32 v28, 23, v8
                                        ; implicit-def: $vgpr9
                                        ; implicit-def: $vgpr22
	s_and_saveexec_b64 s[2:3], s[12:13]
	s_xor_b64 s[14:15], exec, s[2:3]
	s_cbranch_execz .LBB13_178
; %bb.177:
	v_add_u32_e32 v9, 0xffffff88, v28
	v_not_b32_e32 v22, 63
	v_cmp_lt_u32_e32 vcc, 63, v9
	s_mov_b32 s6, 0xfe5163ab
	v_mov_b32_e32 v27, 0
	v_cndmask_b32_e32 v22, 0, v22, vcc
	v_add_u32_e32 v9, v22, v9
	v_not_b32_e32 v22, 31
	v_cmp_lt_u32_e64 s[2:3], 31, v9
	s_nop 1
	v_cndmask_b32_e64 v26, 0, v22, s[2:3]
	v_add_u32_e32 v9, v26, v9
	v_cmp_lt_u32_e64 s[4:5], 31, v9
	s_nop 1
	v_cndmask_b32_e64 v22, 0, v22, s[4:5]
	v_add_u32_e32 v9, v22, v9
	v_and_b32_e32 v22, 0x7fffff, v8
	v_or_b32_e32 v22, 0x800000, v22
	v_mad_u64_u32 v[30:31], s[6:7], v22, s6, 0
	v_mov_b32_e32 v26, v31
	s_mov_b32 s6, 0x3c439041
	v_mad_u64_u32 v[32:33], s[6:7], v22, s6, v[26:27]
	v_mov_b32_e32 v26, v33
	s_mov_b32 s6, 0xdb629599
	;; [unrolled: 3-line block ×6, first 2 shown]
	v_mad_u64_u32 v[26:27], s[6:7], v22, s6, v[26:27]
	v_cndmask_b32_e32 v29, v48, v36, vcc
	v_cndmask_b32_e32 v22, v26, v38, vcc
	;; [unrolled: 1-line block ×3, first 2 shown]
	v_cndmask_b32_e64 v26, v22, v29, s[2:3]
	v_cndmask_b32_e64 v22, v27, v22, s[2:3]
	v_cndmask_b32_e32 v27, v38, v34, vcc
	v_cndmask_b32_e64 v29, v29, v27, s[2:3]
	v_cndmask_b32_e64 v22, v22, v26, s[4:5]
	;; [unrolled: 1-line block ×3, first 2 shown]
	v_sub_u32_e32 v31, 32, v9
	v_alignbit_b32 v33, v22, v26, v31
	v_cmp_eq_u32_e64 s[6:7], 0, v9
	v_cndmask_b32_e32 v30, v34, v30, vcc
	s_nop 0
	v_cndmask_b32_e64 v9, v33, v22, s[6:7]
	v_cndmask_b32_e32 v22, v36, v32, vcc
	v_cndmask_b32_e64 v27, v27, v22, s[2:3]
	v_cndmask_b32_e64 v29, v29, v27, s[4:5]
	v_alignbit_b32 v32, v26, v29, v31
	v_cndmask_b32_e64 v26, v32, v26, s[6:7]
	v_bfe_u32 v35, v9, 29, 1
	v_cndmask_b32_e64 v22, v22, v30, s[2:3]
	v_alignbit_b32 v32, v9, v26, 30
	v_sub_u32_e32 v36, 0, v35
	v_cndmask_b32_e64 v22, v27, v22, s[4:5]
	v_xor_b32_e32 v37, v32, v36
	v_alignbit_b32 v27, v29, v22, v31
	v_cndmask_b32_e64 v27, v27, v29, s[6:7]
	v_ffbh_u32_e32 v29, v37
	v_add_u32_e32 v29, 1, v29
	v_cmp_ne_u32_e32 vcc, v32, v36
	v_alignbit_b32 v26, v26, v27, 30
	v_alignbit_b32 v22, v27, v22, 30
	v_cndmask_b32_e32 v29, 33, v29, vcc
	v_xor_b32_e32 v26, v26, v36
	v_sub_u32_e32 v30, 32, v29
	v_xor_b32_e32 v22, v22, v36
	v_alignbit_b32 v31, v37, v26, v30
	v_alignbit_b32 v22, v26, v22, v30
	;; [unrolled: 1-line block ×3, first 2 shown]
	v_ffbh_u32_e32 v27, v26
	v_min_u32_e32 v27, 32, v27
	v_lshrrev_b32_e32 v33, 29, v9
	v_sub_u32_e32 v30, 31, v27
	v_alignbit_b32 v22, v26, v22, v30
	v_lshlrev_b32_e32 v26, 31, v33
	v_or_b32_e32 v30, 0x33800000, v26
	v_add_lshl_u32 v27, v27, v29, 23
	v_lshrrev_b32_e32 v22, 9, v22
	v_sub_u32_e32 v27, v30, v27
	v_or_b32_e32 v22, v27, v22
	v_alignbit_b32 v27, v29, v31, 9
	v_or_b32_e32 v26, v27, v26
	v_xor_b32_e32 v26, 1.0, v26
	s_mov_b32 s2, 0x3fc90fda
	v_mul_f32_e32 v27, 0x3fc90fda, v26
	v_fma_f32 v29, v26, s2, -v27
	v_fmamk_f32 v26, v26, 0x33a22168, v29
	v_fmac_f32_e32 v26, 0x3fc90fda, v22
	v_lshrrev_b32_e32 v9, 30, v9
	v_add_f32_e32 v22, v27, v26
	v_add_u32_e32 v9, v35, v9
	s_andn2_saveexec_b64 s[2:3], s[14:15]
	s_branch .LBB13_179
.LBB13_178:
	s_andn2_saveexec_b64 s[2:3], s[14:15]
.LBB13_179:
	s_mov_b32 s4, 0x3f22f983
	v_mul_f32_e64 v9, |v2|, s4
	v_rndne_f32_e32 v22, v9
	s_mov_b32 s4, 0xbfc90fda
	v_cvt_i32_f32_e32 v9, v22
	v_fma_f32 v26, v22, s4, |v2|
	v_fmamk_f32 v26, v22, 0xb3a22168, v26
	v_fmamk_f32 v22, v22, 0xa7c234c4, v26
; %bb.180:
	s_or_b64 exec, exec, s[2:3]
                                        ; implicit-def: $vgpr26
                                        ; implicit-def: $vgpr27
	s_and_saveexec_b64 s[2:3], s[12:13]
	s_xor_b64 s[12:13], exec, s[2:3]
	s_cbranch_execz .LBB13_182
; %bb.181:
	v_add_u32_e32 v26, 0xffffff88, v28
	v_not_b32_e32 v28, 63
	v_cmp_lt_u32_e32 vcc, 63, v26
	s_mov_b32 s6, 0xfe5163ab
	v_mov_b32_e32 v27, 0
	v_cndmask_b32_e32 v28, 0, v28, vcc
	v_add_u32_e32 v26, v28, v26
	v_not_b32_e32 v28, 31
	v_cmp_lt_u32_e64 s[2:3], 31, v26
	s_nop 1
	v_cndmask_b32_e64 v29, 0, v28, s[2:3]
	v_add_u32_e32 v26, v29, v26
	v_cmp_lt_u32_e64 s[4:5], 31, v26
	s_nop 1
	v_cndmask_b32_e64 v28, 0, v28, s[4:5]
	v_add_u32_e32 v48, v28, v26
	v_and_b32_e32 v26, 0x7fffff, v8
	v_or_b32_e32 v49, 0x800000, v26
	v_mad_u64_u32 v[28:29], s[6:7], v49, s6, 0
	v_mov_b32_e32 v26, v29
	s_mov_b32 s6, 0x3c439041
	v_mad_u64_u32 v[30:31], s[6:7], v49, s6, v[26:27]
	v_mov_b32_e32 v26, v31
	s_mov_b32 s6, 0xdb629599
	;; [unrolled: 3-line block ×6, first 2 shown]
	v_mad_u64_u32 v[26:27], s[6:7], v49, s6, v[26:27]
	v_cndmask_b32_e32 v29, v38, v34, vcc
	v_cndmask_b32_e32 v26, v26, v36, vcc
	;; [unrolled: 1-line block ×3, first 2 shown]
	v_cndmask_b32_e64 v31, v26, v29, s[2:3]
	v_cndmask_b32_e64 v26, v27, v26, s[2:3]
	v_cndmask_b32_e32 v27, v36, v32, vcc
	v_cndmask_b32_e64 v29, v29, v27, s[2:3]
	v_cndmask_b32_e32 v30, v34, v30, vcc
	v_cndmask_b32_e64 v26, v26, v31, s[4:5]
	v_cndmask_b32_e64 v31, v31, v29, s[4:5]
	v_sub_u32_e32 v33, 32, v48
	v_cndmask_b32_e64 v27, v27, v30, s[2:3]
	v_alignbit_b32 v35, v26, v31, v33
	v_cmp_eq_u32_e64 s[6:7], 0, v48
	v_cndmask_b32_e64 v29, v29, v27, s[4:5]
	v_alignbit_b32 v34, v31, v29, v33
	v_cndmask_b32_e64 v26, v35, v26, s[6:7]
	v_cndmask_b32_e64 v31, v34, v31, s[6:7]
	v_bfe_u32 v36, v26, 29, 1
	v_cndmask_b32_e32 v28, v32, v28, vcc
	v_alignbit_b32 v34, v26, v31, 30
	v_sub_u32_e32 v37, 0, v36
	v_cndmask_b32_e64 v28, v30, v28, s[2:3]
	v_xor_b32_e32 v38, v34, v37
	v_cndmask_b32_e64 v27, v27, v28, s[4:5]
	v_alignbit_b32 v28, v29, v27, v33
	v_ffbh_u32_e32 v30, v38
	v_cndmask_b32_e64 v28, v28, v29, s[6:7]
	v_add_u32_e32 v30, 1, v30
	v_cmp_ne_u32_e32 vcc, v34, v37
	v_alignbit_b32 v29, v31, v28, 30
	v_alignbit_b32 v27, v28, v27, 30
	v_cndmask_b32_e32 v30, 33, v30, vcc
	v_xor_b32_e32 v29, v29, v37
	v_sub_u32_e32 v31, 32, v30
	v_xor_b32_e32 v27, v27, v37
	v_alignbit_b32 v32, v38, v29, v31
	v_alignbit_b32 v27, v29, v27, v31
	;; [unrolled: 1-line block ×3, first 2 shown]
	v_ffbh_u32_e32 v29, v28
	v_min_u32_e32 v29, 32, v29
	v_lshrrev_b32_e32 v35, 29, v26
	v_sub_u32_e32 v31, 31, v29
	v_alignbit_b32 v27, v28, v27, v31
	v_lshlrev_b32_e32 v28, 31, v35
	v_or_b32_e32 v31, 0x33800000, v28
	v_add_lshl_u32 v29, v29, v30, 23
	v_lshrrev_b32_e32 v27, 9, v27
	v_sub_u32_e32 v29, v31, v29
	v_or_b32_e32 v27, v29, v27
	v_alignbit_b32 v29, v30, v32, 9
	v_or_b32_e32 v28, v29, v28
	v_xor_b32_e32 v28, 1.0, v28
	s_mov_b32 s2, 0x3fc90fda
	v_mul_f32_e32 v29, 0x3fc90fda, v28
	v_fma_f32 v30, v28, s2, -v29
	v_fmamk_f32 v28, v28, 0x33a22168, v30
	v_fmac_f32_e32 v28, 0x3fc90fda, v27
	v_lshrrev_b32_e32 v26, 30, v26
	v_add_f32_e32 v27, v29, v28
	v_add_u32_e32 v26, v36, v26
	s_andn2_saveexec_b64 s[2:3], s[12:13]
	s_cbranch_execnz .LBB13_183
	s_branch .LBB13_184
.LBB13_182:
	s_andn2_saveexec_b64 s[2:3], s[12:13]
.LBB13_183:
	s_mov_b32 s4, 0x3f22f983
	v_mul_f32_e64 v26, |v2|, s4
	v_rndne_f32_e32 v27, v26
	s_mov_b32 s4, 0xbfc90fda
	v_cvt_i32_f32_e32 v26, v27
	v_fma_f32 v28, v27, s4, |v2|
	v_fmamk_f32 v28, v27, 0xb3a22168, v28
	v_fmamk_f32 v27, v27, 0xa7c234c4, v28
.LBB13_184:
	s_or_b64 exec, exec, s[2:3]
	v_mul_f32_e32 v28, v24, v24
	s_mov_b32 s4, 0x41c80000
	v_div_scale_f32 v29, s[2:3], v28, v28, s4
	v_rcp_f32_e32 v30, v29
	v_xor_b32_e32 v8, v8, v2
	s_mov_b32 s6, 0x40a00000
	v_mov_b32_e32 v37, 0xbf000004
	v_fma_f32 v31, -v29, v30, 1.0
	v_fmac_f32_e32 v30, v31, v30
	v_div_scale_f32 v31, vcc, s4, v28, s4
	v_mul_f32_e32 v32, v31, v30
	v_fma_f32 v33, -v29, v32, v31
	v_fmac_f32_e32 v32, v33, v30
	v_fma_f32 v29, -v29, v32, v31
	v_div_fmas_f32 v29, v29, v30, v32
	v_div_fixup_f32 v28, v29, v28, s4
	v_mov_b32_e32 v29, 0x3a50e985
	v_mov_b32_e32 v30, 0x3a725406
	v_fmac_f32_e32 v29, 0, v28
	v_fmac_f32_e32 v30, 0, v28
	v_fmaak_f32 v29, v28, v29, 0x3da9a586
	v_fmaak_f32 v30, v28, v30, 0x3daf5e2d
	;; [unrolled: 1-line block ×8, first 2 shown]
	v_mov_b32_e32 v31, 0xbc3a3a12
	v_fmaak_f32 v29, v28, v29, 0x40a9b425
	v_fmaak_f32 v30, v28, v30, 0x40a9cb2f
	v_fmac_f32_e32 v31, 0, v28
	v_mov_b32_e32 v32, 0x4280a2ba
	v_fma_f32 v30, v28, v30, 1.0
	v_fmaak_f32 v31, v28, v31, 0xbfa429da
	v_fmac_f32_e32 v32, 0, v28
	v_fma_f32 v29, v28, v29, 1.0
	v_fmaak_f32 v31, v28, v31, 0xc19c6e80
	v_fmaak_f32 v32, v28, v32, 0x44561b86
	v_div_scale_f32 v33, s[2:3], v30, v30, v29
	v_fmaak_f32 v31, v28, v31, 0xc2ba697b
	v_fmaak_f32 v32, v28, v32, 0x4572a66e
	v_rcp_f32_e32 v34, v33
	v_fmaak_f32 v31, v28, v31, 0xc331ae61
	v_fmaak_f32 v32, v28, v32, 0x45e243be
	;; [unrolled: 1-line block ×8, first 2 shown]
	v_fma_f32 v32, -v33, v34, 1.0
	v_fmac_f32_e32 v34, v32, v34
	v_div_scale_f32 v32, vcc, v29, v30, v29
	v_mul_f32_e32 v35, v32, v34
	v_fma_f32 v36, -v33, v35, v32
	v_fmac_f32_e32 v35, v36, v34
	v_fma_f32 v32, -v33, v35, v32
	v_div_fmas_f32 v32, v32, v34, v35
	v_div_fixup_f32 v29, v32, v30, v29
	v_mul_f32_e32 v30, v22, v22
	v_mov_b32_e32 v32, 0x3c0881c4
	v_fmamk_f32 v33, v30, 0xb94c1982, v32
	v_fmaak_f32 v33, v30, v33, 0xbe2aaa9d
	v_mul_f32_e32 v33, v30, v33
	v_fmac_f32_e32 v22, v22, v33
	v_mov_b32_e32 v33, 0xbab64f3b
	v_fmamk_f32 v35, v30, 0x37d75334, v33
	v_fmaak_f32 v35, v30, v35, 0x3d2aabf7
	v_fmaak_f32 v35, v30, v35, 0xbf000004
	v_fma_f32 v30, v30, v35, 1.0
	v_and_b32_e32 v35, 1, v9
	v_lshlrev_b32_e32 v9, 30, v9
	v_cmp_eq_u32_e32 vcc, 0, v35
	v_and_b32_e32 v9, 0x80000000, v9
	v_xor_b32_e32 v8, v8, v9
	v_cndmask_b32_e32 v22, v30, v22, vcc
	v_div_scale_f32 v9, s[2:3], v24, v24, s6
	v_xor_b32_e32 v8, v8, v22
	v_rcp_f32_e32 v22, v9
	s_movk_i32 s4, 0x1f8
	v_mov_b32_e32 v30, 0x7fc00000
	v_cmp_class_f32_e64 s[2:3], v2, s4
	v_mov_b32_e32 v34, 0xbe2aaa9d
	v_mov_b32_e32 v36, 0x3d2aabf7
	v_cndmask_b32_e64 v2, v30, v8, s[2:3]
	v_fma_f32 v8, -v9, v22, 1.0
	v_fmac_f32_e32 v22, v8, v22
	v_div_scale_f32 v8, vcc, s6, v24, s6
	v_mul_f32_e32 v35, v8, v22
	v_fma_f32 v38, -v9, v35, v8
	v_fmac_f32_e32 v35, v38, v22
	v_fma_f32 v8, -v9, v35, v8
	v_div_scale_f32 v9, s[4:5], v28, v28, v31
	v_rcp_f32_e32 v38, v9
	v_div_fmas_f32 v8, v8, v22, v35
	v_div_fixup_f32 v8, v8, v24, s6
	v_fma_f32 v22, -v9, v38, 1.0
	v_fmac_f32_e32 v38, v22, v38
	v_div_scale_f32 v22, vcc, v31, v28, v31
	v_mul_f32_e32 v35, v22, v38
	v_fma_f32 v39, -v9, v35, v22
	v_fmac_f32_e32 v35, v39, v38
	v_fma_f32 v9, -v9, v35, v22
	v_div_fmas_f32 v9, v9, v38, v35
	v_div_fixup_f32 v9, v9, v28, v31
	v_mul_f32_e32 v8, v8, v9
	v_mul_f32_e32 v9, v27, v27
	v_fmac_f32_e32 v32, 0xb94c1982, v9
	v_fmac_f32_e32 v34, v9, v32
	;; [unrolled: 1-line block ×3, first 2 shown]
	v_mul_f32_e32 v22, v9, v34
	v_fmac_f32_e32 v36, v9, v33
	v_fmac_f32_e32 v27, v27, v22
	;; [unrolled: 1-line block ×3, first 2 shown]
	v_and_b32_e32 v22, 1, v26
	v_fma_f32 v9, v9, v37, 1.0
	v_cmp_eq_u32_e32 vcc, 0, v22
	v_lshlrev_b32_e32 v22, 30, v26
	v_and_b32_e32 v22, 0x80000000, v22
	v_cndmask_b32_e64 v9, -v27, v9, vcc
	v_xor_b32_e32 v9, v22, v9
	v_cndmask_b32_e64 v9, v30, v9, s[2:3]
	s_mov_b32 s2, 0xf800000
	v_mul_f32_e32 v22, 0x4f800000, v24
	v_cmp_gt_f32_e32 vcc, s2, v24
	v_mul_f32_e32 v8, v8, v9
	v_fmac_f32_e32 v8, v29, v2
	v_cndmask_b32_e32 v22, v24, v22, vcc
	v_sqrt_f32_e32 v24, v22
	v_mul_f32_e32 v2, 0x3f4c422a, v8
	v_add_u32_e32 v8, -1, v24
	v_fma_f32 v9, -v8, v24, v22
	v_cmp_ge_f32_e64 s[2:3], 0, v9
	v_add_u32_e32 v9, 1, v24
	s_nop 0
	v_cndmask_b32_e64 v8, v24, v8, s[2:3]
	v_fma_f32 v24, -v9, v24, v22
	v_cmp_lt_f32_e64 s[2:3], 0, v24
	s_nop 1
	v_cndmask_b32_e64 v8, v8, v9, s[2:3]
	v_mul_f32_e32 v9, 0x37800000, v8
	v_cndmask_b32_e32 v8, v8, v9, vcc
	v_mov_b32_e32 v9, 0x260
	v_cmp_class_f32_e32 vcc, v22, v9
	s_nop 1
	v_cndmask_b32_e32 v8, v8, v22, vcc
	v_div_scale_f32 v9, s[2:3], v8, v8, v2
	v_rcp_f32_e32 v22, v9
	s_nop 0
	v_fma_f32 v24, -v9, v22, 1.0
	v_fmac_f32_e32 v22, v24, v22
	v_div_scale_f32 v24, vcc, v2, v8, v2
	v_mul_f32_e32 v26, v24, v22
	v_fma_f32 v27, -v9, v26, v24
	v_fmac_f32_e32 v26, v27, v22
	v_fma_f32 v9, -v9, v26, v24
	v_div_fmas_f32 v9, v9, v22, v26
	v_div_fixup_f32 v22, v9, v8, v2
.LBB13_185:
	s_or_b64 exec, exec, s[10:11]
.LBB13_186:
	s_or_b64 exec, exec, s[8:9]
	v_add_u32_e32 v2, 0x700, v5
	v_cmp_lt_i32_e32 vcc, v2, v4
                                        ; implicit-def: $vgpr24
	s_and_saveexec_b64 s[8:9], vcc
	s_cbranch_execz .LBB13_208
; %bb.187:
	s_mov_b32 s2, 0x40a00000
	v_cmp_ge_f32_e32 vcc, s2, v25
                                        ; implicit-def: $vgpr24
	s_and_saveexec_b64 s[2:3], vcc
	s_xor_b64 s[4:5], exec, s[2:3]
	s_cbranch_execz .LBB13_197
; %bb.188:
	v_cmp_neq_f32_e32 vcc, 0, v25
	v_mov_b32_e32 v24, 0xff800000
	s_and_saveexec_b64 s[6:7], vcc
	s_cbranch_execz .LBB13_196
; %bb.189:
	v_cmp_ngt_f32_e32 vcc, 0, v25
	v_mov_b32_e32 v24, 0x7fc00000
	s_and_saveexec_b64 s[10:11], vcc
	s_cbranch_execz .LBB13_195
; %bb.190:
	v_mul_f32_e32 v2, v25, v25
	s_mov_b32 s2, 0x3727c5ac
	v_mul_f32_e32 v8, 0, v2
	v_cmp_ngt_f32_e32 vcc, s2, v25
                                        ; implicit-def: $vgpr9
	s_and_saveexec_b64 s[2:3], vcc
	s_xor_b64 s[2:3], exec, s[2:3]
	s_cbranch_execz .LBB13_192
; %bb.191:
	v_add_f32_e32 v9, 0x43f9c815, v8
	v_fmaak_f32 v9, v2, v9, 0x4829b65a
	v_fmaak_f32 v9, v2, v9, 0x4c38c9a1
	;; [unrolled: 1-line block ×3, first 2 shown]
	s_mov_b32 s12, 0xcf8ee29d
	v_mul_f32_e32 v9, v2, v9
	s_mov_b32 s13, 0x53f5f59c
	v_pk_add_f32 v[26:27], v[8:9], s[12:13]
	s_mov_b32 s12, 0x53e3ba8e
	s_mov_b32 s13, 0x578d3514
	v_pk_fma_f32 v[26:27], v[2:3], v[26:27], s[12:13] op_sel_hi:[0,1,1]
	s_mov_b32 s12, 0xd762b0a7
	s_mov_b32 s13, 0x5ae20a0c
	v_pk_fma_f32 v[26:27], v[2:3], v[26:27], s[12:13] op_sel_hi:[0,1,1]
	;; [unrolled: 3-line block ×3, first 2 shown]
	s_mov_b32 s12, 0xc0b90fdc
	s_mov_b32 s13, 0xc1f3c525
	v_pk_add_f32 v[28:29], v[2:3], s[12:13] op_sel_hi:[0,1]
	v_mul_f32_e32 v9, v28, v29
	v_mul_f32_e32 v9, v9, v26
	v_div_scale_f32 v24, s[12:13], v27, v27, v9
	v_rcp_f32_e32 v26, v24
	s_nop 0
	v_fma_f32 v28, -v24, v26, 1.0
	v_fmac_f32_e32 v26, v28, v26
	v_div_scale_f32 v28, vcc, v9, v27, v9
	v_mul_f32_e32 v29, v28, v26
	v_fma_f32 v30, -v24, v29, v28
	v_fmac_f32_e32 v29, v30, v26
	v_fma_f32 v24, -v24, v29, v28
	v_div_fmas_f32 v24, v24, v26, v29
	v_div_fixup_f32 v9, v24, v27, v9
.LBB13_192:
	s_andn2_saveexec_b64 s[2:3], s[2:3]
; %bb.193:
	v_mov_b32_e32 v9, 1.0
	v_fmamk_f32 v9, v2, 0xbe800000, v9
; %bb.194:
	s_or_b64 exec, exec, s[2:3]
	v_add_f32_e32 v24, 0x4673a1bf, v8
	v_fmaak_f32 v24, v2, v24, 0xcb5fc0fa
	v_add_f32_e32 v8, 0x44822913, v8
	v_fmaak_f32 v24, v2, v24, 0x4fa1fbc8
	v_fmaak_f32 v8, v2, v8, 0x4918dbb5
	;; [unrolled: 1-line block ×12, first 2 shown]
	v_div_scale_f32 v24, s[2:3], v8, v8, v2
	v_rcp_f32_e32 v26, v24
	s_mov_b32 s2, 0x800000
	v_cmp_gt_f32_e64 s[2:3], s2, v25
	s_mov_b32 s12, 0x3f317217
	v_fma_f32 v27, -v24, v26, 1.0
	v_fmac_f32_e32 v26, v27, v26
	v_div_scale_f32 v27, vcc, v2, v8, v2
	v_mul_f32_e32 v28, v27, v26
	v_fma_f32 v29, -v24, v28, v27
	v_fmac_f32_e32 v28, v29, v26
	v_fma_f32 v24, -v24, v28, v27
	v_mov_b32_e32 v27, 0x4f800000
	v_cndmask_b32_e64 v27, 1.0, v27, s[2:3]
	v_mul_f32_e32 v25, v25, v27
	v_log_f32_e32 v25, v25
	v_div_fmas_f32 v24, v24, v26, v28
	v_div_fixup_f32 v24, v24, v8, v2
	v_mul_f32_e32 v2, 0x3f317217, v25
	v_fma_f32 v8, v25, s12, -v2
	v_fmamk_f32 v8, v25, 0x3377d1cf, v8
	s_mov_b32 s12, 0x7f800000
	v_add_f32_e32 v2, v2, v8
	v_cmp_lt_f32_e64 vcc, |v25|, s12
	v_mov_b32_e32 v8, 0x41b17218
	v_cndmask_b32_e64 v8, 0, v8, s[2:3]
	v_cndmask_b32_e32 v2, v25, v2, vcc
	v_sub_f32_e32 v2, v2, v8
	v_mul_f32_e32 v2, 0x3f22f983, v2
	v_fmac_f32_e32 v24, v2, v9
.LBB13_195:
	s_or_b64 exec, exec, s[10:11]
.LBB13_196:
	s_or_b64 exec, exec, s[6:7]
                                        ; implicit-def: $vgpr25
.LBB13_197:
	s_andn2_saveexec_b64 s[10:11], s[4:5]
	s_cbranch_execz .LBB13_207
; %bb.198:
	v_add_f32_e32 v2, 0xbf490fdb, v25
	v_and_b32_e32 v8, 0x7fffffff, v2
	s_brev_b32 s2, 18
	v_cmp_nlt_f32_e64 s[12:13], |v2|, s2
	v_lshrrev_b32_e32 v28, 23, v8
                                        ; implicit-def: $vgpr9
                                        ; implicit-def: $vgpr24
	s_and_saveexec_b64 s[2:3], s[12:13]
	s_xor_b64 s[14:15], exec, s[2:3]
	s_cbranch_execz .LBB13_200
; %bb.199:
	v_add_u32_e32 v9, 0xffffff88, v28
	v_not_b32_e32 v24, 63
	v_cmp_lt_u32_e32 vcc, 63, v9
	s_mov_b32 s6, 0xfe5163ab
	v_mov_b32_e32 v27, 0
	v_cndmask_b32_e32 v24, 0, v24, vcc
	v_add_u32_e32 v9, v24, v9
	v_not_b32_e32 v24, 31
	v_cmp_lt_u32_e64 s[2:3], 31, v9
	s_nop 1
	v_cndmask_b32_e64 v26, 0, v24, s[2:3]
	v_add_u32_e32 v9, v26, v9
	v_cmp_lt_u32_e64 s[4:5], 31, v9
	s_nop 1
	v_cndmask_b32_e64 v24, 0, v24, s[4:5]
	v_add_u32_e32 v9, v24, v9
	v_and_b32_e32 v24, 0x7fffff, v8
	v_or_b32_e32 v24, 0x800000, v24
	v_mad_u64_u32 v[30:31], s[6:7], v24, s6, 0
	v_mov_b32_e32 v26, v31
	s_mov_b32 s6, 0x3c439041
	v_mad_u64_u32 v[32:33], s[6:7], v24, s6, v[26:27]
	v_mov_b32_e32 v26, v33
	s_mov_b32 s6, 0xdb629599
	;; [unrolled: 3-line block ×6, first 2 shown]
	v_mad_u64_u32 v[26:27], s[6:7], v24, s6, v[26:27]
	v_cndmask_b32_e32 v29, v48, v36, vcc
	v_cndmask_b32_e32 v24, v26, v38, vcc
	;; [unrolled: 1-line block ×3, first 2 shown]
	v_cndmask_b32_e64 v26, v24, v29, s[2:3]
	v_cndmask_b32_e64 v24, v27, v24, s[2:3]
	v_cndmask_b32_e32 v27, v38, v34, vcc
	v_cndmask_b32_e64 v29, v29, v27, s[2:3]
	v_cndmask_b32_e64 v24, v24, v26, s[4:5]
	;; [unrolled: 1-line block ×3, first 2 shown]
	v_sub_u32_e32 v31, 32, v9
	v_alignbit_b32 v33, v24, v26, v31
	v_cmp_eq_u32_e64 s[6:7], 0, v9
	v_cndmask_b32_e32 v30, v34, v30, vcc
	s_nop 0
	v_cndmask_b32_e64 v9, v33, v24, s[6:7]
	v_cndmask_b32_e32 v24, v36, v32, vcc
	v_cndmask_b32_e64 v27, v27, v24, s[2:3]
	v_cndmask_b32_e64 v29, v29, v27, s[4:5]
	v_alignbit_b32 v32, v26, v29, v31
	v_cndmask_b32_e64 v26, v32, v26, s[6:7]
	v_bfe_u32 v35, v9, 29, 1
	v_cndmask_b32_e64 v24, v24, v30, s[2:3]
	v_alignbit_b32 v32, v9, v26, 30
	v_sub_u32_e32 v36, 0, v35
	v_cndmask_b32_e64 v24, v27, v24, s[4:5]
	v_xor_b32_e32 v37, v32, v36
	v_alignbit_b32 v27, v29, v24, v31
	v_cndmask_b32_e64 v27, v27, v29, s[6:7]
	v_ffbh_u32_e32 v29, v37
	v_add_u32_e32 v29, 1, v29
	v_cmp_ne_u32_e32 vcc, v32, v36
	v_alignbit_b32 v26, v26, v27, 30
	v_alignbit_b32 v24, v27, v24, 30
	v_cndmask_b32_e32 v29, 33, v29, vcc
	v_xor_b32_e32 v26, v26, v36
	v_sub_u32_e32 v30, 32, v29
	v_xor_b32_e32 v24, v24, v36
	v_alignbit_b32 v31, v37, v26, v30
	v_alignbit_b32 v24, v26, v24, v30
	;; [unrolled: 1-line block ×3, first 2 shown]
	v_ffbh_u32_e32 v27, v26
	v_min_u32_e32 v27, 32, v27
	v_lshrrev_b32_e32 v33, 29, v9
	v_sub_u32_e32 v30, 31, v27
	v_alignbit_b32 v24, v26, v24, v30
	v_lshlrev_b32_e32 v26, 31, v33
	v_or_b32_e32 v30, 0x33800000, v26
	v_add_lshl_u32 v27, v27, v29, 23
	v_lshrrev_b32_e32 v24, 9, v24
	v_sub_u32_e32 v27, v30, v27
	v_or_b32_e32 v24, v27, v24
	v_alignbit_b32 v27, v29, v31, 9
	v_or_b32_e32 v26, v27, v26
	v_xor_b32_e32 v26, 1.0, v26
	s_mov_b32 s2, 0x3fc90fda
	v_mul_f32_e32 v27, 0x3fc90fda, v26
	v_fma_f32 v29, v26, s2, -v27
	v_fmamk_f32 v26, v26, 0x33a22168, v29
	v_fmac_f32_e32 v26, 0x3fc90fda, v24
	v_lshrrev_b32_e32 v9, 30, v9
	v_add_f32_e32 v24, v27, v26
	v_add_u32_e32 v9, v35, v9
	s_andn2_saveexec_b64 s[2:3], s[14:15]
	s_branch .LBB13_201
.LBB13_200:
	s_andn2_saveexec_b64 s[2:3], s[14:15]
.LBB13_201:
	s_mov_b32 s4, 0x3f22f983
	v_mul_f32_e64 v9, |v2|, s4
	v_rndne_f32_e32 v24, v9
	s_mov_b32 s4, 0xbfc90fda
	v_cvt_i32_f32_e32 v9, v24
	v_fma_f32 v26, v24, s4, |v2|
	v_fmamk_f32 v26, v24, 0xb3a22168, v26
	v_fmamk_f32 v24, v24, 0xa7c234c4, v26
; %bb.202:
	s_or_b64 exec, exec, s[2:3]
                                        ; implicit-def: $vgpr26
                                        ; implicit-def: $vgpr27
	s_and_saveexec_b64 s[2:3], s[12:13]
	s_xor_b64 s[12:13], exec, s[2:3]
	s_cbranch_execz .LBB13_204
; %bb.203:
	v_add_u32_e32 v26, 0xffffff88, v28
	v_not_b32_e32 v28, 63
	v_cmp_lt_u32_e32 vcc, 63, v26
	s_mov_b32 s6, 0xfe5163ab
	v_mov_b32_e32 v27, 0
	v_cndmask_b32_e32 v28, 0, v28, vcc
	v_add_u32_e32 v26, v28, v26
	v_not_b32_e32 v28, 31
	v_cmp_lt_u32_e64 s[2:3], 31, v26
	s_nop 1
	v_cndmask_b32_e64 v29, 0, v28, s[2:3]
	v_add_u32_e32 v26, v29, v26
	v_cmp_lt_u32_e64 s[4:5], 31, v26
	s_nop 1
	v_cndmask_b32_e64 v28, 0, v28, s[4:5]
	v_add_u32_e32 v48, v28, v26
	v_and_b32_e32 v26, 0x7fffff, v8
	v_or_b32_e32 v49, 0x800000, v26
	v_mad_u64_u32 v[28:29], s[6:7], v49, s6, 0
	v_mov_b32_e32 v26, v29
	s_mov_b32 s6, 0x3c439041
	v_mad_u64_u32 v[30:31], s[6:7], v49, s6, v[26:27]
	v_mov_b32_e32 v26, v31
	s_mov_b32 s6, 0xdb629599
	;; [unrolled: 3-line block ×6, first 2 shown]
	v_mad_u64_u32 v[26:27], s[6:7], v49, s6, v[26:27]
	v_cndmask_b32_e32 v29, v38, v34, vcc
	v_cndmask_b32_e32 v26, v26, v36, vcc
	;; [unrolled: 1-line block ×3, first 2 shown]
	v_cndmask_b32_e64 v31, v26, v29, s[2:3]
	v_cndmask_b32_e64 v26, v27, v26, s[2:3]
	v_cndmask_b32_e32 v27, v36, v32, vcc
	v_cndmask_b32_e64 v29, v29, v27, s[2:3]
	v_cndmask_b32_e32 v30, v34, v30, vcc
	v_cndmask_b32_e64 v26, v26, v31, s[4:5]
	v_cndmask_b32_e64 v31, v31, v29, s[4:5]
	v_sub_u32_e32 v33, 32, v48
	v_cndmask_b32_e64 v27, v27, v30, s[2:3]
	v_alignbit_b32 v35, v26, v31, v33
	v_cmp_eq_u32_e64 s[6:7], 0, v48
	v_cndmask_b32_e64 v29, v29, v27, s[4:5]
	v_alignbit_b32 v34, v31, v29, v33
	v_cndmask_b32_e64 v26, v35, v26, s[6:7]
	v_cndmask_b32_e64 v31, v34, v31, s[6:7]
	v_bfe_u32 v36, v26, 29, 1
	v_cndmask_b32_e32 v28, v32, v28, vcc
	v_alignbit_b32 v34, v26, v31, 30
	v_sub_u32_e32 v37, 0, v36
	v_cndmask_b32_e64 v28, v30, v28, s[2:3]
	v_xor_b32_e32 v38, v34, v37
	v_cndmask_b32_e64 v27, v27, v28, s[4:5]
	v_alignbit_b32 v28, v29, v27, v33
	v_ffbh_u32_e32 v30, v38
	v_cndmask_b32_e64 v28, v28, v29, s[6:7]
	v_add_u32_e32 v30, 1, v30
	v_cmp_ne_u32_e32 vcc, v34, v37
	v_alignbit_b32 v29, v31, v28, 30
	v_alignbit_b32 v27, v28, v27, 30
	v_cndmask_b32_e32 v30, 33, v30, vcc
	v_xor_b32_e32 v29, v29, v37
	v_sub_u32_e32 v31, 32, v30
	v_xor_b32_e32 v27, v27, v37
	v_alignbit_b32 v32, v38, v29, v31
	v_alignbit_b32 v27, v29, v27, v31
	;; [unrolled: 1-line block ×3, first 2 shown]
	v_ffbh_u32_e32 v29, v28
	v_min_u32_e32 v29, 32, v29
	v_lshrrev_b32_e32 v35, 29, v26
	v_sub_u32_e32 v31, 31, v29
	v_alignbit_b32 v27, v28, v27, v31
	v_lshlrev_b32_e32 v28, 31, v35
	v_or_b32_e32 v31, 0x33800000, v28
	v_add_lshl_u32 v29, v29, v30, 23
	v_lshrrev_b32_e32 v27, 9, v27
	v_sub_u32_e32 v29, v31, v29
	v_or_b32_e32 v27, v29, v27
	v_alignbit_b32 v29, v30, v32, 9
	v_or_b32_e32 v28, v29, v28
	v_xor_b32_e32 v28, 1.0, v28
	s_mov_b32 s2, 0x3fc90fda
	v_mul_f32_e32 v29, 0x3fc90fda, v28
	v_fma_f32 v30, v28, s2, -v29
	v_fmamk_f32 v28, v28, 0x33a22168, v30
	v_fmac_f32_e32 v28, 0x3fc90fda, v27
	v_lshrrev_b32_e32 v26, 30, v26
	v_add_f32_e32 v27, v29, v28
	v_add_u32_e32 v26, v36, v26
	s_andn2_saveexec_b64 s[2:3], s[12:13]
	s_cbranch_execnz .LBB13_205
	s_branch .LBB13_206
.LBB13_204:
	s_andn2_saveexec_b64 s[2:3], s[12:13]
.LBB13_205:
	s_mov_b32 s4, 0x3f22f983
	v_mul_f32_e64 v26, |v2|, s4
	v_rndne_f32_e32 v27, v26
	s_mov_b32 s4, 0xbfc90fda
	v_cvt_i32_f32_e32 v26, v27
	v_fma_f32 v28, v27, s4, |v2|
	v_fmamk_f32 v28, v27, 0xb3a22168, v28
	v_fmamk_f32 v27, v27, 0xa7c234c4, v28
.LBB13_206:
	s_or_b64 exec, exec, s[2:3]
	v_mul_f32_e32 v28, v25, v25
	s_mov_b32 s4, 0x41c80000
	v_div_scale_f32 v29, s[2:3], v28, v28, s4
	v_rcp_f32_e32 v30, v29
	v_xor_b32_e32 v8, v8, v2
	s_mov_b32 s6, 0x40a00000
	v_mov_b32_e32 v37, 0xbf000004
	v_fma_f32 v31, -v29, v30, 1.0
	v_fmac_f32_e32 v30, v31, v30
	v_div_scale_f32 v31, vcc, s4, v28, s4
	v_mul_f32_e32 v32, v31, v30
	v_fma_f32 v33, -v29, v32, v31
	v_fmac_f32_e32 v32, v33, v30
	v_fma_f32 v29, -v29, v32, v31
	v_div_fmas_f32 v29, v29, v30, v32
	v_div_fixup_f32 v28, v29, v28, s4
	v_mov_b32_e32 v29, 0x3a50e985
	v_mov_b32_e32 v30, 0x3a725406
	v_fmac_f32_e32 v29, 0, v28
	v_fmac_f32_e32 v30, 0, v28
	v_fmaak_f32 v29, v28, v29, 0x3da9a586
	v_fmaak_f32 v30, v28, v30, 0x3daf5e2d
	;; [unrolled: 1-line block ×8, first 2 shown]
	v_mov_b32_e32 v31, 0xbc3a3a12
	v_fmaak_f32 v29, v28, v29, 0x40a9b425
	v_fmaak_f32 v30, v28, v30, 0x40a9cb2f
	v_fmac_f32_e32 v31, 0, v28
	v_mov_b32_e32 v32, 0x4280a2ba
	v_fma_f32 v30, v28, v30, 1.0
	v_fmaak_f32 v31, v28, v31, 0xbfa429da
	v_fmac_f32_e32 v32, 0, v28
	v_fma_f32 v29, v28, v29, 1.0
	v_fmaak_f32 v31, v28, v31, 0xc19c6e80
	v_fmaak_f32 v32, v28, v32, 0x44561b86
	v_div_scale_f32 v33, s[2:3], v30, v30, v29
	v_fmaak_f32 v31, v28, v31, 0xc2ba697b
	v_fmaak_f32 v32, v28, v32, 0x4572a66e
	v_rcp_f32_e32 v34, v33
	v_fmaak_f32 v31, v28, v31, 0xc331ae61
	v_fmaak_f32 v32, v28, v32, 0x45e243be
	;; [unrolled: 1-line block ×8, first 2 shown]
	v_fma_f32 v32, -v33, v34, 1.0
	v_fmac_f32_e32 v34, v32, v34
	v_div_scale_f32 v32, vcc, v29, v30, v29
	v_mul_f32_e32 v35, v32, v34
	v_fma_f32 v36, -v33, v35, v32
	v_fmac_f32_e32 v35, v36, v34
	v_fma_f32 v32, -v33, v35, v32
	v_div_fmas_f32 v32, v32, v34, v35
	v_div_fixup_f32 v29, v32, v30, v29
	v_mul_f32_e32 v30, v24, v24
	v_mov_b32_e32 v32, 0x3c0881c4
	v_fmamk_f32 v33, v30, 0xb94c1982, v32
	v_fmaak_f32 v33, v30, v33, 0xbe2aaa9d
	v_mul_f32_e32 v33, v30, v33
	v_fmac_f32_e32 v24, v24, v33
	v_mov_b32_e32 v33, 0xbab64f3b
	v_fmamk_f32 v35, v30, 0x37d75334, v33
	v_fmaak_f32 v35, v30, v35, 0x3d2aabf7
	v_fmaak_f32 v35, v30, v35, 0xbf000004
	v_fma_f32 v30, v30, v35, 1.0
	v_and_b32_e32 v35, 1, v9
	v_lshlrev_b32_e32 v9, 30, v9
	v_cmp_eq_u32_e32 vcc, 0, v35
	v_and_b32_e32 v9, 0x80000000, v9
	v_xor_b32_e32 v8, v8, v9
	v_cndmask_b32_e32 v24, v30, v24, vcc
	v_div_scale_f32 v9, s[2:3], v25, v25, s6
	v_xor_b32_e32 v8, v8, v24
	v_rcp_f32_e32 v24, v9
	s_movk_i32 s4, 0x1f8
	v_mov_b32_e32 v30, 0x7fc00000
	v_cmp_class_f32_e64 s[2:3], v2, s4
	v_mov_b32_e32 v34, 0xbe2aaa9d
	v_mov_b32_e32 v36, 0x3d2aabf7
	v_cndmask_b32_e64 v2, v30, v8, s[2:3]
	v_fma_f32 v8, -v9, v24, 1.0
	v_fmac_f32_e32 v24, v8, v24
	v_div_scale_f32 v8, vcc, s6, v25, s6
	v_mul_f32_e32 v35, v8, v24
	v_fma_f32 v38, -v9, v35, v8
	v_fmac_f32_e32 v35, v38, v24
	v_fma_f32 v8, -v9, v35, v8
	v_div_scale_f32 v9, s[4:5], v28, v28, v31
	v_rcp_f32_e32 v38, v9
	v_div_fmas_f32 v8, v8, v24, v35
	v_div_fixup_f32 v8, v8, v25, s6
	v_fma_f32 v24, -v9, v38, 1.0
	v_fmac_f32_e32 v38, v24, v38
	v_div_scale_f32 v24, vcc, v31, v28, v31
	v_mul_f32_e32 v35, v24, v38
	v_fma_f32 v39, -v9, v35, v24
	v_fmac_f32_e32 v35, v39, v38
	v_fma_f32 v9, -v9, v35, v24
	v_div_fmas_f32 v9, v9, v38, v35
	v_div_fixup_f32 v9, v9, v28, v31
	v_mul_f32_e32 v8, v8, v9
	v_mul_f32_e32 v9, v27, v27
	v_fmac_f32_e32 v32, 0xb94c1982, v9
	v_fmac_f32_e32 v34, v9, v32
	;; [unrolled: 1-line block ×3, first 2 shown]
	v_mul_f32_e32 v24, v9, v34
	v_fmac_f32_e32 v36, v9, v33
	v_fmac_f32_e32 v27, v27, v24
	;; [unrolled: 1-line block ×3, first 2 shown]
	v_and_b32_e32 v24, 1, v26
	v_fma_f32 v9, v9, v37, 1.0
	v_cmp_eq_u32_e32 vcc, 0, v24
	v_lshlrev_b32_e32 v24, 30, v26
	v_and_b32_e32 v24, 0x80000000, v24
	v_cndmask_b32_e64 v9, -v27, v9, vcc
	v_xor_b32_e32 v9, v24, v9
	v_cndmask_b32_e64 v9, v30, v9, s[2:3]
	s_mov_b32 s2, 0xf800000
	v_mul_f32_e32 v24, 0x4f800000, v25
	v_cmp_gt_f32_e32 vcc, s2, v25
	v_mul_f32_e32 v8, v8, v9
	v_fmac_f32_e32 v8, v29, v2
	v_cndmask_b32_e32 v24, v25, v24, vcc
	v_sqrt_f32_e32 v25, v24
	v_mul_f32_e32 v2, 0x3f4c422a, v8
	v_add_u32_e32 v8, -1, v25
	v_fma_f32 v9, -v8, v25, v24
	v_cmp_ge_f32_e64 s[2:3], 0, v9
	v_add_u32_e32 v9, 1, v25
	s_nop 0
	v_cndmask_b32_e64 v8, v25, v8, s[2:3]
	v_fma_f32 v25, -v9, v25, v24
	v_cmp_lt_f32_e64 s[2:3], 0, v25
	s_nop 1
	v_cndmask_b32_e64 v8, v8, v9, s[2:3]
	v_mul_f32_e32 v9, 0x37800000, v8
	v_cndmask_b32_e32 v8, v8, v9, vcc
	v_mov_b32_e32 v9, 0x260
	v_cmp_class_f32_e32 vcc, v24, v9
	s_nop 1
	v_cndmask_b32_e32 v8, v8, v24, vcc
	v_div_scale_f32 v9, s[2:3], v8, v8, v2
	v_rcp_f32_e32 v24, v9
	s_nop 0
	v_fma_f32 v25, -v9, v24, 1.0
	v_fmac_f32_e32 v24, v25, v24
	v_div_scale_f32 v25, vcc, v2, v8, v2
	v_mul_f32_e32 v26, v25, v24
	v_fma_f32 v27, -v9, v26, v25
	v_fmac_f32_e32 v26, v27, v24
	v_fma_f32 v9, -v9, v26, v25
	v_div_fmas_f32 v9, v9, v24, v26
	v_div_fixup_f32 v24, v9, v8, v2
.LBB13_207:
	s_or_b64 exec, exec, s[10:11]
.LBB13_208:
	s_or_b64 exec, exec, s[8:9]
	v_or_b32_e32 v2, 0x800, v5
	v_cmp_lt_i32_e32 vcc, v2, v4
                                        ; implicit-def: $vgpr25
	s_and_saveexec_b64 s[8:9], vcc
	s_cbranch_execz .LBB13_230
; %bb.209:
	s_mov_b32 s2, 0x40a00000
	v_cmp_ge_f32_e32 vcc, s2, v23
                                        ; implicit-def: $vgpr25
	s_and_saveexec_b64 s[2:3], vcc
	s_xor_b64 s[4:5], exec, s[2:3]
	s_cbranch_execz .LBB13_219
; %bb.210:
	v_cmp_neq_f32_e32 vcc, 0, v23
	v_mov_b32_e32 v25, 0xff800000
	s_and_saveexec_b64 s[6:7], vcc
	s_cbranch_execz .LBB13_218
; %bb.211:
	v_cmp_ngt_f32_e32 vcc, 0, v23
	v_mov_b32_e32 v25, 0x7fc00000
	s_and_saveexec_b64 s[10:11], vcc
	s_cbranch_execz .LBB13_217
; %bb.212:
	v_mul_f32_e32 v2, v23, v23
	s_mov_b32 s2, 0x3727c5ac
	v_mul_f32_e32 v8, 0, v2
	v_cmp_ngt_f32_e32 vcc, s2, v23
                                        ; implicit-def: $vgpr9
	s_and_saveexec_b64 s[2:3], vcc
	s_xor_b64 s[2:3], exec, s[2:3]
	s_cbranch_execz .LBB13_214
; %bb.213:
	v_add_f32_e32 v9, 0x43f9c815, v8
	v_fmaak_f32 v9, v2, v9, 0x4829b65a
	v_fmaak_f32 v9, v2, v9, 0x4c38c9a1
	;; [unrolled: 1-line block ×3, first 2 shown]
	s_mov_b32 s12, 0xcf8ee29d
	v_mul_f32_e32 v9, v2, v9
	s_mov_b32 s13, 0x53f5f59c
	v_pk_add_f32 v[26:27], v[8:9], s[12:13]
	s_mov_b32 s12, 0x53e3ba8e
	s_mov_b32 s13, 0x578d3514
	v_pk_fma_f32 v[26:27], v[2:3], v[26:27], s[12:13] op_sel_hi:[0,1,1]
	s_mov_b32 s12, 0xd762b0a7
	s_mov_b32 s13, 0x5ae20a0c
	v_pk_fma_f32 v[26:27], v[2:3], v[26:27], s[12:13] op_sel_hi:[0,1,1]
	;; [unrolled: 3-line block ×3, first 2 shown]
	s_mov_b32 s12, 0xc0b90fdc
	s_mov_b32 s13, 0xc1f3c525
	v_pk_add_f32 v[28:29], v[2:3], s[12:13] op_sel_hi:[0,1]
	v_mul_f32_e32 v9, v28, v29
	v_mul_f32_e32 v9, v9, v26
	v_div_scale_f32 v25, s[12:13], v27, v27, v9
	v_rcp_f32_e32 v26, v25
	s_nop 0
	v_fma_f32 v28, -v25, v26, 1.0
	v_fmac_f32_e32 v26, v28, v26
	v_div_scale_f32 v28, vcc, v9, v27, v9
	v_mul_f32_e32 v29, v28, v26
	v_fma_f32 v30, -v25, v29, v28
	v_fmac_f32_e32 v29, v30, v26
	v_fma_f32 v25, -v25, v29, v28
	v_div_fmas_f32 v25, v25, v26, v29
	v_div_fixup_f32 v9, v25, v27, v9
.LBB13_214:
	s_andn2_saveexec_b64 s[2:3], s[2:3]
; %bb.215:
	v_mov_b32_e32 v9, 1.0
	v_fmamk_f32 v9, v2, 0xbe800000, v9
; %bb.216:
	s_or_b64 exec, exec, s[2:3]
	v_add_f32_e32 v25, 0x4673a1bf, v8
	v_fmaak_f32 v25, v2, v25, 0xcb5fc0fa
	v_add_f32_e32 v8, 0x44822913, v8
	v_fmaak_f32 v25, v2, v25, 0x4fa1fbc8
	v_fmaak_f32 v8, v2, v8, 0x4918dbb5
	;; [unrolled: 1-line block ×12, first 2 shown]
	v_div_scale_f32 v25, s[2:3], v8, v8, v2
	v_rcp_f32_e32 v26, v25
	s_mov_b32 s2, 0x800000
	v_cmp_gt_f32_e64 s[2:3], s2, v23
	s_mov_b32 s12, 0x3f317217
	v_fma_f32 v27, -v25, v26, 1.0
	v_fmac_f32_e32 v26, v27, v26
	v_div_scale_f32 v27, vcc, v2, v8, v2
	v_mul_f32_e32 v28, v27, v26
	v_fma_f32 v29, -v25, v28, v27
	v_fmac_f32_e32 v28, v29, v26
	v_fma_f32 v25, -v25, v28, v27
	v_mov_b32_e32 v27, 0x4f800000
	v_cndmask_b32_e64 v27, 1.0, v27, s[2:3]
	v_mul_f32_e32 v23, v23, v27
	v_log_f32_e32 v23, v23
	v_div_fmas_f32 v25, v25, v26, v28
	v_div_fixup_f32 v25, v25, v8, v2
	v_mul_f32_e32 v2, 0x3f317217, v23
	v_fma_f32 v8, v23, s12, -v2
	v_fmamk_f32 v8, v23, 0x3377d1cf, v8
	s_mov_b32 s12, 0x7f800000
	v_add_f32_e32 v2, v2, v8
	v_cmp_lt_f32_e64 vcc, |v23|, s12
	v_mov_b32_e32 v8, 0x41b17218
	v_cndmask_b32_e64 v8, 0, v8, s[2:3]
	v_cndmask_b32_e32 v2, v23, v2, vcc
	v_sub_f32_e32 v2, v2, v8
	v_mul_f32_e32 v2, 0x3f22f983, v2
	v_fmac_f32_e32 v25, v2, v9
.LBB13_217:
	s_or_b64 exec, exec, s[10:11]
.LBB13_218:
	s_or_b64 exec, exec, s[6:7]
                                        ; implicit-def: $vgpr23
.LBB13_219:
	s_andn2_saveexec_b64 s[10:11], s[4:5]
	s_cbranch_execz .LBB13_229
; %bb.220:
	v_add_f32_e32 v2, 0xbf490fdb, v23
	v_and_b32_e32 v8, 0x7fffffff, v2
	s_brev_b32 s2, 18
	v_cmp_nlt_f32_e64 s[12:13], |v2|, s2
	v_lshrrev_b32_e32 v28, 23, v8
                                        ; implicit-def: $vgpr9
                                        ; implicit-def: $vgpr25
	s_and_saveexec_b64 s[2:3], s[12:13]
	s_xor_b64 s[14:15], exec, s[2:3]
	s_cbranch_execz .LBB13_222
; %bb.221:
	v_add_u32_e32 v9, 0xffffff88, v28
	v_not_b32_e32 v25, 63
	v_cmp_lt_u32_e32 vcc, 63, v9
	s_mov_b32 s6, 0xfe5163ab
	v_mov_b32_e32 v27, 0
	v_cndmask_b32_e32 v25, 0, v25, vcc
	v_add_u32_e32 v9, v25, v9
	v_not_b32_e32 v25, 31
	v_cmp_lt_u32_e64 s[2:3], 31, v9
	s_nop 1
	v_cndmask_b32_e64 v26, 0, v25, s[2:3]
	v_add_u32_e32 v9, v26, v9
	v_cmp_lt_u32_e64 s[4:5], 31, v9
	s_nop 1
	v_cndmask_b32_e64 v25, 0, v25, s[4:5]
	v_add_u32_e32 v9, v25, v9
	v_and_b32_e32 v25, 0x7fffff, v8
	v_or_b32_e32 v25, 0x800000, v25
	v_mad_u64_u32 v[30:31], s[6:7], v25, s6, 0
	v_mov_b32_e32 v26, v31
	s_mov_b32 s6, 0x3c439041
	v_mad_u64_u32 v[32:33], s[6:7], v25, s6, v[26:27]
	v_mov_b32_e32 v26, v33
	s_mov_b32 s6, 0xdb629599
	;; [unrolled: 3-line block ×6, first 2 shown]
	v_mad_u64_u32 v[26:27], s[6:7], v25, s6, v[26:27]
	v_cndmask_b32_e32 v29, v48, v36, vcc
	v_cndmask_b32_e32 v25, v26, v38, vcc
	;; [unrolled: 1-line block ×3, first 2 shown]
	v_cndmask_b32_e64 v26, v25, v29, s[2:3]
	v_cndmask_b32_e64 v25, v27, v25, s[2:3]
	v_cndmask_b32_e32 v27, v38, v34, vcc
	v_cndmask_b32_e64 v29, v29, v27, s[2:3]
	v_cndmask_b32_e64 v25, v25, v26, s[4:5]
	;; [unrolled: 1-line block ×3, first 2 shown]
	v_sub_u32_e32 v31, 32, v9
	v_alignbit_b32 v33, v25, v26, v31
	v_cmp_eq_u32_e64 s[6:7], 0, v9
	v_cndmask_b32_e32 v30, v34, v30, vcc
	s_nop 0
	v_cndmask_b32_e64 v9, v33, v25, s[6:7]
	v_cndmask_b32_e32 v25, v36, v32, vcc
	v_cndmask_b32_e64 v27, v27, v25, s[2:3]
	v_cndmask_b32_e64 v29, v29, v27, s[4:5]
	v_alignbit_b32 v32, v26, v29, v31
	v_cndmask_b32_e64 v26, v32, v26, s[6:7]
	v_bfe_u32 v35, v9, 29, 1
	v_cndmask_b32_e64 v25, v25, v30, s[2:3]
	v_alignbit_b32 v32, v9, v26, 30
	v_sub_u32_e32 v36, 0, v35
	v_cndmask_b32_e64 v25, v27, v25, s[4:5]
	v_xor_b32_e32 v37, v32, v36
	v_alignbit_b32 v27, v29, v25, v31
	v_cndmask_b32_e64 v27, v27, v29, s[6:7]
	v_ffbh_u32_e32 v29, v37
	v_add_u32_e32 v29, 1, v29
	v_cmp_ne_u32_e32 vcc, v32, v36
	v_alignbit_b32 v26, v26, v27, 30
	v_alignbit_b32 v25, v27, v25, 30
	v_cndmask_b32_e32 v29, 33, v29, vcc
	v_xor_b32_e32 v26, v26, v36
	v_sub_u32_e32 v30, 32, v29
	v_xor_b32_e32 v25, v25, v36
	v_alignbit_b32 v31, v37, v26, v30
	v_alignbit_b32 v25, v26, v25, v30
	;; [unrolled: 1-line block ×3, first 2 shown]
	v_ffbh_u32_e32 v27, v26
	v_min_u32_e32 v27, 32, v27
	v_lshrrev_b32_e32 v33, 29, v9
	v_sub_u32_e32 v30, 31, v27
	v_alignbit_b32 v25, v26, v25, v30
	v_lshlrev_b32_e32 v26, 31, v33
	v_or_b32_e32 v30, 0x33800000, v26
	v_add_lshl_u32 v27, v27, v29, 23
	v_lshrrev_b32_e32 v25, 9, v25
	v_sub_u32_e32 v27, v30, v27
	v_or_b32_e32 v25, v27, v25
	v_alignbit_b32 v27, v29, v31, 9
	v_or_b32_e32 v26, v27, v26
	v_xor_b32_e32 v26, 1.0, v26
	s_mov_b32 s2, 0x3fc90fda
	v_mul_f32_e32 v27, 0x3fc90fda, v26
	v_fma_f32 v29, v26, s2, -v27
	v_fmamk_f32 v26, v26, 0x33a22168, v29
	v_fmac_f32_e32 v26, 0x3fc90fda, v25
	v_lshrrev_b32_e32 v9, 30, v9
	v_add_f32_e32 v25, v27, v26
	v_add_u32_e32 v9, v35, v9
	s_andn2_saveexec_b64 s[2:3], s[14:15]
	s_branch .LBB13_223
.LBB13_222:
	s_andn2_saveexec_b64 s[2:3], s[14:15]
.LBB13_223:
	s_mov_b32 s4, 0x3f22f983
	v_mul_f32_e64 v9, |v2|, s4
	v_rndne_f32_e32 v25, v9
	s_mov_b32 s4, 0xbfc90fda
	v_cvt_i32_f32_e32 v9, v25
	v_fma_f32 v26, v25, s4, |v2|
	v_fmamk_f32 v26, v25, 0xb3a22168, v26
	v_fmamk_f32 v25, v25, 0xa7c234c4, v26
; %bb.224:
	s_or_b64 exec, exec, s[2:3]
                                        ; implicit-def: $vgpr26
                                        ; implicit-def: $vgpr27
	s_and_saveexec_b64 s[2:3], s[12:13]
	s_xor_b64 s[12:13], exec, s[2:3]
	s_cbranch_execz .LBB13_226
; %bb.225:
	v_add_u32_e32 v26, 0xffffff88, v28
	v_not_b32_e32 v28, 63
	v_cmp_lt_u32_e32 vcc, 63, v26
	s_mov_b32 s6, 0xfe5163ab
	v_mov_b32_e32 v27, 0
	v_cndmask_b32_e32 v28, 0, v28, vcc
	v_add_u32_e32 v26, v28, v26
	v_not_b32_e32 v28, 31
	v_cmp_lt_u32_e64 s[2:3], 31, v26
	s_nop 1
	v_cndmask_b32_e64 v29, 0, v28, s[2:3]
	v_add_u32_e32 v26, v29, v26
	v_cmp_lt_u32_e64 s[4:5], 31, v26
	s_nop 1
	v_cndmask_b32_e64 v28, 0, v28, s[4:5]
	v_add_u32_e32 v48, v28, v26
	v_and_b32_e32 v26, 0x7fffff, v8
	v_or_b32_e32 v49, 0x800000, v26
	v_mad_u64_u32 v[28:29], s[6:7], v49, s6, 0
	v_mov_b32_e32 v26, v29
	s_mov_b32 s6, 0x3c439041
	v_mad_u64_u32 v[30:31], s[6:7], v49, s6, v[26:27]
	v_mov_b32_e32 v26, v31
	s_mov_b32 s6, 0xdb629599
	;; [unrolled: 3-line block ×6, first 2 shown]
	v_mad_u64_u32 v[26:27], s[6:7], v49, s6, v[26:27]
	v_cndmask_b32_e32 v29, v38, v34, vcc
	v_cndmask_b32_e32 v26, v26, v36, vcc
	;; [unrolled: 1-line block ×3, first 2 shown]
	v_cndmask_b32_e64 v31, v26, v29, s[2:3]
	v_cndmask_b32_e64 v26, v27, v26, s[2:3]
	v_cndmask_b32_e32 v27, v36, v32, vcc
	v_cndmask_b32_e64 v29, v29, v27, s[2:3]
	v_cndmask_b32_e32 v30, v34, v30, vcc
	v_cndmask_b32_e64 v26, v26, v31, s[4:5]
	v_cndmask_b32_e64 v31, v31, v29, s[4:5]
	v_sub_u32_e32 v33, 32, v48
	v_cndmask_b32_e64 v27, v27, v30, s[2:3]
	v_alignbit_b32 v35, v26, v31, v33
	v_cmp_eq_u32_e64 s[6:7], 0, v48
	v_cndmask_b32_e64 v29, v29, v27, s[4:5]
	v_alignbit_b32 v34, v31, v29, v33
	v_cndmask_b32_e64 v26, v35, v26, s[6:7]
	v_cndmask_b32_e64 v31, v34, v31, s[6:7]
	v_bfe_u32 v36, v26, 29, 1
	v_cndmask_b32_e32 v28, v32, v28, vcc
	v_alignbit_b32 v34, v26, v31, 30
	v_sub_u32_e32 v37, 0, v36
	v_cndmask_b32_e64 v28, v30, v28, s[2:3]
	v_xor_b32_e32 v38, v34, v37
	v_cndmask_b32_e64 v27, v27, v28, s[4:5]
	v_alignbit_b32 v28, v29, v27, v33
	v_ffbh_u32_e32 v30, v38
	v_cndmask_b32_e64 v28, v28, v29, s[6:7]
	v_add_u32_e32 v30, 1, v30
	v_cmp_ne_u32_e32 vcc, v34, v37
	v_alignbit_b32 v29, v31, v28, 30
	v_alignbit_b32 v27, v28, v27, 30
	v_cndmask_b32_e32 v30, 33, v30, vcc
	v_xor_b32_e32 v29, v29, v37
	v_sub_u32_e32 v31, 32, v30
	v_xor_b32_e32 v27, v27, v37
	v_alignbit_b32 v32, v38, v29, v31
	v_alignbit_b32 v27, v29, v27, v31
	v_alignbit_b32 v28, v32, v27, 9
	v_ffbh_u32_e32 v29, v28
	v_min_u32_e32 v29, 32, v29
	v_lshrrev_b32_e32 v35, 29, v26
	v_sub_u32_e32 v31, 31, v29
	v_alignbit_b32 v27, v28, v27, v31
	v_lshlrev_b32_e32 v28, 31, v35
	v_or_b32_e32 v31, 0x33800000, v28
	v_add_lshl_u32 v29, v29, v30, 23
	v_lshrrev_b32_e32 v27, 9, v27
	v_sub_u32_e32 v29, v31, v29
	v_or_b32_e32 v27, v29, v27
	v_alignbit_b32 v29, v30, v32, 9
	v_or_b32_e32 v28, v29, v28
	v_xor_b32_e32 v28, 1.0, v28
	s_mov_b32 s2, 0x3fc90fda
	v_mul_f32_e32 v29, 0x3fc90fda, v28
	v_fma_f32 v30, v28, s2, -v29
	v_fmamk_f32 v28, v28, 0x33a22168, v30
	v_fmac_f32_e32 v28, 0x3fc90fda, v27
	v_lshrrev_b32_e32 v26, 30, v26
	v_add_f32_e32 v27, v29, v28
	v_add_u32_e32 v26, v36, v26
	s_andn2_saveexec_b64 s[2:3], s[12:13]
	s_cbranch_execnz .LBB13_227
	s_branch .LBB13_228
.LBB13_226:
	s_andn2_saveexec_b64 s[2:3], s[12:13]
.LBB13_227:
	s_mov_b32 s4, 0x3f22f983
	v_mul_f32_e64 v26, |v2|, s4
	v_rndne_f32_e32 v27, v26
	s_mov_b32 s4, 0xbfc90fda
	v_cvt_i32_f32_e32 v26, v27
	v_fma_f32 v28, v27, s4, |v2|
	v_fmamk_f32 v28, v27, 0xb3a22168, v28
	v_fmamk_f32 v27, v27, 0xa7c234c4, v28
.LBB13_228:
	s_or_b64 exec, exec, s[2:3]
	v_mul_f32_e32 v28, v23, v23
	s_mov_b32 s4, 0x41c80000
	v_div_scale_f32 v29, s[2:3], v28, v28, s4
	v_rcp_f32_e32 v30, v29
	v_xor_b32_e32 v8, v8, v2
	s_mov_b32 s6, 0x40a00000
	v_mov_b32_e32 v37, 0xbf000004
	v_fma_f32 v31, -v29, v30, 1.0
	v_fmac_f32_e32 v30, v31, v30
	v_div_scale_f32 v31, vcc, s4, v28, s4
	v_mul_f32_e32 v32, v31, v30
	v_fma_f32 v33, -v29, v32, v31
	v_fmac_f32_e32 v32, v33, v30
	v_fma_f32 v29, -v29, v32, v31
	v_div_fmas_f32 v29, v29, v30, v32
	v_div_fixup_f32 v28, v29, v28, s4
	v_mov_b32_e32 v29, 0x3a50e985
	v_mov_b32_e32 v30, 0x3a725406
	v_fmac_f32_e32 v29, 0, v28
	v_fmac_f32_e32 v30, 0, v28
	v_fmaak_f32 v29, v28, v29, 0x3da9a586
	v_fmaak_f32 v30, v28, v30, 0x3daf5e2d
	;; [unrolled: 1-line block ×8, first 2 shown]
	v_mov_b32_e32 v31, 0xbc3a3a12
	v_fmaak_f32 v29, v28, v29, 0x40a9b425
	v_fmaak_f32 v30, v28, v30, 0x40a9cb2f
	v_fmac_f32_e32 v31, 0, v28
	v_mov_b32_e32 v32, 0x4280a2ba
	v_fma_f32 v30, v28, v30, 1.0
	v_fmaak_f32 v31, v28, v31, 0xbfa429da
	v_fmac_f32_e32 v32, 0, v28
	v_fma_f32 v29, v28, v29, 1.0
	v_fmaak_f32 v31, v28, v31, 0xc19c6e80
	v_fmaak_f32 v32, v28, v32, 0x44561b86
	v_div_scale_f32 v33, s[2:3], v30, v30, v29
	v_fmaak_f32 v31, v28, v31, 0xc2ba697b
	v_fmaak_f32 v32, v28, v32, 0x4572a66e
	v_rcp_f32_e32 v34, v33
	v_fmaak_f32 v31, v28, v31, 0xc331ae61
	v_fmaak_f32 v32, v28, v32, 0x45e243be
	;; [unrolled: 1-line block ×8, first 2 shown]
	v_fma_f32 v32, -v33, v34, 1.0
	v_fmac_f32_e32 v34, v32, v34
	v_div_scale_f32 v32, vcc, v29, v30, v29
	v_mul_f32_e32 v35, v32, v34
	v_fma_f32 v36, -v33, v35, v32
	v_fmac_f32_e32 v35, v36, v34
	v_fma_f32 v32, -v33, v35, v32
	v_div_fmas_f32 v32, v32, v34, v35
	v_div_fixup_f32 v29, v32, v30, v29
	v_mul_f32_e32 v30, v25, v25
	v_mov_b32_e32 v32, 0x3c0881c4
	v_fmamk_f32 v33, v30, 0xb94c1982, v32
	v_fmaak_f32 v33, v30, v33, 0xbe2aaa9d
	v_mul_f32_e32 v33, v30, v33
	v_fmac_f32_e32 v25, v25, v33
	v_mov_b32_e32 v33, 0xbab64f3b
	v_fmamk_f32 v35, v30, 0x37d75334, v33
	v_fmaak_f32 v35, v30, v35, 0x3d2aabf7
	v_fmaak_f32 v35, v30, v35, 0xbf000004
	v_fma_f32 v30, v30, v35, 1.0
	v_and_b32_e32 v35, 1, v9
	v_lshlrev_b32_e32 v9, 30, v9
	v_cmp_eq_u32_e32 vcc, 0, v35
	v_and_b32_e32 v9, 0x80000000, v9
	v_xor_b32_e32 v8, v8, v9
	v_cndmask_b32_e32 v25, v30, v25, vcc
	v_div_scale_f32 v9, s[2:3], v23, v23, s6
	v_xor_b32_e32 v8, v8, v25
	v_rcp_f32_e32 v25, v9
	s_movk_i32 s4, 0x1f8
	v_mov_b32_e32 v30, 0x7fc00000
	v_cmp_class_f32_e64 s[2:3], v2, s4
	v_mov_b32_e32 v34, 0xbe2aaa9d
	v_mov_b32_e32 v36, 0x3d2aabf7
	v_cndmask_b32_e64 v2, v30, v8, s[2:3]
	v_fma_f32 v8, -v9, v25, 1.0
	v_fmac_f32_e32 v25, v8, v25
	v_div_scale_f32 v8, vcc, s6, v23, s6
	v_mul_f32_e32 v35, v8, v25
	v_fma_f32 v38, -v9, v35, v8
	v_fmac_f32_e32 v35, v38, v25
	v_fma_f32 v8, -v9, v35, v8
	v_div_scale_f32 v9, s[4:5], v28, v28, v31
	v_rcp_f32_e32 v38, v9
	v_div_fmas_f32 v8, v8, v25, v35
	v_div_fixup_f32 v8, v8, v23, s6
	v_fma_f32 v25, -v9, v38, 1.0
	v_fmac_f32_e32 v38, v25, v38
	v_div_scale_f32 v25, vcc, v31, v28, v31
	v_mul_f32_e32 v35, v25, v38
	v_fma_f32 v39, -v9, v35, v25
	v_fmac_f32_e32 v35, v39, v38
	v_fma_f32 v9, -v9, v35, v25
	v_div_fmas_f32 v9, v9, v38, v35
	v_div_fixup_f32 v9, v9, v28, v31
	v_mul_f32_e32 v8, v8, v9
	v_mul_f32_e32 v9, v27, v27
	v_fmac_f32_e32 v32, 0xb94c1982, v9
	v_fmac_f32_e32 v34, v9, v32
	v_fmac_f32_e32 v33, 0x37d75334, v9
	v_mul_f32_e32 v25, v9, v34
	v_fmac_f32_e32 v36, v9, v33
	v_fmac_f32_e32 v27, v27, v25
	;; [unrolled: 1-line block ×3, first 2 shown]
	v_and_b32_e32 v25, 1, v26
	v_fma_f32 v9, v9, v37, 1.0
	v_cmp_eq_u32_e32 vcc, 0, v25
	v_lshlrev_b32_e32 v25, 30, v26
	v_and_b32_e32 v25, 0x80000000, v25
	v_cndmask_b32_e64 v9, -v27, v9, vcc
	v_xor_b32_e32 v9, v25, v9
	v_cndmask_b32_e64 v9, v30, v9, s[2:3]
	s_mov_b32 s2, 0xf800000
	v_mul_f32_e32 v25, 0x4f800000, v23
	v_cmp_gt_f32_e32 vcc, s2, v23
	v_mul_f32_e32 v8, v8, v9
	v_fmac_f32_e32 v8, v29, v2
	v_cndmask_b32_e32 v23, v23, v25, vcc
	v_sqrt_f32_e32 v25, v23
	v_mul_f32_e32 v2, 0x3f4c422a, v8
	v_add_u32_e32 v8, -1, v25
	v_fma_f32 v9, -v8, v25, v23
	v_cmp_ge_f32_e64 s[2:3], 0, v9
	v_add_u32_e32 v9, 1, v25
	s_nop 0
	v_cndmask_b32_e64 v8, v25, v8, s[2:3]
	v_fma_f32 v25, -v9, v25, v23
	v_cmp_lt_f32_e64 s[2:3], 0, v25
	s_nop 1
	v_cndmask_b32_e64 v8, v8, v9, s[2:3]
	v_mul_f32_e32 v9, 0x37800000, v8
	v_cndmask_b32_e32 v8, v8, v9, vcc
	v_mov_b32_e32 v9, 0x260
	v_cmp_class_f32_e32 vcc, v23, v9
	s_nop 1
	v_cndmask_b32_e32 v8, v8, v23, vcc
	v_div_scale_f32 v9, s[2:3], v8, v8, v2
	v_rcp_f32_e32 v23, v9
	s_nop 0
	v_fma_f32 v25, -v9, v23, 1.0
	v_fmac_f32_e32 v23, v25, v23
	v_div_scale_f32 v25, vcc, v2, v8, v2
	v_mul_f32_e32 v26, v25, v23
	v_fma_f32 v27, -v9, v26, v25
	v_fmac_f32_e32 v26, v27, v23
	v_fma_f32 v9, -v9, v26, v25
	v_div_fmas_f32 v9, v9, v23, v26
	v_div_fixup_f32 v25, v9, v8, v2
.LBB13_229:
	s_or_b64 exec, exec, s[10:11]
.LBB13_230:
	s_or_b64 exec, exec, s[8:9]
	v_add_u32_e32 v2, 0x900, v5
	v_cmp_lt_i32_e32 vcc, v2, v4
                                        ; implicit-def: $vgpr23
	s_and_saveexec_b64 s[8:9], vcc
	s_cbranch_execz .LBB13_252
; %bb.231:
	s_mov_b32 s2, 0x40a00000
	v_cmp_ge_f32_e32 vcc, s2, v21
                                        ; implicit-def: $vgpr23
	s_and_saveexec_b64 s[2:3], vcc
	s_xor_b64 s[4:5], exec, s[2:3]
	s_cbranch_execz .LBB13_241
; %bb.232:
	v_cmp_neq_f32_e32 vcc, 0, v21
	v_mov_b32_e32 v23, 0xff800000
	s_and_saveexec_b64 s[6:7], vcc
	s_cbranch_execz .LBB13_240
; %bb.233:
	v_cmp_ngt_f32_e32 vcc, 0, v21
	v_mov_b32_e32 v23, 0x7fc00000
	s_and_saveexec_b64 s[10:11], vcc
	s_cbranch_execz .LBB13_239
; %bb.234:
	v_mul_f32_e32 v2, v21, v21
	s_mov_b32 s2, 0x3727c5ac
	v_mul_f32_e32 v8, 0, v2
	v_cmp_ngt_f32_e32 vcc, s2, v21
                                        ; implicit-def: $vgpr9
	s_and_saveexec_b64 s[2:3], vcc
	s_xor_b64 s[2:3], exec, s[2:3]
	s_cbranch_execz .LBB13_236
; %bb.235:
	v_add_f32_e32 v9, 0x43f9c815, v8
	v_fmaak_f32 v9, v2, v9, 0x4829b65a
	v_fmaak_f32 v9, v2, v9, 0x4c38c9a1
	;; [unrolled: 1-line block ×3, first 2 shown]
	s_mov_b32 s12, 0xcf8ee29d
	v_mul_f32_e32 v9, v2, v9
	s_mov_b32 s13, 0x53f5f59c
	v_pk_add_f32 v[26:27], v[8:9], s[12:13]
	s_mov_b32 s12, 0x53e3ba8e
	s_mov_b32 s13, 0x578d3514
	v_pk_fma_f32 v[26:27], v[2:3], v[26:27], s[12:13] op_sel_hi:[0,1,1]
	s_mov_b32 s12, 0xd762b0a7
	s_mov_b32 s13, 0x5ae20a0c
	v_pk_fma_f32 v[26:27], v[2:3], v[26:27], s[12:13] op_sel_hi:[0,1,1]
	;; [unrolled: 3-line block ×3, first 2 shown]
	s_mov_b32 s12, 0xc0b90fdc
	s_mov_b32 s13, 0xc1f3c525
	v_pk_add_f32 v[28:29], v[2:3], s[12:13] op_sel_hi:[0,1]
	v_mul_f32_e32 v9, v28, v29
	v_mul_f32_e32 v9, v9, v26
	v_div_scale_f32 v23, s[12:13], v27, v27, v9
	v_rcp_f32_e32 v26, v23
	s_nop 0
	v_fma_f32 v28, -v23, v26, 1.0
	v_fmac_f32_e32 v26, v28, v26
	v_div_scale_f32 v28, vcc, v9, v27, v9
	v_mul_f32_e32 v29, v28, v26
	v_fma_f32 v30, -v23, v29, v28
	v_fmac_f32_e32 v29, v30, v26
	v_fma_f32 v23, -v23, v29, v28
	v_div_fmas_f32 v23, v23, v26, v29
	v_div_fixup_f32 v9, v23, v27, v9
.LBB13_236:
	s_andn2_saveexec_b64 s[2:3], s[2:3]
; %bb.237:
	v_mov_b32_e32 v9, 1.0
	v_fmamk_f32 v9, v2, 0xbe800000, v9
; %bb.238:
	s_or_b64 exec, exec, s[2:3]
	v_add_f32_e32 v23, 0x4673a1bf, v8
	v_fmaak_f32 v23, v2, v23, 0xcb5fc0fa
	v_add_f32_e32 v8, 0x44822913, v8
	v_fmaak_f32 v23, v2, v23, 0x4fa1fbc8
	v_fmaak_f32 v8, v2, v8, 0x4918dbb5
	;; [unrolled: 1-line block ×12, first 2 shown]
	v_div_scale_f32 v23, s[2:3], v8, v8, v2
	v_rcp_f32_e32 v26, v23
	s_mov_b32 s2, 0x800000
	v_cmp_gt_f32_e64 s[2:3], s2, v21
	s_mov_b32 s12, 0x3f317217
	v_fma_f32 v27, -v23, v26, 1.0
	v_fmac_f32_e32 v26, v27, v26
	v_div_scale_f32 v27, vcc, v2, v8, v2
	v_mul_f32_e32 v28, v27, v26
	v_fma_f32 v29, -v23, v28, v27
	v_fmac_f32_e32 v28, v29, v26
	v_fma_f32 v23, -v23, v28, v27
	v_mov_b32_e32 v27, 0x4f800000
	v_cndmask_b32_e64 v27, 1.0, v27, s[2:3]
	v_mul_f32_e32 v21, v21, v27
	v_log_f32_e32 v21, v21
	v_div_fmas_f32 v23, v23, v26, v28
	v_div_fixup_f32 v23, v23, v8, v2
	v_mul_f32_e32 v2, 0x3f317217, v21
	v_fma_f32 v8, v21, s12, -v2
	v_fmamk_f32 v8, v21, 0x3377d1cf, v8
	s_mov_b32 s12, 0x7f800000
	v_add_f32_e32 v2, v2, v8
	v_cmp_lt_f32_e64 vcc, |v21|, s12
	v_mov_b32_e32 v8, 0x41b17218
	v_cndmask_b32_e64 v8, 0, v8, s[2:3]
	v_cndmask_b32_e32 v2, v21, v2, vcc
	v_sub_f32_e32 v2, v2, v8
	v_mul_f32_e32 v2, 0x3f22f983, v2
	v_fmac_f32_e32 v23, v2, v9
.LBB13_239:
	s_or_b64 exec, exec, s[10:11]
.LBB13_240:
	s_or_b64 exec, exec, s[6:7]
                                        ; implicit-def: $vgpr21
.LBB13_241:
	s_andn2_saveexec_b64 s[10:11], s[4:5]
	s_cbranch_execz .LBB13_251
; %bb.242:
	v_add_f32_e32 v2, 0xbf490fdb, v21
	v_and_b32_e32 v8, 0x7fffffff, v2
	s_brev_b32 s2, 18
	v_cmp_nlt_f32_e64 s[12:13], |v2|, s2
	v_lshrrev_b32_e32 v28, 23, v8
                                        ; implicit-def: $vgpr9
                                        ; implicit-def: $vgpr23
	s_and_saveexec_b64 s[2:3], s[12:13]
	s_xor_b64 s[14:15], exec, s[2:3]
	s_cbranch_execz .LBB13_244
; %bb.243:
	v_add_u32_e32 v9, 0xffffff88, v28
	v_not_b32_e32 v23, 63
	v_cmp_lt_u32_e32 vcc, 63, v9
	s_mov_b32 s6, 0xfe5163ab
	v_mov_b32_e32 v27, 0
	v_cndmask_b32_e32 v23, 0, v23, vcc
	v_add_u32_e32 v9, v23, v9
	v_not_b32_e32 v23, 31
	v_cmp_lt_u32_e64 s[2:3], 31, v9
	s_nop 1
	v_cndmask_b32_e64 v26, 0, v23, s[2:3]
	v_add_u32_e32 v9, v26, v9
	v_cmp_lt_u32_e64 s[4:5], 31, v9
	s_nop 1
	v_cndmask_b32_e64 v23, 0, v23, s[4:5]
	v_add_u32_e32 v9, v23, v9
	v_and_b32_e32 v23, 0x7fffff, v8
	v_or_b32_e32 v23, 0x800000, v23
	v_mad_u64_u32 v[30:31], s[6:7], v23, s6, 0
	v_mov_b32_e32 v26, v31
	s_mov_b32 s6, 0x3c439041
	v_mad_u64_u32 v[32:33], s[6:7], v23, s6, v[26:27]
	v_mov_b32_e32 v26, v33
	s_mov_b32 s6, 0xdb629599
	;; [unrolled: 3-line block ×6, first 2 shown]
	v_mad_u64_u32 v[26:27], s[6:7], v23, s6, v[26:27]
	v_cndmask_b32_e32 v29, v48, v36, vcc
	v_cndmask_b32_e32 v23, v26, v38, vcc
	;; [unrolled: 1-line block ×3, first 2 shown]
	v_cndmask_b32_e64 v26, v23, v29, s[2:3]
	v_cndmask_b32_e64 v23, v27, v23, s[2:3]
	v_cndmask_b32_e32 v27, v38, v34, vcc
	v_cndmask_b32_e64 v29, v29, v27, s[2:3]
	v_cndmask_b32_e64 v23, v23, v26, s[4:5]
	;; [unrolled: 1-line block ×3, first 2 shown]
	v_sub_u32_e32 v31, 32, v9
	v_alignbit_b32 v33, v23, v26, v31
	v_cmp_eq_u32_e64 s[6:7], 0, v9
	v_cndmask_b32_e32 v30, v34, v30, vcc
	s_nop 0
	v_cndmask_b32_e64 v9, v33, v23, s[6:7]
	v_cndmask_b32_e32 v23, v36, v32, vcc
	v_cndmask_b32_e64 v27, v27, v23, s[2:3]
	v_cndmask_b32_e64 v29, v29, v27, s[4:5]
	v_alignbit_b32 v32, v26, v29, v31
	v_cndmask_b32_e64 v26, v32, v26, s[6:7]
	v_bfe_u32 v35, v9, 29, 1
	v_cndmask_b32_e64 v23, v23, v30, s[2:3]
	v_alignbit_b32 v32, v9, v26, 30
	v_sub_u32_e32 v36, 0, v35
	v_cndmask_b32_e64 v23, v27, v23, s[4:5]
	v_xor_b32_e32 v37, v32, v36
	v_alignbit_b32 v27, v29, v23, v31
	v_cndmask_b32_e64 v27, v27, v29, s[6:7]
	v_ffbh_u32_e32 v29, v37
	v_add_u32_e32 v29, 1, v29
	v_cmp_ne_u32_e32 vcc, v32, v36
	v_alignbit_b32 v26, v26, v27, 30
	v_alignbit_b32 v23, v27, v23, 30
	v_cndmask_b32_e32 v29, 33, v29, vcc
	v_xor_b32_e32 v26, v26, v36
	v_sub_u32_e32 v30, 32, v29
	v_xor_b32_e32 v23, v23, v36
	v_alignbit_b32 v31, v37, v26, v30
	v_alignbit_b32 v23, v26, v23, v30
	;; [unrolled: 1-line block ×3, first 2 shown]
	v_ffbh_u32_e32 v27, v26
	v_min_u32_e32 v27, 32, v27
	v_lshrrev_b32_e32 v33, 29, v9
	v_sub_u32_e32 v30, 31, v27
	v_alignbit_b32 v23, v26, v23, v30
	v_lshlrev_b32_e32 v26, 31, v33
	v_or_b32_e32 v30, 0x33800000, v26
	v_add_lshl_u32 v27, v27, v29, 23
	v_lshrrev_b32_e32 v23, 9, v23
	v_sub_u32_e32 v27, v30, v27
	v_or_b32_e32 v23, v27, v23
	v_alignbit_b32 v27, v29, v31, 9
	v_or_b32_e32 v26, v27, v26
	v_xor_b32_e32 v26, 1.0, v26
	s_mov_b32 s2, 0x3fc90fda
	v_mul_f32_e32 v27, 0x3fc90fda, v26
	v_fma_f32 v29, v26, s2, -v27
	v_fmamk_f32 v26, v26, 0x33a22168, v29
	v_fmac_f32_e32 v26, 0x3fc90fda, v23
	v_lshrrev_b32_e32 v9, 30, v9
	v_add_f32_e32 v23, v27, v26
	v_add_u32_e32 v9, v35, v9
	s_andn2_saveexec_b64 s[2:3], s[14:15]
	s_branch .LBB13_245
.LBB13_244:
	s_andn2_saveexec_b64 s[2:3], s[14:15]
.LBB13_245:
	s_mov_b32 s4, 0x3f22f983
	v_mul_f32_e64 v9, |v2|, s4
	v_rndne_f32_e32 v23, v9
	s_mov_b32 s4, 0xbfc90fda
	v_cvt_i32_f32_e32 v9, v23
	v_fma_f32 v26, v23, s4, |v2|
	v_fmamk_f32 v26, v23, 0xb3a22168, v26
	v_fmamk_f32 v23, v23, 0xa7c234c4, v26
; %bb.246:
	s_or_b64 exec, exec, s[2:3]
                                        ; implicit-def: $vgpr26
                                        ; implicit-def: $vgpr27
	s_and_saveexec_b64 s[2:3], s[12:13]
	s_xor_b64 s[12:13], exec, s[2:3]
	s_cbranch_execz .LBB13_248
; %bb.247:
	v_add_u32_e32 v26, 0xffffff88, v28
	v_not_b32_e32 v28, 63
	v_cmp_lt_u32_e32 vcc, 63, v26
	s_mov_b32 s6, 0xfe5163ab
	v_mov_b32_e32 v27, 0
	v_cndmask_b32_e32 v28, 0, v28, vcc
	v_add_u32_e32 v26, v28, v26
	v_not_b32_e32 v28, 31
	v_cmp_lt_u32_e64 s[2:3], 31, v26
	s_nop 1
	v_cndmask_b32_e64 v29, 0, v28, s[2:3]
	v_add_u32_e32 v26, v29, v26
	v_cmp_lt_u32_e64 s[4:5], 31, v26
	s_nop 1
	v_cndmask_b32_e64 v28, 0, v28, s[4:5]
	v_add_u32_e32 v48, v28, v26
	v_and_b32_e32 v26, 0x7fffff, v8
	v_or_b32_e32 v49, 0x800000, v26
	v_mad_u64_u32 v[28:29], s[6:7], v49, s6, 0
	v_mov_b32_e32 v26, v29
	s_mov_b32 s6, 0x3c439041
	v_mad_u64_u32 v[30:31], s[6:7], v49, s6, v[26:27]
	v_mov_b32_e32 v26, v31
	s_mov_b32 s6, 0xdb629599
	;; [unrolled: 3-line block ×6, first 2 shown]
	v_mad_u64_u32 v[26:27], s[6:7], v49, s6, v[26:27]
	v_cndmask_b32_e32 v29, v38, v34, vcc
	v_cndmask_b32_e32 v26, v26, v36, vcc
	;; [unrolled: 1-line block ×3, first 2 shown]
	v_cndmask_b32_e64 v31, v26, v29, s[2:3]
	v_cndmask_b32_e64 v26, v27, v26, s[2:3]
	v_cndmask_b32_e32 v27, v36, v32, vcc
	v_cndmask_b32_e64 v29, v29, v27, s[2:3]
	v_cndmask_b32_e32 v30, v34, v30, vcc
	v_cndmask_b32_e64 v26, v26, v31, s[4:5]
	v_cndmask_b32_e64 v31, v31, v29, s[4:5]
	v_sub_u32_e32 v33, 32, v48
	v_cndmask_b32_e64 v27, v27, v30, s[2:3]
	v_alignbit_b32 v35, v26, v31, v33
	v_cmp_eq_u32_e64 s[6:7], 0, v48
	v_cndmask_b32_e64 v29, v29, v27, s[4:5]
	v_alignbit_b32 v34, v31, v29, v33
	v_cndmask_b32_e64 v26, v35, v26, s[6:7]
	v_cndmask_b32_e64 v31, v34, v31, s[6:7]
	v_bfe_u32 v36, v26, 29, 1
	v_cndmask_b32_e32 v28, v32, v28, vcc
	v_alignbit_b32 v34, v26, v31, 30
	v_sub_u32_e32 v37, 0, v36
	v_cndmask_b32_e64 v28, v30, v28, s[2:3]
	v_xor_b32_e32 v38, v34, v37
	v_cndmask_b32_e64 v27, v27, v28, s[4:5]
	v_alignbit_b32 v28, v29, v27, v33
	v_ffbh_u32_e32 v30, v38
	v_cndmask_b32_e64 v28, v28, v29, s[6:7]
	v_add_u32_e32 v30, 1, v30
	v_cmp_ne_u32_e32 vcc, v34, v37
	v_alignbit_b32 v29, v31, v28, 30
	v_alignbit_b32 v27, v28, v27, 30
	v_cndmask_b32_e32 v30, 33, v30, vcc
	v_xor_b32_e32 v29, v29, v37
	v_sub_u32_e32 v31, 32, v30
	v_xor_b32_e32 v27, v27, v37
	v_alignbit_b32 v32, v38, v29, v31
	v_alignbit_b32 v27, v29, v27, v31
	;; [unrolled: 1-line block ×3, first 2 shown]
	v_ffbh_u32_e32 v29, v28
	v_min_u32_e32 v29, 32, v29
	v_lshrrev_b32_e32 v35, 29, v26
	v_sub_u32_e32 v31, 31, v29
	v_alignbit_b32 v27, v28, v27, v31
	v_lshlrev_b32_e32 v28, 31, v35
	v_or_b32_e32 v31, 0x33800000, v28
	v_add_lshl_u32 v29, v29, v30, 23
	v_lshrrev_b32_e32 v27, 9, v27
	v_sub_u32_e32 v29, v31, v29
	v_or_b32_e32 v27, v29, v27
	v_alignbit_b32 v29, v30, v32, 9
	v_or_b32_e32 v28, v29, v28
	v_xor_b32_e32 v28, 1.0, v28
	s_mov_b32 s2, 0x3fc90fda
	v_mul_f32_e32 v29, 0x3fc90fda, v28
	v_fma_f32 v30, v28, s2, -v29
	v_fmamk_f32 v28, v28, 0x33a22168, v30
	v_fmac_f32_e32 v28, 0x3fc90fda, v27
	v_lshrrev_b32_e32 v26, 30, v26
	v_add_f32_e32 v27, v29, v28
	v_add_u32_e32 v26, v36, v26
	s_andn2_saveexec_b64 s[2:3], s[12:13]
	s_cbranch_execnz .LBB13_249
	s_branch .LBB13_250
.LBB13_248:
	s_andn2_saveexec_b64 s[2:3], s[12:13]
.LBB13_249:
	s_mov_b32 s4, 0x3f22f983
	v_mul_f32_e64 v26, |v2|, s4
	v_rndne_f32_e32 v27, v26
	s_mov_b32 s4, 0xbfc90fda
	v_cvt_i32_f32_e32 v26, v27
	v_fma_f32 v28, v27, s4, |v2|
	v_fmamk_f32 v28, v27, 0xb3a22168, v28
	v_fmamk_f32 v27, v27, 0xa7c234c4, v28
.LBB13_250:
	s_or_b64 exec, exec, s[2:3]
	v_mul_f32_e32 v28, v21, v21
	s_mov_b32 s4, 0x41c80000
	v_div_scale_f32 v29, s[2:3], v28, v28, s4
	v_rcp_f32_e32 v30, v29
	v_xor_b32_e32 v8, v8, v2
	s_mov_b32 s6, 0x40a00000
	v_mov_b32_e32 v37, 0xbf000004
	v_fma_f32 v31, -v29, v30, 1.0
	v_fmac_f32_e32 v30, v31, v30
	v_div_scale_f32 v31, vcc, s4, v28, s4
	v_mul_f32_e32 v32, v31, v30
	v_fma_f32 v33, -v29, v32, v31
	v_fmac_f32_e32 v32, v33, v30
	v_fma_f32 v29, -v29, v32, v31
	v_div_fmas_f32 v29, v29, v30, v32
	v_div_fixup_f32 v28, v29, v28, s4
	v_mov_b32_e32 v29, 0x3a50e985
	v_mov_b32_e32 v30, 0x3a725406
	v_fmac_f32_e32 v29, 0, v28
	v_fmac_f32_e32 v30, 0, v28
	v_fmaak_f32 v29, v28, v29, 0x3da9a586
	v_fmaak_f32 v30, v28, v30, 0x3daf5e2d
	;; [unrolled: 1-line block ×8, first 2 shown]
	v_mov_b32_e32 v31, 0xbc3a3a12
	v_fmaak_f32 v29, v28, v29, 0x40a9b425
	v_fmaak_f32 v30, v28, v30, 0x40a9cb2f
	v_fmac_f32_e32 v31, 0, v28
	v_mov_b32_e32 v32, 0x4280a2ba
	v_fma_f32 v30, v28, v30, 1.0
	v_fmaak_f32 v31, v28, v31, 0xbfa429da
	v_fmac_f32_e32 v32, 0, v28
	v_fma_f32 v29, v28, v29, 1.0
	v_fmaak_f32 v31, v28, v31, 0xc19c6e80
	v_fmaak_f32 v32, v28, v32, 0x44561b86
	v_div_scale_f32 v33, s[2:3], v30, v30, v29
	v_fmaak_f32 v31, v28, v31, 0xc2ba697b
	v_fmaak_f32 v32, v28, v32, 0x4572a66e
	v_rcp_f32_e32 v34, v33
	v_fmaak_f32 v31, v28, v31, 0xc331ae61
	v_fmaak_f32 v32, v28, v32, 0x45e243be
	;; [unrolled: 1-line block ×8, first 2 shown]
	v_fma_f32 v32, -v33, v34, 1.0
	v_fmac_f32_e32 v34, v32, v34
	v_div_scale_f32 v32, vcc, v29, v30, v29
	v_mul_f32_e32 v35, v32, v34
	v_fma_f32 v36, -v33, v35, v32
	v_fmac_f32_e32 v35, v36, v34
	v_fma_f32 v32, -v33, v35, v32
	v_div_fmas_f32 v32, v32, v34, v35
	v_div_fixup_f32 v29, v32, v30, v29
	v_mul_f32_e32 v30, v23, v23
	v_mov_b32_e32 v32, 0x3c0881c4
	v_fmamk_f32 v33, v30, 0xb94c1982, v32
	v_fmaak_f32 v33, v30, v33, 0xbe2aaa9d
	v_mul_f32_e32 v33, v30, v33
	v_fmac_f32_e32 v23, v23, v33
	v_mov_b32_e32 v33, 0xbab64f3b
	v_fmamk_f32 v35, v30, 0x37d75334, v33
	v_fmaak_f32 v35, v30, v35, 0x3d2aabf7
	v_fmaak_f32 v35, v30, v35, 0xbf000004
	v_fma_f32 v30, v30, v35, 1.0
	v_and_b32_e32 v35, 1, v9
	v_lshlrev_b32_e32 v9, 30, v9
	v_cmp_eq_u32_e32 vcc, 0, v35
	v_and_b32_e32 v9, 0x80000000, v9
	v_xor_b32_e32 v8, v8, v9
	v_cndmask_b32_e32 v23, v30, v23, vcc
	v_div_scale_f32 v9, s[2:3], v21, v21, s6
	v_xor_b32_e32 v8, v8, v23
	v_rcp_f32_e32 v23, v9
	s_movk_i32 s4, 0x1f8
	v_mov_b32_e32 v30, 0x7fc00000
	v_cmp_class_f32_e64 s[2:3], v2, s4
	v_mov_b32_e32 v34, 0xbe2aaa9d
	v_mov_b32_e32 v36, 0x3d2aabf7
	v_cndmask_b32_e64 v2, v30, v8, s[2:3]
	v_fma_f32 v8, -v9, v23, 1.0
	v_fmac_f32_e32 v23, v8, v23
	v_div_scale_f32 v8, vcc, s6, v21, s6
	v_mul_f32_e32 v35, v8, v23
	v_fma_f32 v38, -v9, v35, v8
	v_fmac_f32_e32 v35, v38, v23
	v_fma_f32 v8, -v9, v35, v8
	v_div_scale_f32 v9, s[4:5], v28, v28, v31
	v_rcp_f32_e32 v38, v9
	v_div_fmas_f32 v8, v8, v23, v35
	v_div_fixup_f32 v8, v8, v21, s6
	v_fma_f32 v23, -v9, v38, 1.0
	v_fmac_f32_e32 v38, v23, v38
	v_div_scale_f32 v23, vcc, v31, v28, v31
	v_mul_f32_e32 v35, v23, v38
	v_fma_f32 v39, -v9, v35, v23
	v_fmac_f32_e32 v35, v39, v38
	v_fma_f32 v9, -v9, v35, v23
	v_div_fmas_f32 v9, v9, v38, v35
	v_div_fixup_f32 v9, v9, v28, v31
	v_mul_f32_e32 v8, v8, v9
	v_mul_f32_e32 v9, v27, v27
	v_fmac_f32_e32 v32, 0xb94c1982, v9
	v_fmac_f32_e32 v34, v9, v32
	;; [unrolled: 1-line block ×3, first 2 shown]
	v_mul_f32_e32 v23, v9, v34
	v_fmac_f32_e32 v36, v9, v33
	v_fmac_f32_e32 v27, v27, v23
	;; [unrolled: 1-line block ×3, first 2 shown]
	v_and_b32_e32 v23, 1, v26
	v_fma_f32 v9, v9, v37, 1.0
	v_cmp_eq_u32_e32 vcc, 0, v23
	v_lshlrev_b32_e32 v23, 30, v26
	v_and_b32_e32 v23, 0x80000000, v23
	v_cndmask_b32_e64 v9, -v27, v9, vcc
	v_xor_b32_e32 v9, v23, v9
	v_cndmask_b32_e64 v9, v30, v9, s[2:3]
	s_mov_b32 s2, 0xf800000
	v_mul_f32_e32 v23, 0x4f800000, v21
	v_cmp_gt_f32_e32 vcc, s2, v21
	v_mul_f32_e32 v8, v8, v9
	v_fmac_f32_e32 v8, v29, v2
	v_cndmask_b32_e32 v21, v21, v23, vcc
	v_sqrt_f32_e32 v23, v21
	v_mul_f32_e32 v2, 0x3f4c422a, v8
	v_add_u32_e32 v8, -1, v23
	v_fma_f32 v9, -v8, v23, v21
	v_cmp_ge_f32_e64 s[2:3], 0, v9
	v_add_u32_e32 v9, 1, v23
	s_nop 0
	v_cndmask_b32_e64 v8, v23, v8, s[2:3]
	v_fma_f32 v23, -v9, v23, v21
	v_cmp_lt_f32_e64 s[2:3], 0, v23
	s_nop 1
	v_cndmask_b32_e64 v8, v8, v9, s[2:3]
	v_mul_f32_e32 v9, 0x37800000, v8
	v_cndmask_b32_e32 v8, v8, v9, vcc
	v_mov_b32_e32 v9, 0x260
	v_cmp_class_f32_e32 vcc, v21, v9
	s_nop 1
	v_cndmask_b32_e32 v8, v8, v21, vcc
	v_div_scale_f32 v9, s[2:3], v8, v8, v2
	v_rcp_f32_e32 v21, v9
	s_nop 0
	v_fma_f32 v23, -v9, v21, 1.0
	v_fmac_f32_e32 v21, v23, v21
	v_div_scale_f32 v23, vcc, v2, v8, v2
	v_mul_f32_e32 v26, v23, v21
	v_fma_f32 v27, -v9, v26, v23
	v_fmac_f32_e32 v26, v27, v21
	v_fma_f32 v9, -v9, v26, v23
	v_div_fmas_f32 v9, v9, v21, v26
	v_div_fixup_f32 v23, v9, v8, v2
.LBB13_251:
	s_or_b64 exec, exec, s[10:11]
.LBB13_252:
	s_or_b64 exec, exec, s[8:9]
	v_add_u32_e32 v2, 0xa00, v5
	v_cmp_lt_i32_e32 vcc, v2, v4
                                        ; implicit-def: $vgpr21
	s_and_saveexec_b64 s[8:9], vcc
	s_cbranch_execz .LBB13_274
; %bb.253:
	s_mov_b32 s2, 0x40a00000
	v_cmp_ge_f32_e32 vcc, s2, v19
                                        ; implicit-def: $vgpr21
	s_and_saveexec_b64 s[2:3], vcc
	s_xor_b64 s[4:5], exec, s[2:3]
	s_cbranch_execz .LBB13_263
; %bb.254:
	v_cmp_neq_f32_e32 vcc, 0, v19
	v_mov_b32_e32 v21, 0xff800000
	s_and_saveexec_b64 s[6:7], vcc
	s_cbranch_execz .LBB13_262
; %bb.255:
	v_cmp_ngt_f32_e32 vcc, 0, v19
	v_mov_b32_e32 v21, 0x7fc00000
	s_and_saveexec_b64 s[10:11], vcc
	s_cbranch_execz .LBB13_261
; %bb.256:
	v_mul_f32_e32 v2, v19, v19
	s_mov_b32 s2, 0x3727c5ac
	v_mul_f32_e32 v8, 0, v2
	v_cmp_ngt_f32_e32 vcc, s2, v19
                                        ; implicit-def: $vgpr9
	s_and_saveexec_b64 s[2:3], vcc
	s_xor_b64 s[2:3], exec, s[2:3]
	s_cbranch_execz .LBB13_258
; %bb.257:
	v_add_f32_e32 v9, 0x43f9c815, v8
	v_fmaak_f32 v9, v2, v9, 0x4829b65a
	v_fmaak_f32 v9, v2, v9, 0x4c38c9a1
	;; [unrolled: 1-line block ×3, first 2 shown]
	s_mov_b32 s12, 0xcf8ee29d
	v_mul_f32_e32 v9, v2, v9
	s_mov_b32 s13, 0x53f5f59c
	v_pk_add_f32 v[26:27], v[8:9], s[12:13]
	s_mov_b32 s12, 0x53e3ba8e
	s_mov_b32 s13, 0x578d3514
	v_pk_fma_f32 v[26:27], v[2:3], v[26:27], s[12:13] op_sel_hi:[0,1,1]
	s_mov_b32 s12, 0xd762b0a7
	s_mov_b32 s13, 0x5ae20a0c
	v_pk_fma_f32 v[26:27], v[2:3], v[26:27], s[12:13] op_sel_hi:[0,1,1]
	s_mov_b32 s12, 0x5a09f7c3
	s_mov_b32 s13, 0x5dbdf1a6
	v_pk_fma_f32 v[26:27], v[2:3], v[26:27], s[12:13] op_sel_hi:[0,1,1]
	s_mov_b32 s12, 0xc0b90fdc
	s_mov_b32 s13, 0xc1f3c525
	v_pk_add_f32 v[28:29], v[2:3], s[12:13] op_sel_hi:[0,1]
	v_mul_f32_e32 v9, v28, v29
	v_mul_f32_e32 v9, v9, v26
	v_div_scale_f32 v21, s[12:13], v27, v27, v9
	v_rcp_f32_e32 v26, v21
	s_nop 0
	v_fma_f32 v28, -v21, v26, 1.0
	v_fmac_f32_e32 v26, v28, v26
	v_div_scale_f32 v28, vcc, v9, v27, v9
	v_mul_f32_e32 v29, v28, v26
	v_fma_f32 v30, -v21, v29, v28
	v_fmac_f32_e32 v29, v30, v26
	v_fma_f32 v21, -v21, v29, v28
	v_div_fmas_f32 v21, v21, v26, v29
	v_div_fixup_f32 v9, v21, v27, v9
.LBB13_258:
	s_andn2_saveexec_b64 s[2:3], s[2:3]
; %bb.259:
	v_mov_b32_e32 v9, 1.0
	v_fmamk_f32 v9, v2, 0xbe800000, v9
; %bb.260:
	s_or_b64 exec, exec, s[2:3]
	v_add_f32_e32 v21, 0x4673a1bf, v8
	v_fmaak_f32 v21, v2, v21, 0xcb5fc0fa
	v_add_f32_e32 v8, 0x44822913, v8
	v_fmaak_f32 v21, v2, v21, 0x4fa1fbc8
	v_fmaak_f32 v8, v2, v8, 0x4918dbb5
	;; [unrolled: 1-line block ×12, first 2 shown]
	v_div_scale_f32 v21, s[2:3], v8, v8, v2
	v_rcp_f32_e32 v26, v21
	s_mov_b32 s2, 0x800000
	v_cmp_gt_f32_e64 s[2:3], s2, v19
	s_mov_b32 s12, 0x3f317217
	v_fma_f32 v27, -v21, v26, 1.0
	v_fmac_f32_e32 v26, v27, v26
	v_div_scale_f32 v27, vcc, v2, v8, v2
	v_mul_f32_e32 v28, v27, v26
	v_fma_f32 v29, -v21, v28, v27
	v_fmac_f32_e32 v28, v29, v26
	v_fma_f32 v21, -v21, v28, v27
	v_mov_b32_e32 v27, 0x4f800000
	v_cndmask_b32_e64 v27, 1.0, v27, s[2:3]
	v_mul_f32_e32 v19, v19, v27
	v_log_f32_e32 v19, v19
	v_div_fmas_f32 v21, v21, v26, v28
	v_div_fixup_f32 v21, v21, v8, v2
	v_mul_f32_e32 v2, 0x3f317217, v19
	v_fma_f32 v8, v19, s12, -v2
	v_fmamk_f32 v8, v19, 0x3377d1cf, v8
	s_mov_b32 s12, 0x7f800000
	v_add_f32_e32 v2, v2, v8
	v_cmp_lt_f32_e64 vcc, |v19|, s12
	v_mov_b32_e32 v8, 0x41b17218
	v_cndmask_b32_e64 v8, 0, v8, s[2:3]
	v_cndmask_b32_e32 v2, v19, v2, vcc
	v_sub_f32_e32 v2, v2, v8
	v_mul_f32_e32 v2, 0x3f22f983, v2
	v_fmac_f32_e32 v21, v2, v9
.LBB13_261:
	s_or_b64 exec, exec, s[10:11]
.LBB13_262:
	s_or_b64 exec, exec, s[6:7]
                                        ; implicit-def: $vgpr19
.LBB13_263:
	s_andn2_saveexec_b64 s[10:11], s[4:5]
	s_cbranch_execz .LBB13_273
; %bb.264:
	v_add_f32_e32 v2, 0xbf490fdb, v19
	v_and_b32_e32 v8, 0x7fffffff, v2
	s_brev_b32 s2, 18
	v_cmp_nlt_f32_e64 s[12:13], |v2|, s2
	v_lshrrev_b32_e32 v28, 23, v8
                                        ; implicit-def: $vgpr9
                                        ; implicit-def: $vgpr21
	s_and_saveexec_b64 s[2:3], s[12:13]
	s_xor_b64 s[14:15], exec, s[2:3]
	s_cbranch_execz .LBB13_266
; %bb.265:
	v_add_u32_e32 v9, 0xffffff88, v28
	v_not_b32_e32 v21, 63
	v_cmp_lt_u32_e32 vcc, 63, v9
	s_mov_b32 s6, 0xfe5163ab
	v_mov_b32_e32 v27, 0
	v_cndmask_b32_e32 v21, 0, v21, vcc
	v_add_u32_e32 v9, v21, v9
	v_not_b32_e32 v21, 31
	v_cmp_lt_u32_e64 s[2:3], 31, v9
	s_nop 1
	v_cndmask_b32_e64 v26, 0, v21, s[2:3]
	v_add_u32_e32 v9, v26, v9
	v_cmp_lt_u32_e64 s[4:5], 31, v9
	s_nop 1
	v_cndmask_b32_e64 v21, 0, v21, s[4:5]
	v_add_u32_e32 v9, v21, v9
	v_and_b32_e32 v21, 0x7fffff, v8
	v_or_b32_e32 v21, 0x800000, v21
	v_mad_u64_u32 v[30:31], s[6:7], v21, s6, 0
	v_mov_b32_e32 v26, v31
	s_mov_b32 s6, 0x3c439041
	v_mad_u64_u32 v[32:33], s[6:7], v21, s6, v[26:27]
	v_mov_b32_e32 v26, v33
	s_mov_b32 s6, 0xdb629599
	v_mad_u64_u32 v[34:35], s[6:7], v21, s6, v[26:27]
	v_mov_b32_e32 v26, v35
	s_mov_b32 s6, 0xf534ddc0
	v_mad_u64_u32 v[36:37], s[6:7], v21, s6, v[26:27]
	v_mov_b32_e32 v26, v37
	s_mov_b32 s6, 0xfc2757d1
	v_mad_u64_u32 v[38:39], s[6:7], v21, s6, v[26:27]
	v_mov_b32_e32 v26, v39
	s_mov_b32 s6, 0x4e441529
	v_mad_u64_u32 v[48:49], s[6:7], v21, s6, v[26:27]
	v_mov_b32_e32 v26, v49
	s_mov_b32 s6, 0xa2f9836e
	v_mad_u64_u32 v[26:27], s[6:7], v21, s6, v[26:27]
	v_cndmask_b32_e32 v29, v48, v36, vcc
	v_cndmask_b32_e32 v21, v26, v38, vcc
	;; [unrolled: 1-line block ×3, first 2 shown]
	v_cndmask_b32_e64 v26, v21, v29, s[2:3]
	v_cndmask_b32_e64 v21, v27, v21, s[2:3]
	v_cndmask_b32_e32 v27, v38, v34, vcc
	v_cndmask_b32_e64 v29, v29, v27, s[2:3]
	v_cndmask_b32_e64 v21, v21, v26, s[4:5]
	;; [unrolled: 1-line block ×3, first 2 shown]
	v_sub_u32_e32 v31, 32, v9
	v_alignbit_b32 v33, v21, v26, v31
	v_cmp_eq_u32_e64 s[6:7], 0, v9
	v_cndmask_b32_e32 v30, v34, v30, vcc
	s_nop 0
	v_cndmask_b32_e64 v9, v33, v21, s[6:7]
	v_cndmask_b32_e32 v21, v36, v32, vcc
	v_cndmask_b32_e64 v27, v27, v21, s[2:3]
	v_cndmask_b32_e64 v29, v29, v27, s[4:5]
	v_alignbit_b32 v32, v26, v29, v31
	v_cndmask_b32_e64 v26, v32, v26, s[6:7]
	v_bfe_u32 v35, v9, 29, 1
	v_cndmask_b32_e64 v21, v21, v30, s[2:3]
	v_alignbit_b32 v32, v9, v26, 30
	v_sub_u32_e32 v36, 0, v35
	v_cndmask_b32_e64 v21, v27, v21, s[4:5]
	v_xor_b32_e32 v37, v32, v36
	v_alignbit_b32 v27, v29, v21, v31
	v_cndmask_b32_e64 v27, v27, v29, s[6:7]
	v_ffbh_u32_e32 v29, v37
	v_add_u32_e32 v29, 1, v29
	v_cmp_ne_u32_e32 vcc, v32, v36
	v_alignbit_b32 v26, v26, v27, 30
	v_alignbit_b32 v21, v27, v21, 30
	v_cndmask_b32_e32 v29, 33, v29, vcc
	v_xor_b32_e32 v26, v26, v36
	v_sub_u32_e32 v30, 32, v29
	v_xor_b32_e32 v21, v21, v36
	v_alignbit_b32 v31, v37, v26, v30
	v_alignbit_b32 v21, v26, v21, v30
	;; [unrolled: 1-line block ×3, first 2 shown]
	v_ffbh_u32_e32 v27, v26
	v_min_u32_e32 v27, 32, v27
	v_lshrrev_b32_e32 v33, 29, v9
	v_sub_u32_e32 v30, 31, v27
	v_alignbit_b32 v21, v26, v21, v30
	v_lshlrev_b32_e32 v26, 31, v33
	v_or_b32_e32 v30, 0x33800000, v26
	v_add_lshl_u32 v27, v27, v29, 23
	v_lshrrev_b32_e32 v21, 9, v21
	v_sub_u32_e32 v27, v30, v27
	v_or_b32_e32 v21, v27, v21
	v_alignbit_b32 v27, v29, v31, 9
	v_or_b32_e32 v26, v27, v26
	v_xor_b32_e32 v26, 1.0, v26
	s_mov_b32 s2, 0x3fc90fda
	v_mul_f32_e32 v27, 0x3fc90fda, v26
	v_fma_f32 v29, v26, s2, -v27
	v_fmamk_f32 v26, v26, 0x33a22168, v29
	v_fmac_f32_e32 v26, 0x3fc90fda, v21
	v_lshrrev_b32_e32 v9, 30, v9
	v_add_f32_e32 v21, v27, v26
	v_add_u32_e32 v9, v35, v9
	s_andn2_saveexec_b64 s[2:3], s[14:15]
	s_branch .LBB13_267
.LBB13_266:
	s_andn2_saveexec_b64 s[2:3], s[14:15]
.LBB13_267:
	s_mov_b32 s4, 0x3f22f983
	v_mul_f32_e64 v9, |v2|, s4
	v_rndne_f32_e32 v21, v9
	s_mov_b32 s4, 0xbfc90fda
	v_cvt_i32_f32_e32 v9, v21
	v_fma_f32 v26, v21, s4, |v2|
	v_fmamk_f32 v26, v21, 0xb3a22168, v26
	v_fmamk_f32 v21, v21, 0xa7c234c4, v26
; %bb.268:
	s_or_b64 exec, exec, s[2:3]
                                        ; implicit-def: $vgpr26
                                        ; implicit-def: $vgpr27
	s_and_saveexec_b64 s[2:3], s[12:13]
	s_xor_b64 s[12:13], exec, s[2:3]
	s_cbranch_execz .LBB13_270
; %bb.269:
	v_add_u32_e32 v26, 0xffffff88, v28
	v_not_b32_e32 v28, 63
	v_cmp_lt_u32_e32 vcc, 63, v26
	s_mov_b32 s6, 0xfe5163ab
	v_mov_b32_e32 v27, 0
	v_cndmask_b32_e32 v28, 0, v28, vcc
	v_add_u32_e32 v26, v28, v26
	v_not_b32_e32 v28, 31
	v_cmp_lt_u32_e64 s[2:3], 31, v26
	s_nop 1
	v_cndmask_b32_e64 v29, 0, v28, s[2:3]
	v_add_u32_e32 v26, v29, v26
	v_cmp_lt_u32_e64 s[4:5], 31, v26
	s_nop 1
	v_cndmask_b32_e64 v28, 0, v28, s[4:5]
	v_add_u32_e32 v48, v28, v26
	v_and_b32_e32 v26, 0x7fffff, v8
	v_or_b32_e32 v49, 0x800000, v26
	v_mad_u64_u32 v[28:29], s[6:7], v49, s6, 0
	v_mov_b32_e32 v26, v29
	s_mov_b32 s6, 0x3c439041
	v_mad_u64_u32 v[30:31], s[6:7], v49, s6, v[26:27]
	v_mov_b32_e32 v26, v31
	s_mov_b32 s6, 0xdb629599
	;; [unrolled: 3-line block ×6, first 2 shown]
	v_mad_u64_u32 v[26:27], s[6:7], v49, s6, v[26:27]
	v_cndmask_b32_e32 v29, v38, v34, vcc
	v_cndmask_b32_e32 v26, v26, v36, vcc
	v_cndmask_b32_e32 v27, v27, v38, vcc
	v_cndmask_b32_e64 v31, v26, v29, s[2:3]
	v_cndmask_b32_e64 v26, v27, v26, s[2:3]
	v_cndmask_b32_e32 v27, v36, v32, vcc
	v_cndmask_b32_e64 v29, v29, v27, s[2:3]
	v_cndmask_b32_e32 v30, v34, v30, vcc
	v_cndmask_b32_e64 v26, v26, v31, s[4:5]
	v_cndmask_b32_e64 v31, v31, v29, s[4:5]
	v_sub_u32_e32 v33, 32, v48
	v_cndmask_b32_e64 v27, v27, v30, s[2:3]
	v_alignbit_b32 v35, v26, v31, v33
	v_cmp_eq_u32_e64 s[6:7], 0, v48
	v_cndmask_b32_e64 v29, v29, v27, s[4:5]
	v_alignbit_b32 v34, v31, v29, v33
	v_cndmask_b32_e64 v26, v35, v26, s[6:7]
	v_cndmask_b32_e64 v31, v34, v31, s[6:7]
	v_bfe_u32 v36, v26, 29, 1
	v_cndmask_b32_e32 v28, v32, v28, vcc
	v_alignbit_b32 v34, v26, v31, 30
	v_sub_u32_e32 v37, 0, v36
	v_cndmask_b32_e64 v28, v30, v28, s[2:3]
	v_xor_b32_e32 v38, v34, v37
	v_cndmask_b32_e64 v27, v27, v28, s[4:5]
	v_alignbit_b32 v28, v29, v27, v33
	v_ffbh_u32_e32 v30, v38
	v_cndmask_b32_e64 v28, v28, v29, s[6:7]
	v_add_u32_e32 v30, 1, v30
	v_cmp_ne_u32_e32 vcc, v34, v37
	v_alignbit_b32 v29, v31, v28, 30
	v_alignbit_b32 v27, v28, v27, 30
	v_cndmask_b32_e32 v30, 33, v30, vcc
	v_xor_b32_e32 v29, v29, v37
	v_sub_u32_e32 v31, 32, v30
	v_xor_b32_e32 v27, v27, v37
	v_alignbit_b32 v32, v38, v29, v31
	v_alignbit_b32 v27, v29, v27, v31
	;; [unrolled: 1-line block ×3, first 2 shown]
	v_ffbh_u32_e32 v29, v28
	v_min_u32_e32 v29, 32, v29
	v_lshrrev_b32_e32 v35, 29, v26
	v_sub_u32_e32 v31, 31, v29
	v_alignbit_b32 v27, v28, v27, v31
	v_lshlrev_b32_e32 v28, 31, v35
	v_or_b32_e32 v31, 0x33800000, v28
	v_add_lshl_u32 v29, v29, v30, 23
	v_lshrrev_b32_e32 v27, 9, v27
	v_sub_u32_e32 v29, v31, v29
	v_or_b32_e32 v27, v29, v27
	v_alignbit_b32 v29, v30, v32, 9
	v_or_b32_e32 v28, v29, v28
	v_xor_b32_e32 v28, 1.0, v28
	s_mov_b32 s2, 0x3fc90fda
	v_mul_f32_e32 v29, 0x3fc90fda, v28
	v_fma_f32 v30, v28, s2, -v29
	v_fmamk_f32 v28, v28, 0x33a22168, v30
	v_fmac_f32_e32 v28, 0x3fc90fda, v27
	v_lshrrev_b32_e32 v26, 30, v26
	v_add_f32_e32 v27, v29, v28
	v_add_u32_e32 v26, v36, v26
	s_andn2_saveexec_b64 s[2:3], s[12:13]
	s_cbranch_execnz .LBB13_271
	s_branch .LBB13_272
.LBB13_270:
	s_andn2_saveexec_b64 s[2:3], s[12:13]
.LBB13_271:
	s_mov_b32 s4, 0x3f22f983
	v_mul_f32_e64 v26, |v2|, s4
	v_rndne_f32_e32 v27, v26
	s_mov_b32 s4, 0xbfc90fda
	v_cvt_i32_f32_e32 v26, v27
	v_fma_f32 v28, v27, s4, |v2|
	v_fmamk_f32 v28, v27, 0xb3a22168, v28
	v_fmamk_f32 v27, v27, 0xa7c234c4, v28
.LBB13_272:
	s_or_b64 exec, exec, s[2:3]
	v_mul_f32_e32 v28, v19, v19
	s_mov_b32 s4, 0x41c80000
	v_div_scale_f32 v29, s[2:3], v28, v28, s4
	v_rcp_f32_e32 v30, v29
	v_xor_b32_e32 v8, v8, v2
	s_mov_b32 s6, 0x40a00000
	v_mov_b32_e32 v37, 0xbf000004
	v_fma_f32 v31, -v29, v30, 1.0
	v_fmac_f32_e32 v30, v31, v30
	v_div_scale_f32 v31, vcc, s4, v28, s4
	v_mul_f32_e32 v32, v31, v30
	v_fma_f32 v33, -v29, v32, v31
	v_fmac_f32_e32 v32, v33, v30
	v_fma_f32 v29, -v29, v32, v31
	v_div_fmas_f32 v29, v29, v30, v32
	v_div_fixup_f32 v28, v29, v28, s4
	v_mov_b32_e32 v29, 0x3a50e985
	v_mov_b32_e32 v30, 0x3a725406
	v_fmac_f32_e32 v29, 0, v28
	v_fmac_f32_e32 v30, 0, v28
	v_fmaak_f32 v29, v28, v29, 0x3da9a586
	v_fmaak_f32 v30, v28, v30, 0x3daf5e2d
	v_fmaak_f32 v29, v28, v29, 0x3f9ea90a
	v_fmaak_f32 v30, v28, v30, 0x3fa07396
	v_fmaak_f32 v29, v28, v29, 0x40ae4fdf
	v_fmaak_f32 v30, v28, v30, 0x40af123f
	v_fmaak_f32 v29, v28, v29, 0x410bf463
	v_fmaak_f32 v30, v28, v30, 0x410c30c7
	v_mov_b32_e32 v31, 0xbc3a3a12
	v_fmaak_f32 v29, v28, v29, 0x40a9b425
	v_fmaak_f32 v30, v28, v30, 0x40a9cb2f
	v_fmac_f32_e32 v31, 0, v28
	v_mov_b32_e32 v32, 0x4280a2ba
	v_fma_f32 v30, v28, v30, 1.0
	v_fmaak_f32 v31, v28, v31, 0xbfa429da
	v_fmac_f32_e32 v32, 0, v28
	v_fma_f32 v29, v28, v29, 1.0
	v_fmaak_f32 v31, v28, v31, 0xc19c6e80
	v_fmaak_f32 v32, v28, v32, 0x44561b86
	v_div_scale_f32 v33, s[2:3], v30, v30, v29
	v_fmaak_f32 v31, v28, v31, 0xc2ba697b
	v_fmaak_f32 v32, v28, v32, 0x4572a66e
	v_rcp_f32_e32 v34, v33
	v_fmaak_f32 v31, v28, v31, 0xc331ae61
	v_fmaak_f32 v32, v28, v32, 0x45e243be
	;; [unrolled: 1-line block ×8, first 2 shown]
	v_fma_f32 v32, -v33, v34, 1.0
	v_fmac_f32_e32 v34, v32, v34
	v_div_scale_f32 v32, vcc, v29, v30, v29
	v_mul_f32_e32 v35, v32, v34
	v_fma_f32 v36, -v33, v35, v32
	v_fmac_f32_e32 v35, v36, v34
	v_fma_f32 v32, -v33, v35, v32
	v_div_fmas_f32 v32, v32, v34, v35
	v_div_fixup_f32 v29, v32, v30, v29
	v_mul_f32_e32 v30, v21, v21
	v_mov_b32_e32 v32, 0x3c0881c4
	v_fmamk_f32 v33, v30, 0xb94c1982, v32
	v_fmaak_f32 v33, v30, v33, 0xbe2aaa9d
	v_mul_f32_e32 v33, v30, v33
	v_fmac_f32_e32 v21, v21, v33
	v_mov_b32_e32 v33, 0xbab64f3b
	v_fmamk_f32 v35, v30, 0x37d75334, v33
	v_fmaak_f32 v35, v30, v35, 0x3d2aabf7
	v_fmaak_f32 v35, v30, v35, 0xbf000004
	v_fma_f32 v30, v30, v35, 1.0
	v_and_b32_e32 v35, 1, v9
	v_lshlrev_b32_e32 v9, 30, v9
	v_cmp_eq_u32_e32 vcc, 0, v35
	v_and_b32_e32 v9, 0x80000000, v9
	v_xor_b32_e32 v8, v8, v9
	v_cndmask_b32_e32 v21, v30, v21, vcc
	v_div_scale_f32 v9, s[2:3], v19, v19, s6
	v_xor_b32_e32 v8, v8, v21
	v_rcp_f32_e32 v21, v9
	s_movk_i32 s4, 0x1f8
	v_mov_b32_e32 v30, 0x7fc00000
	v_cmp_class_f32_e64 s[2:3], v2, s4
	v_mov_b32_e32 v34, 0xbe2aaa9d
	v_mov_b32_e32 v36, 0x3d2aabf7
	v_cndmask_b32_e64 v2, v30, v8, s[2:3]
	v_fma_f32 v8, -v9, v21, 1.0
	v_fmac_f32_e32 v21, v8, v21
	v_div_scale_f32 v8, vcc, s6, v19, s6
	v_mul_f32_e32 v35, v8, v21
	v_fma_f32 v38, -v9, v35, v8
	v_fmac_f32_e32 v35, v38, v21
	v_fma_f32 v8, -v9, v35, v8
	v_div_scale_f32 v9, s[4:5], v28, v28, v31
	v_rcp_f32_e32 v38, v9
	v_div_fmas_f32 v8, v8, v21, v35
	v_div_fixup_f32 v8, v8, v19, s6
	v_fma_f32 v21, -v9, v38, 1.0
	v_fmac_f32_e32 v38, v21, v38
	v_div_scale_f32 v21, vcc, v31, v28, v31
	v_mul_f32_e32 v35, v21, v38
	v_fma_f32 v39, -v9, v35, v21
	v_fmac_f32_e32 v35, v39, v38
	v_fma_f32 v9, -v9, v35, v21
	v_div_fmas_f32 v9, v9, v38, v35
	v_div_fixup_f32 v9, v9, v28, v31
	v_mul_f32_e32 v8, v8, v9
	v_mul_f32_e32 v9, v27, v27
	v_fmac_f32_e32 v32, 0xb94c1982, v9
	v_fmac_f32_e32 v34, v9, v32
	;; [unrolled: 1-line block ×3, first 2 shown]
	v_mul_f32_e32 v21, v9, v34
	v_fmac_f32_e32 v36, v9, v33
	v_fmac_f32_e32 v27, v27, v21
	;; [unrolled: 1-line block ×3, first 2 shown]
	v_and_b32_e32 v21, 1, v26
	v_fma_f32 v9, v9, v37, 1.0
	v_cmp_eq_u32_e32 vcc, 0, v21
	v_lshlrev_b32_e32 v21, 30, v26
	v_and_b32_e32 v21, 0x80000000, v21
	v_cndmask_b32_e64 v9, -v27, v9, vcc
	v_xor_b32_e32 v9, v21, v9
	v_cndmask_b32_e64 v9, v30, v9, s[2:3]
	s_mov_b32 s2, 0xf800000
	v_mul_f32_e32 v21, 0x4f800000, v19
	v_cmp_gt_f32_e32 vcc, s2, v19
	v_mul_f32_e32 v8, v8, v9
	v_fmac_f32_e32 v8, v29, v2
	v_cndmask_b32_e32 v19, v19, v21, vcc
	v_sqrt_f32_e32 v21, v19
	v_mul_f32_e32 v2, 0x3f4c422a, v8
	v_add_u32_e32 v8, -1, v21
	v_fma_f32 v9, -v8, v21, v19
	v_cmp_ge_f32_e64 s[2:3], 0, v9
	v_add_u32_e32 v9, 1, v21
	s_nop 0
	v_cndmask_b32_e64 v8, v21, v8, s[2:3]
	v_fma_f32 v21, -v9, v21, v19
	v_cmp_lt_f32_e64 s[2:3], 0, v21
	s_nop 1
	v_cndmask_b32_e64 v8, v8, v9, s[2:3]
	v_mul_f32_e32 v9, 0x37800000, v8
	v_cndmask_b32_e32 v8, v8, v9, vcc
	v_mov_b32_e32 v9, 0x260
	v_cmp_class_f32_e32 vcc, v19, v9
	s_nop 1
	v_cndmask_b32_e32 v8, v8, v19, vcc
	v_div_scale_f32 v9, s[2:3], v8, v8, v2
	v_rcp_f32_e32 v19, v9
	s_nop 0
	v_fma_f32 v21, -v9, v19, 1.0
	v_fmac_f32_e32 v19, v21, v19
	v_div_scale_f32 v21, vcc, v2, v8, v2
	v_mul_f32_e32 v26, v21, v19
	v_fma_f32 v27, -v9, v26, v21
	v_fmac_f32_e32 v26, v27, v19
	v_fma_f32 v9, -v9, v26, v21
	v_div_fmas_f32 v9, v9, v19, v26
	v_div_fixup_f32 v21, v9, v8, v2
.LBB13_273:
	s_or_b64 exec, exec, s[10:11]
.LBB13_274:
	s_or_b64 exec, exec, s[8:9]
	v_add_u32_e32 v2, 0xb00, v5
	v_cmp_lt_i32_e32 vcc, v2, v4
                                        ; implicit-def: $vgpr19
	s_and_saveexec_b64 s[8:9], vcc
	s_cbranch_execz .LBB13_296
; %bb.275:
	s_mov_b32 s2, 0x40a00000
	v_cmp_ge_f32_e32 vcc, s2, v17
                                        ; implicit-def: $vgpr19
	s_and_saveexec_b64 s[2:3], vcc
	s_xor_b64 s[4:5], exec, s[2:3]
	s_cbranch_execz .LBB13_285
; %bb.276:
	v_cmp_neq_f32_e32 vcc, 0, v17
	v_mov_b32_e32 v19, 0xff800000
	s_and_saveexec_b64 s[6:7], vcc
	s_cbranch_execz .LBB13_284
; %bb.277:
	v_cmp_ngt_f32_e32 vcc, 0, v17
	v_mov_b32_e32 v19, 0x7fc00000
	s_and_saveexec_b64 s[10:11], vcc
	s_cbranch_execz .LBB13_283
; %bb.278:
	v_mul_f32_e32 v2, v17, v17
	s_mov_b32 s2, 0x3727c5ac
	v_mul_f32_e32 v8, 0, v2
	v_cmp_ngt_f32_e32 vcc, s2, v17
                                        ; implicit-def: $vgpr9
	s_and_saveexec_b64 s[2:3], vcc
	s_xor_b64 s[2:3], exec, s[2:3]
	s_cbranch_execz .LBB13_280
; %bb.279:
	v_add_f32_e32 v9, 0x43f9c815, v8
	v_fmaak_f32 v9, v2, v9, 0x4829b65a
	v_fmaak_f32 v9, v2, v9, 0x4c38c9a1
	;; [unrolled: 1-line block ×3, first 2 shown]
	s_mov_b32 s12, 0xcf8ee29d
	v_mul_f32_e32 v9, v2, v9
	s_mov_b32 s13, 0x53f5f59c
	v_pk_add_f32 v[26:27], v[8:9], s[12:13]
	s_mov_b32 s12, 0x53e3ba8e
	s_mov_b32 s13, 0x578d3514
	v_pk_fma_f32 v[26:27], v[2:3], v[26:27], s[12:13] op_sel_hi:[0,1,1]
	s_mov_b32 s12, 0xd762b0a7
	s_mov_b32 s13, 0x5ae20a0c
	v_pk_fma_f32 v[26:27], v[2:3], v[26:27], s[12:13] op_sel_hi:[0,1,1]
	;; [unrolled: 3-line block ×3, first 2 shown]
	s_mov_b32 s12, 0xc0b90fdc
	s_mov_b32 s13, 0xc1f3c525
	v_pk_add_f32 v[28:29], v[2:3], s[12:13] op_sel_hi:[0,1]
	v_mul_f32_e32 v9, v28, v29
	v_mul_f32_e32 v9, v9, v26
	v_div_scale_f32 v19, s[12:13], v27, v27, v9
	v_rcp_f32_e32 v26, v19
	s_nop 0
	v_fma_f32 v28, -v19, v26, 1.0
	v_fmac_f32_e32 v26, v28, v26
	v_div_scale_f32 v28, vcc, v9, v27, v9
	v_mul_f32_e32 v29, v28, v26
	v_fma_f32 v30, -v19, v29, v28
	v_fmac_f32_e32 v29, v30, v26
	v_fma_f32 v19, -v19, v29, v28
	v_div_fmas_f32 v19, v19, v26, v29
	v_div_fixup_f32 v9, v19, v27, v9
.LBB13_280:
	s_andn2_saveexec_b64 s[2:3], s[2:3]
; %bb.281:
	v_mov_b32_e32 v9, 1.0
	v_fmamk_f32 v9, v2, 0xbe800000, v9
; %bb.282:
	s_or_b64 exec, exec, s[2:3]
	v_add_f32_e32 v19, 0x4673a1bf, v8
	v_fmaak_f32 v19, v2, v19, 0xcb5fc0fa
	v_add_f32_e32 v8, 0x44822913, v8
	v_fmaak_f32 v19, v2, v19, 0x4fa1fbc8
	v_fmaak_f32 v8, v2, v8, 0x4918dbb5
	;; [unrolled: 1-line block ×12, first 2 shown]
	v_div_scale_f32 v19, s[2:3], v8, v8, v2
	v_rcp_f32_e32 v26, v19
	s_mov_b32 s2, 0x800000
	v_cmp_gt_f32_e64 s[2:3], s2, v17
	s_mov_b32 s12, 0x3f317217
	v_fma_f32 v27, -v19, v26, 1.0
	v_fmac_f32_e32 v26, v27, v26
	v_div_scale_f32 v27, vcc, v2, v8, v2
	v_mul_f32_e32 v28, v27, v26
	v_fma_f32 v29, -v19, v28, v27
	v_fmac_f32_e32 v28, v29, v26
	v_fma_f32 v19, -v19, v28, v27
	v_mov_b32_e32 v27, 0x4f800000
	v_cndmask_b32_e64 v27, 1.0, v27, s[2:3]
	v_mul_f32_e32 v17, v17, v27
	v_log_f32_e32 v17, v17
	v_div_fmas_f32 v19, v19, v26, v28
	v_div_fixup_f32 v19, v19, v8, v2
	v_mul_f32_e32 v2, 0x3f317217, v17
	v_fma_f32 v8, v17, s12, -v2
	v_fmamk_f32 v8, v17, 0x3377d1cf, v8
	s_mov_b32 s12, 0x7f800000
	v_add_f32_e32 v2, v2, v8
	v_cmp_lt_f32_e64 vcc, |v17|, s12
	v_mov_b32_e32 v8, 0x41b17218
	v_cndmask_b32_e64 v8, 0, v8, s[2:3]
	v_cndmask_b32_e32 v2, v17, v2, vcc
	v_sub_f32_e32 v2, v2, v8
	v_mul_f32_e32 v2, 0x3f22f983, v2
	v_fmac_f32_e32 v19, v2, v9
.LBB13_283:
	s_or_b64 exec, exec, s[10:11]
.LBB13_284:
	s_or_b64 exec, exec, s[6:7]
                                        ; implicit-def: $vgpr17
.LBB13_285:
	s_andn2_saveexec_b64 s[10:11], s[4:5]
	s_cbranch_execz .LBB13_295
; %bb.286:
	v_add_f32_e32 v2, 0xbf490fdb, v17
	v_and_b32_e32 v8, 0x7fffffff, v2
	s_brev_b32 s2, 18
	v_cmp_nlt_f32_e64 s[12:13], |v2|, s2
	v_lshrrev_b32_e32 v28, 23, v8
                                        ; implicit-def: $vgpr9
                                        ; implicit-def: $vgpr19
	s_and_saveexec_b64 s[2:3], s[12:13]
	s_xor_b64 s[14:15], exec, s[2:3]
	s_cbranch_execz .LBB13_288
; %bb.287:
	v_add_u32_e32 v9, 0xffffff88, v28
	v_not_b32_e32 v19, 63
	v_cmp_lt_u32_e32 vcc, 63, v9
	s_mov_b32 s6, 0xfe5163ab
	v_mov_b32_e32 v27, 0
	v_cndmask_b32_e32 v19, 0, v19, vcc
	v_add_u32_e32 v9, v19, v9
	v_not_b32_e32 v19, 31
	v_cmp_lt_u32_e64 s[2:3], 31, v9
	s_nop 1
	v_cndmask_b32_e64 v26, 0, v19, s[2:3]
	v_add_u32_e32 v9, v26, v9
	v_cmp_lt_u32_e64 s[4:5], 31, v9
	s_nop 1
	v_cndmask_b32_e64 v19, 0, v19, s[4:5]
	v_add_u32_e32 v9, v19, v9
	v_and_b32_e32 v19, 0x7fffff, v8
	v_or_b32_e32 v19, 0x800000, v19
	v_mad_u64_u32 v[30:31], s[6:7], v19, s6, 0
	v_mov_b32_e32 v26, v31
	s_mov_b32 s6, 0x3c439041
	v_mad_u64_u32 v[32:33], s[6:7], v19, s6, v[26:27]
	v_mov_b32_e32 v26, v33
	s_mov_b32 s6, 0xdb629599
	;; [unrolled: 3-line block ×6, first 2 shown]
	v_mad_u64_u32 v[26:27], s[6:7], v19, s6, v[26:27]
	v_cndmask_b32_e32 v29, v48, v36, vcc
	v_cndmask_b32_e32 v19, v26, v38, vcc
	;; [unrolled: 1-line block ×3, first 2 shown]
	v_cndmask_b32_e64 v26, v19, v29, s[2:3]
	v_cndmask_b32_e64 v19, v27, v19, s[2:3]
	v_cndmask_b32_e32 v27, v38, v34, vcc
	v_cndmask_b32_e64 v29, v29, v27, s[2:3]
	v_cndmask_b32_e64 v19, v19, v26, s[4:5]
	v_cndmask_b32_e64 v26, v26, v29, s[4:5]
	v_sub_u32_e32 v31, 32, v9
	v_alignbit_b32 v33, v19, v26, v31
	v_cmp_eq_u32_e64 s[6:7], 0, v9
	v_cndmask_b32_e32 v30, v34, v30, vcc
	s_nop 0
	v_cndmask_b32_e64 v9, v33, v19, s[6:7]
	v_cndmask_b32_e32 v19, v36, v32, vcc
	v_cndmask_b32_e64 v27, v27, v19, s[2:3]
	v_cndmask_b32_e64 v29, v29, v27, s[4:5]
	v_alignbit_b32 v32, v26, v29, v31
	v_cndmask_b32_e64 v26, v32, v26, s[6:7]
	v_bfe_u32 v35, v9, 29, 1
	v_cndmask_b32_e64 v19, v19, v30, s[2:3]
	v_alignbit_b32 v32, v9, v26, 30
	v_sub_u32_e32 v36, 0, v35
	v_cndmask_b32_e64 v19, v27, v19, s[4:5]
	v_xor_b32_e32 v37, v32, v36
	v_alignbit_b32 v27, v29, v19, v31
	v_cndmask_b32_e64 v27, v27, v29, s[6:7]
	v_ffbh_u32_e32 v29, v37
	v_add_u32_e32 v29, 1, v29
	v_cmp_ne_u32_e32 vcc, v32, v36
	v_alignbit_b32 v26, v26, v27, 30
	v_alignbit_b32 v19, v27, v19, 30
	v_cndmask_b32_e32 v29, 33, v29, vcc
	v_xor_b32_e32 v26, v26, v36
	v_sub_u32_e32 v30, 32, v29
	v_xor_b32_e32 v19, v19, v36
	v_alignbit_b32 v31, v37, v26, v30
	v_alignbit_b32 v19, v26, v19, v30
	;; [unrolled: 1-line block ×3, first 2 shown]
	v_ffbh_u32_e32 v27, v26
	v_min_u32_e32 v27, 32, v27
	v_lshrrev_b32_e32 v33, 29, v9
	v_sub_u32_e32 v30, 31, v27
	v_alignbit_b32 v19, v26, v19, v30
	v_lshlrev_b32_e32 v26, 31, v33
	v_or_b32_e32 v30, 0x33800000, v26
	v_add_lshl_u32 v27, v27, v29, 23
	v_lshrrev_b32_e32 v19, 9, v19
	v_sub_u32_e32 v27, v30, v27
	v_or_b32_e32 v19, v27, v19
	v_alignbit_b32 v27, v29, v31, 9
	v_or_b32_e32 v26, v27, v26
	v_xor_b32_e32 v26, 1.0, v26
	s_mov_b32 s2, 0x3fc90fda
	v_mul_f32_e32 v27, 0x3fc90fda, v26
	v_fma_f32 v29, v26, s2, -v27
	v_fmamk_f32 v26, v26, 0x33a22168, v29
	v_fmac_f32_e32 v26, 0x3fc90fda, v19
	v_lshrrev_b32_e32 v9, 30, v9
	v_add_f32_e32 v19, v27, v26
	v_add_u32_e32 v9, v35, v9
	s_andn2_saveexec_b64 s[2:3], s[14:15]
	s_branch .LBB13_289
.LBB13_288:
	s_andn2_saveexec_b64 s[2:3], s[14:15]
.LBB13_289:
	s_mov_b32 s4, 0x3f22f983
	v_mul_f32_e64 v9, |v2|, s4
	v_rndne_f32_e32 v19, v9
	s_mov_b32 s4, 0xbfc90fda
	v_cvt_i32_f32_e32 v9, v19
	v_fma_f32 v26, v19, s4, |v2|
	v_fmamk_f32 v26, v19, 0xb3a22168, v26
	v_fmamk_f32 v19, v19, 0xa7c234c4, v26
; %bb.290:
	s_or_b64 exec, exec, s[2:3]
                                        ; implicit-def: $vgpr26
                                        ; implicit-def: $vgpr27
	s_and_saveexec_b64 s[2:3], s[12:13]
	s_xor_b64 s[12:13], exec, s[2:3]
	s_cbranch_execz .LBB13_292
; %bb.291:
	v_add_u32_e32 v26, 0xffffff88, v28
	v_not_b32_e32 v28, 63
	v_cmp_lt_u32_e32 vcc, 63, v26
	s_mov_b32 s6, 0xfe5163ab
	v_mov_b32_e32 v27, 0
	v_cndmask_b32_e32 v28, 0, v28, vcc
	v_add_u32_e32 v26, v28, v26
	v_not_b32_e32 v28, 31
	v_cmp_lt_u32_e64 s[2:3], 31, v26
	s_nop 1
	v_cndmask_b32_e64 v29, 0, v28, s[2:3]
	v_add_u32_e32 v26, v29, v26
	v_cmp_lt_u32_e64 s[4:5], 31, v26
	s_nop 1
	v_cndmask_b32_e64 v28, 0, v28, s[4:5]
	v_add_u32_e32 v48, v28, v26
	v_and_b32_e32 v26, 0x7fffff, v8
	v_or_b32_e32 v49, 0x800000, v26
	v_mad_u64_u32 v[28:29], s[6:7], v49, s6, 0
	v_mov_b32_e32 v26, v29
	s_mov_b32 s6, 0x3c439041
	v_mad_u64_u32 v[30:31], s[6:7], v49, s6, v[26:27]
	v_mov_b32_e32 v26, v31
	s_mov_b32 s6, 0xdb629599
	;; [unrolled: 3-line block ×6, first 2 shown]
	v_mad_u64_u32 v[26:27], s[6:7], v49, s6, v[26:27]
	v_cndmask_b32_e32 v29, v38, v34, vcc
	v_cndmask_b32_e32 v26, v26, v36, vcc
	;; [unrolled: 1-line block ×3, first 2 shown]
	v_cndmask_b32_e64 v31, v26, v29, s[2:3]
	v_cndmask_b32_e64 v26, v27, v26, s[2:3]
	v_cndmask_b32_e32 v27, v36, v32, vcc
	v_cndmask_b32_e64 v29, v29, v27, s[2:3]
	v_cndmask_b32_e32 v30, v34, v30, vcc
	v_cndmask_b32_e64 v26, v26, v31, s[4:5]
	v_cndmask_b32_e64 v31, v31, v29, s[4:5]
	v_sub_u32_e32 v33, 32, v48
	v_cndmask_b32_e64 v27, v27, v30, s[2:3]
	v_alignbit_b32 v35, v26, v31, v33
	v_cmp_eq_u32_e64 s[6:7], 0, v48
	v_cndmask_b32_e64 v29, v29, v27, s[4:5]
	v_alignbit_b32 v34, v31, v29, v33
	v_cndmask_b32_e64 v26, v35, v26, s[6:7]
	v_cndmask_b32_e64 v31, v34, v31, s[6:7]
	v_bfe_u32 v36, v26, 29, 1
	v_cndmask_b32_e32 v28, v32, v28, vcc
	v_alignbit_b32 v34, v26, v31, 30
	v_sub_u32_e32 v37, 0, v36
	v_cndmask_b32_e64 v28, v30, v28, s[2:3]
	v_xor_b32_e32 v38, v34, v37
	v_cndmask_b32_e64 v27, v27, v28, s[4:5]
	v_alignbit_b32 v28, v29, v27, v33
	v_ffbh_u32_e32 v30, v38
	v_cndmask_b32_e64 v28, v28, v29, s[6:7]
	v_add_u32_e32 v30, 1, v30
	v_cmp_ne_u32_e32 vcc, v34, v37
	v_alignbit_b32 v29, v31, v28, 30
	v_alignbit_b32 v27, v28, v27, 30
	v_cndmask_b32_e32 v30, 33, v30, vcc
	v_xor_b32_e32 v29, v29, v37
	v_sub_u32_e32 v31, 32, v30
	v_xor_b32_e32 v27, v27, v37
	v_alignbit_b32 v32, v38, v29, v31
	v_alignbit_b32 v27, v29, v27, v31
	;; [unrolled: 1-line block ×3, first 2 shown]
	v_ffbh_u32_e32 v29, v28
	v_min_u32_e32 v29, 32, v29
	v_lshrrev_b32_e32 v35, 29, v26
	v_sub_u32_e32 v31, 31, v29
	v_alignbit_b32 v27, v28, v27, v31
	v_lshlrev_b32_e32 v28, 31, v35
	v_or_b32_e32 v31, 0x33800000, v28
	v_add_lshl_u32 v29, v29, v30, 23
	v_lshrrev_b32_e32 v27, 9, v27
	v_sub_u32_e32 v29, v31, v29
	v_or_b32_e32 v27, v29, v27
	v_alignbit_b32 v29, v30, v32, 9
	v_or_b32_e32 v28, v29, v28
	v_xor_b32_e32 v28, 1.0, v28
	s_mov_b32 s2, 0x3fc90fda
	v_mul_f32_e32 v29, 0x3fc90fda, v28
	v_fma_f32 v30, v28, s2, -v29
	v_fmamk_f32 v28, v28, 0x33a22168, v30
	v_fmac_f32_e32 v28, 0x3fc90fda, v27
	v_lshrrev_b32_e32 v26, 30, v26
	v_add_f32_e32 v27, v29, v28
	v_add_u32_e32 v26, v36, v26
	s_andn2_saveexec_b64 s[2:3], s[12:13]
	s_cbranch_execnz .LBB13_293
	s_branch .LBB13_294
.LBB13_292:
	s_andn2_saveexec_b64 s[2:3], s[12:13]
.LBB13_293:
	s_mov_b32 s4, 0x3f22f983
	v_mul_f32_e64 v26, |v2|, s4
	v_rndne_f32_e32 v27, v26
	s_mov_b32 s4, 0xbfc90fda
	v_cvt_i32_f32_e32 v26, v27
	v_fma_f32 v28, v27, s4, |v2|
	v_fmamk_f32 v28, v27, 0xb3a22168, v28
	v_fmamk_f32 v27, v27, 0xa7c234c4, v28
.LBB13_294:
	s_or_b64 exec, exec, s[2:3]
	v_mul_f32_e32 v28, v17, v17
	s_mov_b32 s4, 0x41c80000
	v_div_scale_f32 v29, s[2:3], v28, v28, s4
	v_rcp_f32_e32 v30, v29
	v_xor_b32_e32 v8, v8, v2
	s_mov_b32 s6, 0x40a00000
	v_mov_b32_e32 v37, 0xbf000004
	v_fma_f32 v31, -v29, v30, 1.0
	v_fmac_f32_e32 v30, v31, v30
	v_div_scale_f32 v31, vcc, s4, v28, s4
	v_mul_f32_e32 v32, v31, v30
	v_fma_f32 v33, -v29, v32, v31
	v_fmac_f32_e32 v32, v33, v30
	v_fma_f32 v29, -v29, v32, v31
	v_div_fmas_f32 v29, v29, v30, v32
	v_div_fixup_f32 v28, v29, v28, s4
	v_mov_b32_e32 v29, 0x3a50e985
	v_mov_b32_e32 v30, 0x3a725406
	v_fmac_f32_e32 v29, 0, v28
	v_fmac_f32_e32 v30, 0, v28
	v_fmaak_f32 v29, v28, v29, 0x3da9a586
	v_fmaak_f32 v30, v28, v30, 0x3daf5e2d
	;; [unrolled: 1-line block ×8, first 2 shown]
	v_mov_b32_e32 v31, 0xbc3a3a12
	v_fmaak_f32 v29, v28, v29, 0x40a9b425
	v_fmaak_f32 v30, v28, v30, 0x40a9cb2f
	v_fmac_f32_e32 v31, 0, v28
	v_mov_b32_e32 v32, 0x4280a2ba
	v_fma_f32 v30, v28, v30, 1.0
	v_fmaak_f32 v31, v28, v31, 0xbfa429da
	v_fmac_f32_e32 v32, 0, v28
	v_fma_f32 v29, v28, v29, 1.0
	v_fmaak_f32 v31, v28, v31, 0xc19c6e80
	v_fmaak_f32 v32, v28, v32, 0x44561b86
	v_div_scale_f32 v33, s[2:3], v30, v30, v29
	v_fmaak_f32 v31, v28, v31, 0xc2ba697b
	v_fmaak_f32 v32, v28, v32, 0x4572a66e
	v_rcp_f32_e32 v34, v33
	v_fmaak_f32 v31, v28, v31, 0xc331ae61
	v_fmaak_f32 v32, v28, v32, 0x45e243be
	;; [unrolled: 1-line block ×8, first 2 shown]
	v_fma_f32 v32, -v33, v34, 1.0
	v_fmac_f32_e32 v34, v32, v34
	v_div_scale_f32 v32, vcc, v29, v30, v29
	v_mul_f32_e32 v35, v32, v34
	v_fma_f32 v36, -v33, v35, v32
	v_fmac_f32_e32 v35, v36, v34
	v_fma_f32 v32, -v33, v35, v32
	v_div_fmas_f32 v32, v32, v34, v35
	v_div_fixup_f32 v29, v32, v30, v29
	v_mul_f32_e32 v30, v19, v19
	v_mov_b32_e32 v32, 0x3c0881c4
	v_fmamk_f32 v33, v30, 0xb94c1982, v32
	v_fmaak_f32 v33, v30, v33, 0xbe2aaa9d
	v_mul_f32_e32 v33, v30, v33
	v_fmac_f32_e32 v19, v19, v33
	v_mov_b32_e32 v33, 0xbab64f3b
	v_fmamk_f32 v35, v30, 0x37d75334, v33
	v_fmaak_f32 v35, v30, v35, 0x3d2aabf7
	v_fmaak_f32 v35, v30, v35, 0xbf000004
	v_fma_f32 v30, v30, v35, 1.0
	v_and_b32_e32 v35, 1, v9
	v_lshlrev_b32_e32 v9, 30, v9
	v_cmp_eq_u32_e32 vcc, 0, v35
	v_and_b32_e32 v9, 0x80000000, v9
	v_xor_b32_e32 v8, v8, v9
	v_cndmask_b32_e32 v19, v30, v19, vcc
	v_div_scale_f32 v9, s[2:3], v17, v17, s6
	v_xor_b32_e32 v8, v8, v19
	v_rcp_f32_e32 v19, v9
	s_movk_i32 s4, 0x1f8
	v_mov_b32_e32 v30, 0x7fc00000
	v_cmp_class_f32_e64 s[2:3], v2, s4
	v_mov_b32_e32 v34, 0xbe2aaa9d
	v_mov_b32_e32 v36, 0x3d2aabf7
	v_cndmask_b32_e64 v2, v30, v8, s[2:3]
	v_fma_f32 v8, -v9, v19, 1.0
	v_fmac_f32_e32 v19, v8, v19
	v_div_scale_f32 v8, vcc, s6, v17, s6
	v_mul_f32_e32 v35, v8, v19
	v_fma_f32 v38, -v9, v35, v8
	v_fmac_f32_e32 v35, v38, v19
	v_fma_f32 v8, -v9, v35, v8
	v_div_scale_f32 v9, s[4:5], v28, v28, v31
	v_rcp_f32_e32 v38, v9
	v_div_fmas_f32 v8, v8, v19, v35
	v_div_fixup_f32 v8, v8, v17, s6
	v_fma_f32 v19, -v9, v38, 1.0
	v_fmac_f32_e32 v38, v19, v38
	v_div_scale_f32 v19, vcc, v31, v28, v31
	v_mul_f32_e32 v35, v19, v38
	v_fma_f32 v39, -v9, v35, v19
	v_fmac_f32_e32 v35, v39, v38
	v_fma_f32 v9, -v9, v35, v19
	v_div_fmas_f32 v9, v9, v38, v35
	v_div_fixup_f32 v9, v9, v28, v31
	v_mul_f32_e32 v8, v8, v9
	v_mul_f32_e32 v9, v27, v27
	v_fmac_f32_e32 v32, 0xb94c1982, v9
	v_fmac_f32_e32 v34, v9, v32
	;; [unrolled: 1-line block ×3, first 2 shown]
	v_mul_f32_e32 v19, v9, v34
	v_fmac_f32_e32 v36, v9, v33
	v_fmac_f32_e32 v27, v27, v19
	;; [unrolled: 1-line block ×3, first 2 shown]
	v_and_b32_e32 v19, 1, v26
	v_fma_f32 v9, v9, v37, 1.0
	v_cmp_eq_u32_e32 vcc, 0, v19
	v_lshlrev_b32_e32 v19, 30, v26
	v_and_b32_e32 v19, 0x80000000, v19
	v_cndmask_b32_e64 v9, -v27, v9, vcc
	v_xor_b32_e32 v9, v19, v9
	v_cndmask_b32_e64 v9, v30, v9, s[2:3]
	s_mov_b32 s2, 0xf800000
	v_mul_f32_e32 v19, 0x4f800000, v17
	v_cmp_gt_f32_e32 vcc, s2, v17
	v_mul_f32_e32 v8, v8, v9
	v_fmac_f32_e32 v8, v29, v2
	v_cndmask_b32_e32 v17, v17, v19, vcc
	v_sqrt_f32_e32 v19, v17
	v_mul_f32_e32 v2, 0x3f4c422a, v8
	v_add_u32_e32 v8, -1, v19
	v_fma_f32 v9, -v8, v19, v17
	v_cmp_ge_f32_e64 s[2:3], 0, v9
	v_add_u32_e32 v9, 1, v19
	s_nop 0
	v_cndmask_b32_e64 v8, v19, v8, s[2:3]
	v_fma_f32 v19, -v9, v19, v17
	v_cmp_lt_f32_e64 s[2:3], 0, v19
	s_nop 1
	v_cndmask_b32_e64 v8, v8, v9, s[2:3]
	v_mul_f32_e32 v9, 0x37800000, v8
	v_cndmask_b32_e32 v8, v8, v9, vcc
	v_mov_b32_e32 v9, 0x260
	v_cmp_class_f32_e32 vcc, v17, v9
	s_nop 1
	v_cndmask_b32_e32 v8, v8, v17, vcc
	v_div_scale_f32 v9, s[2:3], v8, v8, v2
	v_rcp_f32_e32 v17, v9
	s_nop 0
	v_fma_f32 v19, -v9, v17, 1.0
	v_fmac_f32_e32 v17, v19, v17
	v_div_scale_f32 v19, vcc, v2, v8, v2
	v_mul_f32_e32 v26, v19, v17
	v_fma_f32 v27, -v9, v26, v19
	v_fmac_f32_e32 v26, v27, v17
	v_fma_f32 v9, -v9, v26, v19
	v_div_fmas_f32 v9, v9, v17, v26
	v_div_fixup_f32 v19, v9, v8, v2
.LBB13_295:
	s_or_b64 exec, exec, s[10:11]
.LBB13_296:
	s_or_b64 exec, exec, s[8:9]
	v_or_b32_e32 v2, 0xc00, v5
	v_cmp_lt_i32_e32 vcc, v2, v4
                                        ; implicit-def: $vgpr17
	s_and_saveexec_b64 s[8:9], vcc
	s_cbranch_execz .LBB13_318
; %bb.297:
	s_mov_b32 s2, 0x40a00000
	v_cmp_ge_f32_e32 vcc, s2, v15
                                        ; implicit-def: $vgpr17
	s_and_saveexec_b64 s[2:3], vcc
	s_xor_b64 s[4:5], exec, s[2:3]
	s_cbranch_execz .LBB13_307
; %bb.298:
	v_cmp_neq_f32_e32 vcc, 0, v15
	v_mov_b32_e32 v17, 0xff800000
	s_and_saveexec_b64 s[6:7], vcc
	s_cbranch_execz .LBB13_306
; %bb.299:
	v_cmp_ngt_f32_e32 vcc, 0, v15
	v_mov_b32_e32 v17, 0x7fc00000
	s_and_saveexec_b64 s[10:11], vcc
	s_cbranch_execz .LBB13_305
; %bb.300:
	v_mul_f32_e32 v2, v15, v15
	s_mov_b32 s2, 0x3727c5ac
	v_mul_f32_e32 v8, 0, v2
	v_cmp_ngt_f32_e32 vcc, s2, v15
                                        ; implicit-def: $vgpr9
	s_and_saveexec_b64 s[2:3], vcc
	s_xor_b64 s[2:3], exec, s[2:3]
	s_cbranch_execz .LBB13_302
; %bb.301:
	v_add_f32_e32 v9, 0x43f9c815, v8
	v_fmaak_f32 v9, v2, v9, 0x4829b65a
	v_fmaak_f32 v9, v2, v9, 0x4c38c9a1
	;; [unrolled: 1-line block ×3, first 2 shown]
	s_mov_b32 s12, 0xcf8ee29d
	v_mul_f32_e32 v9, v2, v9
	s_mov_b32 s13, 0x53f5f59c
	v_pk_add_f32 v[26:27], v[8:9], s[12:13]
	s_mov_b32 s12, 0x53e3ba8e
	s_mov_b32 s13, 0x578d3514
	v_pk_fma_f32 v[26:27], v[2:3], v[26:27], s[12:13] op_sel_hi:[0,1,1]
	s_mov_b32 s12, 0xd762b0a7
	s_mov_b32 s13, 0x5ae20a0c
	v_pk_fma_f32 v[26:27], v[2:3], v[26:27], s[12:13] op_sel_hi:[0,1,1]
	;; [unrolled: 3-line block ×3, first 2 shown]
	s_mov_b32 s12, 0xc0b90fdc
	s_mov_b32 s13, 0xc1f3c525
	v_pk_add_f32 v[28:29], v[2:3], s[12:13] op_sel_hi:[0,1]
	v_mul_f32_e32 v9, v28, v29
	v_mul_f32_e32 v9, v9, v26
	v_div_scale_f32 v17, s[12:13], v27, v27, v9
	v_rcp_f32_e32 v26, v17
	s_nop 0
	v_fma_f32 v28, -v17, v26, 1.0
	v_fmac_f32_e32 v26, v28, v26
	v_div_scale_f32 v28, vcc, v9, v27, v9
	v_mul_f32_e32 v29, v28, v26
	v_fma_f32 v30, -v17, v29, v28
	v_fmac_f32_e32 v29, v30, v26
	v_fma_f32 v17, -v17, v29, v28
	v_div_fmas_f32 v17, v17, v26, v29
	v_div_fixup_f32 v9, v17, v27, v9
.LBB13_302:
	s_andn2_saveexec_b64 s[2:3], s[2:3]
; %bb.303:
	v_mov_b32_e32 v9, 1.0
	v_fmamk_f32 v9, v2, 0xbe800000, v9
; %bb.304:
	s_or_b64 exec, exec, s[2:3]
	v_add_f32_e32 v17, 0x4673a1bf, v8
	v_fmaak_f32 v17, v2, v17, 0xcb5fc0fa
	v_add_f32_e32 v8, 0x44822913, v8
	v_fmaak_f32 v17, v2, v17, 0x4fa1fbc8
	v_fmaak_f32 v8, v2, v8, 0x4918dbb5
	;; [unrolled: 1-line block ×12, first 2 shown]
	v_div_scale_f32 v17, s[2:3], v8, v8, v2
	v_rcp_f32_e32 v26, v17
	s_mov_b32 s2, 0x800000
	v_cmp_gt_f32_e64 s[2:3], s2, v15
	s_mov_b32 s12, 0x3f317217
	v_fma_f32 v27, -v17, v26, 1.0
	v_fmac_f32_e32 v26, v27, v26
	v_div_scale_f32 v27, vcc, v2, v8, v2
	v_mul_f32_e32 v28, v27, v26
	v_fma_f32 v29, -v17, v28, v27
	v_fmac_f32_e32 v28, v29, v26
	v_fma_f32 v17, -v17, v28, v27
	v_mov_b32_e32 v27, 0x4f800000
	v_cndmask_b32_e64 v27, 1.0, v27, s[2:3]
	v_mul_f32_e32 v15, v15, v27
	v_log_f32_e32 v15, v15
	v_div_fmas_f32 v17, v17, v26, v28
	v_div_fixup_f32 v17, v17, v8, v2
	v_mul_f32_e32 v2, 0x3f317217, v15
	v_fma_f32 v8, v15, s12, -v2
	v_fmamk_f32 v8, v15, 0x3377d1cf, v8
	s_mov_b32 s12, 0x7f800000
	v_add_f32_e32 v2, v2, v8
	v_cmp_lt_f32_e64 vcc, |v15|, s12
	v_mov_b32_e32 v8, 0x41b17218
	v_cndmask_b32_e64 v8, 0, v8, s[2:3]
	v_cndmask_b32_e32 v2, v15, v2, vcc
	v_sub_f32_e32 v2, v2, v8
	v_mul_f32_e32 v2, 0x3f22f983, v2
	v_fmac_f32_e32 v17, v2, v9
.LBB13_305:
	s_or_b64 exec, exec, s[10:11]
.LBB13_306:
	s_or_b64 exec, exec, s[6:7]
                                        ; implicit-def: $vgpr15
.LBB13_307:
	s_andn2_saveexec_b64 s[10:11], s[4:5]
	s_cbranch_execz .LBB13_317
; %bb.308:
	v_add_f32_e32 v2, 0xbf490fdb, v15
	v_and_b32_e32 v8, 0x7fffffff, v2
	s_brev_b32 s2, 18
	v_cmp_nlt_f32_e64 s[12:13], |v2|, s2
	v_lshrrev_b32_e32 v28, 23, v8
                                        ; implicit-def: $vgpr9
                                        ; implicit-def: $vgpr17
	s_and_saveexec_b64 s[2:3], s[12:13]
	s_xor_b64 s[14:15], exec, s[2:3]
	s_cbranch_execz .LBB13_310
; %bb.309:
	v_add_u32_e32 v9, 0xffffff88, v28
	v_not_b32_e32 v17, 63
	v_cmp_lt_u32_e32 vcc, 63, v9
	s_mov_b32 s6, 0xfe5163ab
	v_mov_b32_e32 v27, 0
	v_cndmask_b32_e32 v17, 0, v17, vcc
	v_add_u32_e32 v9, v17, v9
	v_not_b32_e32 v17, 31
	v_cmp_lt_u32_e64 s[2:3], 31, v9
	s_nop 1
	v_cndmask_b32_e64 v26, 0, v17, s[2:3]
	v_add_u32_e32 v9, v26, v9
	v_cmp_lt_u32_e64 s[4:5], 31, v9
	s_nop 1
	v_cndmask_b32_e64 v17, 0, v17, s[4:5]
	v_add_u32_e32 v9, v17, v9
	v_and_b32_e32 v17, 0x7fffff, v8
	v_or_b32_e32 v17, 0x800000, v17
	v_mad_u64_u32 v[30:31], s[6:7], v17, s6, 0
	v_mov_b32_e32 v26, v31
	s_mov_b32 s6, 0x3c439041
	v_mad_u64_u32 v[32:33], s[6:7], v17, s6, v[26:27]
	v_mov_b32_e32 v26, v33
	s_mov_b32 s6, 0xdb629599
	;; [unrolled: 3-line block ×6, first 2 shown]
	v_mad_u64_u32 v[26:27], s[6:7], v17, s6, v[26:27]
	v_cndmask_b32_e32 v29, v48, v36, vcc
	v_cndmask_b32_e32 v17, v26, v38, vcc
	;; [unrolled: 1-line block ×3, first 2 shown]
	v_cndmask_b32_e64 v26, v17, v29, s[2:3]
	v_cndmask_b32_e64 v17, v27, v17, s[2:3]
	v_cndmask_b32_e32 v27, v38, v34, vcc
	v_cndmask_b32_e64 v29, v29, v27, s[2:3]
	v_cndmask_b32_e64 v17, v17, v26, s[4:5]
	;; [unrolled: 1-line block ×3, first 2 shown]
	v_sub_u32_e32 v31, 32, v9
	v_alignbit_b32 v33, v17, v26, v31
	v_cmp_eq_u32_e64 s[6:7], 0, v9
	v_cndmask_b32_e32 v30, v34, v30, vcc
	s_nop 0
	v_cndmask_b32_e64 v9, v33, v17, s[6:7]
	v_cndmask_b32_e32 v17, v36, v32, vcc
	v_cndmask_b32_e64 v27, v27, v17, s[2:3]
	v_cndmask_b32_e64 v29, v29, v27, s[4:5]
	v_alignbit_b32 v32, v26, v29, v31
	v_cndmask_b32_e64 v26, v32, v26, s[6:7]
	v_bfe_u32 v35, v9, 29, 1
	v_cndmask_b32_e64 v17, v17, v30, s[2:3]
	v_alignbit_b32 v32, v9, v26, 30
	v_sub_u32_e32 v36, 0, v35
	v_cndmask_b32_e64 v17, v27, v17, s[4:5]
	v_xor_b32_e32 v37, v32, v36
	v_alignbit_b32 v27, v29, v17, v31
	v_cndmask_b32_e64 v27, v27, v29, s[6:7]
	v_ffbh_u32_e32 v29, v37
	v_add_u32_e32 v29, 1, v29
	v_cmp_ne_u32_e32 vcc, v32, v36
	v_alignbit_b32 v26, v26, v27, 30
	v_alignbit_b32 v17, v27, v17, 30
	v_cndmask_b32_e32 v29, 33, v29, vcc
	v_xor_b32_e32 v26, v26, v36
	v_sub_u32_e32 v30, 32, v29
	v_xor_b32_e32 v17, v17, v36
	v_alignbit_b32 v31, v37, v26, v30
	v_alignbit_b32 v17, v26, v17, v30
	;; [unrolled: 1-line block ×3, first 2 shown]
	v_ffbh_u32_e32 v27, v26
	v_min_u32_e32 v27, 32, v27
	v_lshrrev_b32_e32 v33, 29, v9
	v_sub_u32_e32 v30, 31, v27
	v_alignbit_b32 v17, v26, v17, v30
	v_lshlrev_b32_e32 v26, 31, v33
	v_or_b32_e32 v30, 0x33800000, v26
	v_add_lshl_u32 v27, v27, v29, 23
	v_lshrrev_b32_e32 v17, 9, v17
	v_sub_u32_e32 v27, v30, v27
	v_or_b32_e32 v17, v27, v17
	v_alignbit_b32 v27, v29, v31, 9
	v_or_b32_e32 v26, v27, v26
	v_xor_b32_e32 v26, 1.0, v26
	s_mov_b32 s2, 0x3fc90fda
	v_mul_f32_e32 v27, 0x3fc90fda, v26
	v_fma_f32 v29, v26, s2, -v27
	v_fmamk_f32 v26, v26, 0x33a22168, v29
	v_fmac_f32_e32 v26, 0x3fc90fda, v17
	v_lshrrev_b32_e32 v9, 30, v9
	v_add_f32_e32 v17, v27, v26
	v_add_u32_e32 v9, v35, v9
	s_andn2_saveexec_b64 s[2:3], s[14:15]
	s_branch .LBB13_311
.LBB13_310:
	s_andn2_saveexec_b64 s[2:3], s[14:15]
.LBB13_311:
	s_mov_b32 s4, 0x3f22f983
	v_mul_f32_e64 v9, |v2|, s4
	v_rndne_f32_e32 v17, v9
	s_mov_b32 s4, 0xbfc90fda
	v_cvt_i32_f32_e32 v9, v17
	v_fma_f32 v26, v17, s4, |v2|
	v_fmamk_f32 v26, v17, 0xb3a22168, v26
	v_fmamk_f32 v17, v17, 0xa7c234c4, v26
; %bb.312:
	s_or_b64 exec, exec, s[2:3]
                                        ; implicit-def: $vgpr26
                                        ; implicit-def: $vgpr27
	s_and_saveexec_b64 s[2:3], s[12:13]
	s_xor_b64 s[12:13], exec, s[2:3]
	s_cbranch_execz .LBB13_314
; %bb.313:
	v_add_u32_e32 v26, 0xffffff88, v28
	v_not_b32_e32 v28, 63
	v_cmp_lt_u32_e32 vcc, 63, v26
	s_mov_b32 s6, 0xfe5163ab
	v_mov_b32_e32 v27, 0
	v_cndmask_b32_e32 v28, 0, v28, vcc
	v_add_u32_e32 v26, v28, v26
	v_not_b32_e32 v28, 31
	v_cmp_lt_u32_e64 s[2:3], 31, v26
	s_nop 1
	v_cndmask_b32_e64 v29, 0, v28, s[2:3]
	v_add_u32_e32 v26, v29, v26
	v_cmp_lt_u32_e64 s[4:5], 31, v26
	s_nop 1
	v_cndmask_b32_e64 v28, 0, v28, s[4:5]
	v_add_u32_e32 v48, v28, v26
	v_and_b32_e32 v26, 0x7fffff, v8
	v_or_b32_e32 v49, 0x800000, v26
	v_mad_u64_u32 v[28:29], s[6:7], v49, s6, 0
	v_mov_b32_e32 v26, v29
	s_mov_b32 s6, 0x3c439041
	v_mad_u64_u32 v[30:31], s[6:7], v49, s6, v[26:27]
	v_mov_b32_e32 v26, v31
	s_mov_b32 s6, 0xdb629599
	;; [unrolled: 3-line block ×6, first 2 shown]
	v_mad_u64_u32 v[26:27], s[6:7], v49, s6, v[26:27]
	v_cndmask_b32_e32 v29, v38, v34, vcc
	v_cndmask_b32_e32 v26, v26, v36, vcc
	;; [unrolled: 1-line block ×3, first 2 shown]
	v_cndmask_b32_e64 v31, v26, v29, s[2:3]
	v_cndmask_b32_e64 v26, v27, v26, s[2:3]
	v_cndmask_b32_e32 v27, v36, v32, vcc
	v_cndmask_b32_e64 v29, v29, v27, s[2:3]
	v_cndmask_b32_e32 v30, v34, v30, vcc
	v_cndmask_b32_e64 v26, v26, v31, s[4:5]
	v_cndmask_b32_e64 v31, v31, v29, s[4:5]
	v_sub_u32_e32 v33, 32, v48
	v_cndmask_b32_e64 v27, v27, v30, s[2:3]
	v_alignbit_b32 v35, v26, v31, v33
	v_cmp_eq_u32_e64 s[6:7], 0, v48
	v_cndmask_b32_e64 v29, v29, v27, s[4:5]
	v_alignbit_b32 v34, v31, v29, v33
	v_cndmask_b32_e64 v26, v35, v26, s[6:7]
	v_cndmask_b32_e64 v31, v34, v31, s[6:7]
	v_bfe_u32 v36, v26, 29, 1
	v_cndmask_b32_e32 v28, v32, v28, vcc
	v_alignbit_b32 v34, v26, v31, 30
	v_sub_u32_e32 v37, 0, v36
	v_cndmask_b32_e64 v28, v30, v28, s[2:3]
	v_xor_b32_e32 v38, v34, v37
	v_cndmask_b32_e64 v27, v27, v28, s[4:5]
	v_alignbit_b32 v28, v29, v27, v33
	v_ffbh_u32_e32 v30, v38
	v_cndmask_b32_e64 v28, v28, v29, s[6:7]
	v_add_u32_e32 v30, 1, v30
	v_cmp_ne_u32_e32 vcc, v34, v37
	v_alignbit_b32 v29, v31, v28, 30
	v_alignbit_b32 v27, v28, v27, 30
	v_cndmask_b32_e32 v30, 33, v30, vcc
	v_xor_b32_e32 v29, v29, v37
	v_sub_u32_e32 v31, 32, v30
	v_xor_b32_e32 v27, v27, v37
	v_alignbit_b32 v32, v38, v29, v31
	v_alignbit_b32 v27, v29, v27, v31
	;; [unrolled: 1-line block ×3, first 2 shown]
	v_ffbh_u32_e32 v29, v28
	v_min_u32_e32 v29, 32, v29
	v_lshrrev_b32_e32 v35, 29, v26
	v_sub_u32_e32 v31, 31, v29
	v_alignbit_b32 v27, v28, v27, v31
	v_lshlrev_b32_e32 v28, 31, v35
	v_or_b32_e32 v31, 0x33800000, v28
	v_add_lshl_u32 v29, v29, v30, 23
	v_lshrrev_b32_e32 v27, 9, v27
	v_sub_u32_e32 v29, v31, v29
	v_or_b32_e32 v27, v29, v27
	v_alignbit_b32 v29, v30, v32, 9
	v_or_b32_e32 v28, v29, v28
	v_xor_b32_e32 v28, 1.0, v28
	s_mov_b32 s2, 0x3fc90fda
	v_mul_f32_e32 v29, 0x3fc90fda, v28
	v_fma_f32 v30, v28, s2, -v29
	v_fmamk_f32 v28, v28, 0x33a22168, v30
	v_fmac_f32_e32 v28, 0x3fc90fda, v27
	v_lshrrev_b32_e32 v26, 30, v26
	v_add_f32_e32 v27, v29, v28
	v_add_u32_e32 v26, v36, v26
	s_andn2_saveexec_b64 s[2:3], s[12:13]
	s_cbranch_execnz .LBB13_315
	s_branch .LBB13_316
.LBB13_314:
	s_andn2_saveexec_b64 s[2:3], s[12:13]
.LBB13_315:
	s_mov_b32 s4, 0x3f22f983
	v_mul_f32_e64 v26, |v2|, s4
	v_rndne_f32_e32 v27, v26
	s_mov_b32 s4, 0xbfc90fda
	v_cvt_i32_f32_e32 v26, v27
	v_fma_f32 v28, v27, s4, |v2|
	v_fmamk_f32 v28, v27, 0xb3a22168, v28
	v_fmamk_f32 v27, v27, 0xa7c234c4, v28
.LBB13_316:
	s_or_b64 exec, exec, s[2:3]
	v_mul_f32_e32 v28, v15, v15
	s_mov_b32 s4, 0x41c80000
	v_div_scale_f32 v29, s[2:3], v28, v28, s4
	v_rcp_f32_e32 v30, v29
	v_xor_b32_e32 v8, v8, v2
	s_mov_b32 s6, 0x40a00000
	v_mov_b32_e32 v37, 0xbf000004
	v_fma_f32 v31, -v29, v30, 1.0
	v_fmac_f32_e32 v30, v31, v30
	v_div_scale_f32 v31, vcc, s4, v28, s4
	v_mul_f32_e32 v32, v31, v30
	v_fma_f32 v33, -v29, v32, v31
	v_fmac_f32_e32 v32, v33, v30
	v_fma_f32 v29, -v29, v32, v31
	v_div_fmas_f32 v29, v29, v30, v32
	v_div_fixup_f32 v28, v29, v28, s4
	v_mov_b32_e32 v29, 0x3a50e985
	v_mov_b32_e32 v30, 0x3a725406
	v_fmac_f32_e32 v29, 0, v28
	v_fmac_f32_e32 v30, 0, v28
	v_fmaak_f32 v29, v28, v29, 0x3da9a586
	v_fmaak_f32 v30, v28, v30, 0x3daf5e2d
	;; [unrolled: 1-line block ×8, first 2 shown]
	v_mov_b32_e32 v31, 0xbc3a3a12
	v_fmaak_f32 v29, v28, v29, 0x40a9b425
	v_fmaak_f32 v30, v28, v30, 0x40a9cb2f
	v_fmac_f32_e32 v31, 0, v28
	v_mov_b32_e32 v32, 0x4280a2ba
	v_fma_f32 v30, v28, v30, 1.0
	v_fmaak_f32 v31, v28, v31, 0xbfa429da
	v_fmac_f32_e32 v32, 0, v28
	v_fma_f32 v29, v28, v29, 1.0
	v_fmaak_f32 v31, v28, v31, 0xc19c6e80
	v_fmaak_f32 v32, v28, v32, 0x44561b86
	v_div_scale_f32 v33, s[2:3], v30, v30, v29
	v_fmaak_f32 v31, v28, v31, 0xc2ba697b
	v_fmaak_f32 v32, v28, v32, 0x4572a66e
	v_rcp_f32_e32 v34, v33
	v_fmaak_f32 v31, v28, v31, 0xc331ae61
	v_fmaak_f32 v32, v28, v32, 0x45e243be
	;; [unrolled: 1-line block ×8, first 2 shown]
	v_fma_f32 v32, -v33, v34, 1.0
	v_fmac_f32_e32 v34, v32, v34
	v_div_scale_f32 v32, vcc, v29, v30, v29
	v_mul_f32_e32 v35, v32, v34
	v_fma_f32 v36, -v33, v35, v32
	v_fmac_f32_e32 v35, v36, v34
	v_fma_f32 v32, -v33, v35, v32
	v_div_fmas_f32 v32, v32, v34, v35
	v_div_fixup_f32 v29, v32, v30, v29
	v_mul_f32_e32 v30, v17, v17
	v_mov_b32_e32 v32, 0x3c0881c4
	v_fmamk_f32 v33, v30, 0xb94c1982, v32
	v_fmaak_f32 v33, v30, v33, 0xbe2aaa9d
	v_mul_f32_e32 v33, v30, v33
	v_fmac_f32_e32 v17, v17, v33
	v_mov_b32_e32 v33, 0xbab64f3b
	v_fmamk_f32 v35, v30, 0x37d75334, v33
	v_fmaak_f32 v35, v30, v35, 0x3d2aabf7
	v_fmaak_f32 v35, v30, v35, 0xbf000004
	v_fma_f32 v30, v30, v35, 1.0
	v_and_b32_e32 v35, 1, v9
	v_lshlrev_b32_e32 v9, 30, v9
	v_cmp_eq_u32_e32 vcc, 0, v35
	v_and_b32_e32 v9, 0x80000000, v9
	v_xor_b32_e32 v8, v8, v9
	v_cndmask_b32_e32 v17, v30, v17, vcc
	v_div_scale_f32 v9, s[2:3], v15, v15, s6
	v_xor_b32_e32 v8, v8, v17
	v_rcp_f32_e32 v17, v9
	s_movk_i32 s4, 0x1f8
	v_mov_b32_e32 v30, 0x7fc00000
	v_cmp_class_f32_e64 s[2:3], v2, s4
	v_mov_b32_e32 v34, 0xbe2aaa9d
	v_mov_b32_e32 v36, 0x3d2aabf7
	v_cndmask_b32_e64 v2, v30, v8, s[2:3]
	v_fma_f32 v8, -v9, v17, 1.0
	v_fmac_f32_e32 v17, v8, v17
	v_div_scale_f32 v8, vcc, s6, v15, s6
	v_mul_f32_e32 v35, v8, v17
	v_fma_f32 v38, -v9, v35, v8
	v_fmac_f32_e32 v35, v38, v17
	v_fma_f32 v8, -v9, v35, v8
	v_div_scale_f32 v9, s[4:5], v28, v28, v31
	v_rcp_f32_e32 v38, v9
	v_div_fmas_f32 v8, v8, v17, v35
	v_div_fixup_f32 v8, v8, v15, s6
	v_fma_f32 v17, -v9, v38, 1.0
	v_fmac_f32_e32 v38, v17, v38
	v_div_scale_f32 v17, vcc, v31, v28, v31
	v_mul_f32_e32 v35, v17, v38
	v_fma_f32 v39, -v9, v35, v17
	v_fmac_f32_e32 v35, v39, v38
	v_fma_f32 v9, -v9, v35, v17
	v_div_fmas_f32 v9, v9, v38, v35
	v_div_fixup_f32 v9, v9, v28, v31
	v_mul_f32_e32 v8, v8, v9
	v_mul_f32_e32 v9, v27, v27
	v_fmac_f32_e32 v32, 0xb94c1982, v9
	v_fmac_f32_e32 v34, v9, v32
	;; [unrolled: 1-line block ×3, first 2 shown]
	v_mul_f32_e32 v17, v9, v34
	v_fmac_f32_e32 v36, v9, v33
	v_fmac_f32_e32 v27, v27, v17
	v_fmac_f32_e32 v37, v9, v36
	v_and_b32_e32 v17, 1, v26
	v_fma_f32 v9, v9, v37, 1.0
	v_cmp_eq_u32_e32 vcc, 0, v17
	v_lshlrev_b32_e32 v17, 30, v26
	v_and_b32_e32 v17, 0x80000000, v17
	v_cndmask_b32_e64 v9, -v27, v9, vcc
	v_xor_b32_e32 v9, v17, v9
	v_cndmask_b32_e64 v9, v30, v9, s[2:3]
	s_mov_b32 s2, 0xf800000
	v_mul_f32_e32 v17, 0x4f800000, v15
	v_cmp_gt_f32_e32 vcc, s2, v15
	v_mul_f32_e32 v8, v8, v9
	v_fmac_f32_e32 v8, v29, v2
	v_cndmask_b32_e32 v15, v15, v17, vcc
	v_sqrt_f32_e32 v17, v15
	v_mul_f32_e32 v2, 0x3f4c422a, v8
	v_add_u32_e32 v8, -1, v17
	v_fma_f32 v9, -v8, v17, v15
	v_cmp_ge_f32_e64 s[2:3], 0, v9
	v_add_u32_e32 v9, 1, v17
	s_nop 0
	v_cndmask_b32_e64 v8, v17, v8, s[2:3]
	v_fma_f32 v17, -v9, v17, v15
	v_cmp_lt_f32_e64 s[2:3], 0, v17
	s_nop 1
	v_cndmask_b32_e64 v8, v8, v9, s[2:3]
	v_mul_f32_e32 v9, 0x37800000, v8
	v_cndmask_b32_e32 v8, v8, v9, vcc
	v_mov_b32_e32 v9, 0x260
	v_cmp_class_f32_e32 vcc, v15, v9
	s_nop 1
	v_cndmask_b32_e32 v8, v8, v15, vcc
	v_div_scale_f32 v9, s[2:3], v8, v8, v2
	v_rcp_f32_e32 v15, v9
	s_nop 0
	v_fma_f32 v17, -v9, v15, 1.0
	v_fmac_f32_e32 v15, v17, v15
	v_div_scale_f32 v17, vcc, v2, v8, v2
	v_mul_f32_e32 v26, v17, v15
	v_fma_f32 v27, -v9, v26, v17
	v_fmac_f32_e32 v26, v27, v15
	v_fma_f32 v9, -v9, v26, v17
	v_div_fmas_f32 v9, v9, v15, v26
	v_div_fixup_f32 v17, v9, v8, v2
.LBB13_317:
	s_or_b64 exec, exec, s[10:11]
.LBB13_318:
	s_or_b64 exec, exec, s[8:9]
	v_add_u32_e32 v2, 0xd00, v5
	v_cmp_lt_i32_e32 vcc, v2, v4
                                        ; implicit-def: $vgpr15
	s_and_saveexec_b64 s[8:9], vcc
	s_cbranch_execz .LBB13_340
; %bb.319:
	s_mov_b32 s2, 0x40a00000
	v_cmp_ge_f32_e32 vcc, s2, v13
                                        ; implicit-def: $vgpr15
	s_and_saveexec_b64 s[2:3], vcc
	s_xor_b64 s[4:5], exec, s[2:3]
	s_cbranch_execz .LBB13_329
; %bb.320:
	v_cmp_neq_f32_e32 vcc, 0, v13
	v_mov_b32_e32 v15, 0xff800000
	s_and_saveexec_b64 s[6:7], vcc
	s_cbranch_execz .LBB13_328
; %bb.321:
	v_cmp_ngt_f32_e32 vcc, 0, v13
	v_mov_b32_e32 v15, 0x7fc00000
	s_and_saveexec_b64 s[10:11], vcc
	s_cbranch_execz .LBB13_327
; %bb.322:
	v_mul_f32_e32 v2, v13, v13
	s_mov_b32 s2, 0x3727c5ac
	v_mul_f32_e32 v8, 0, v2
	v_cmp_ngt_f32_e32 vcc, s2, v13
                                        ; implicit-def: $vgpr9
	s_and_saveexec_b64 s[2:3], vcc
	s_xor_b64 s[2:3], exec, s[2:3]
	s_cbranch_execz .LBB13_324
; %bb.323:
	v_add_f32_e32 v9, 0x43f9c815, v8
	v_fmaak_f32 v9, v2, v9, 0x4829b65a
	v_fmaak_f32 v9, v2, v9, 0x4c38c9a1
	v_fmaak_f32 v9, v2, v9, 0x5026ad80
	s_mov_b32 s12, 0xcf8ee29d
	v_mul_f32_e32 v9, v2, v9
	s_mov_b32 s13, 0x53f5f59c
	v_pk_add_f32 v[26:27], v[8:9], s[12:13]
	s_mov_b32 s12, 0x53e3ba8e
	s_mov_b32 s13, 0x578d3514
	v_pk_fma_f32 v[26:27], v[2:3], v[26:27], s[12:13] op_sel_hi:[0,1,1]
	s_mov_b32 s12, 0xd762b0a7
	s_mov_b32 s13, 0x5ae20a0c
	v_pk_fma_f32 v[26:27], v[2:3], v[26:27], s[12:13] op_sel_hi:[0,1,1]
	;; [unrolled: 3-line block ×3, first 2 shown]
	s_mov_b32 s12, 0xc0b90fdc
	s_mov_b32 s13, 0xc1f3c525
	v_pk_add_f32 v[28:29], v[2:3], s[12:13] op_sel_hi:[0,1]
	v_mul_f32_e32 v9, v28, v29
	v_mul_f32_e32 v9, v9, v26
	v_div_scale_f32 v15, s[12:13], v27, v27, v9
	v_rcp_f32_e32 v26, v15
	s_nop 0
	v_fma_f32 v28, -v15, v26, 1.0
	v_fmac_f32_e32 v26, v28, v26
	v_div_scale_f32 v28, vcc, v9, v27, v9
	v_mul_f32_e32 v29, v28, v26
	v_fma_f32 v30, -v15, v29, v28
	v_fmac_f32_e32 v29, v30, v26
	v_fma_f32 v15, -v15, v29, v28
	v_div_fmas_f32 v15, v15, v26, v29
	v_div_fixup_f32 v9, v15, v27, v9
.LBB13_324:
	s_andn2_saveexec_b64 s[2:3], s[2:3]
; %bb.325:
	v_mov_b32_e32 v9, 1.0
	v_fmamk_f32 v9, v2, 0xbe800000, v9
; %bb.326:
	s_or_b64 exec, exec, s[2:3]
	v_add_f32_e32 v15, 0x4673a1bf, v8
	v_fmaak_f32 v15, v2, v15, 0xcb5fc0fa
	v_add_f32_e32 v8, 0x44822913, v8
	v_fmaak_f32 v15, v2, v15, 0x4fa1fbc8
	v_fmaak_f32 v8, v2, v8, 0x4918dbb5
	;; [unrolled: 1-line block ×12, first 2 shown]
	v_div_scale_f32 v15, s[2:3], v8, v8, v2
	v_rcp_f32_e32 v26, v15
	s_mov_b32 s2, 0x800000
	v_cmp_gt_f32_e64 s[2:3], s2, v13
	s_mov_b32 s12, 0x3f317217
	v_fma_f32 v27, -v15, v26, 1.0
	v_fmac_f32_e32 v26, v27, v26
	v_div_scale_f32 v27, vcc, v2, v8, v2
	v_mul_f32_e32 v28, v27, v26
	v_fma_f32 v29, -v15, v28, v27
	v_fmac_f32_e32 v28, v29, v26
	v_fma_f32 v15, -v15, v28, v27
	v_mov_b32_e32 v27, 0x4f800000
	v_cndmask_b32_e64 v27, 1.0, v27, s[2:3]
	v_mul_f32_e32 v13, v13, v27
	v_log_f32_e32 v13, v13
	v_div_fmas_f32 v15, v15, v26, v28
	v_div_fixup_f32 v15, v15, v8, v2
	v_mul_f32_e32 v2, 0x3f317217, v13
	v_fma_f32 v8, v13, s12, -v2
	v_fmamk_f32 v8, v13, 0x3377d1cf, v8
	s_mov_b32 s12, 0x7f800000
	v_add_f32_e32 v2, v2, v8
	v_cmp_lt_f32_e64 vcc, |v13|, s12
	v_mov_b32_e32 v8, 0x41b17218
	v_cndmask_b32_e64 v8, 0, v8, s[2:3]
	v_cndmask_b32_e32 v2, v13, v2, vcc
	v_sub_f32_e32 v2, v2, v8
	v_mul_f32_e32 v2, 0x3f22f983, v2
	v_fmac_f32_e32 v15, v2, v9
.LBB13_327:
	s_or_b64 exec, exec, s[10:11]
.LBB13_328:
	s_or_b64 exec, exec, s[6:7]
                                        ; implicit-def: $vgpr13
.LBB13_329:
	s_andn2_saveexec_b64 s[10:11], s[4:5]
	s_cbranch_execz .LBB13_339
; %bb.330:
	v_add_f32_e32 v2, 0xbf490fdb, v13
	v_and_b32_e32 v8, 0x7fffffff, v2
	s_brev_b32 s2, 18
	v_cmp_nlt_f32_e64 s[12:13], |v2|, s2
	v_lshrrev_b32_e32 v28, 23, v8
                                        ; implicit-def: $vgpr9
                                        ; implicit-def: $vgpr15
	s_and_saveexec_b64 s[2:3], s[12:13]
	s_xor_b64 s[14:15], exec, s[2:3]
	s_cbranch_execz .LBB13_332
; %bb.331:
	v_add_u32_e32 v9, 0xffffff88, v28
	v_not_b32_e32 v15, 63
	v_cmp_lt_u32_e32 vcc, 63, v9
	s_mov_b32 s6, 0xfe5163ab
	v_mov_b32_e32 v27, 0
	v_cndmask_b32_e32 v15, 0, v15, vcc
	v_add_u32_e32 v9, v15, v9
	v_not_b32_e32 v15, 31
	v_cmp_lt_u32_e64 s[2:3], 31, v9
	s_nop 1
	v_cndmask_b32_e64 v26, 0, v15, s[2:3]
	v_add_u32_e32 v9, v26, v9
	v_cmp_lt_u32_e64 s[4:5], 31, v9
	s_nop 1
	v_cndmask_b32_e64 v15, 0, v15, s[4:5]
	v_add_u32_e32 v9, v15, v9
	v_and_b32_e32 v15, 0x7fffff, v8
	v_or_b32_e32 v15, 0x800000, v15
	v_mad_u64_u32 v[30:31], s[6:7], v15, s6, 0
	v_mov_b32_e32 v26, v31
	s_mov_b32 s6, 0x3c439041
	v_mad_u64_u32 v[32:33], s[6:7], v15, s6, v[26:27]
	v_mov_b32_e32 v26, v33
	s_mov_b32 s6, 0xdb629599
	;; [unrolled: 3-line block ×6, first 2 shown]
	v_mad_u64_u32 v[26:27], s[6:7], v15, s6, v[26:27]
	v_cndmask_b32_e32 v29, v48, v36, vcc
	v_cndmask_b32_e32 v15, v26, v38, vcc
	v_cndmask_b32_e32 v27, v27, v48, vcc
	v_cndmask_b32_e64 v26, v15, v29, s[2:3]
	v_cndmask_b32_e64 v15, v27, v15, s[2:3]
	v_cndmask_b32_e32 v27, v38, v34, vcc
	v_cndmask_b32_e64 v29, v29, v27, s[2:3]
	v_cndmask_b32_e64 v15, v15, v26, s[4:5]
	;; [unrolled: 1-line block ×3, first 2 shown]
	v_sub_u32_e32 v31, 32, v9
	v_alignbit_b32 v33, v15, v26, v31
	v_cmp_eq_u32_e64 s[6:7], 0, v9
	v_cndmask_b32_e32 v30, v34, v30, vcc
	s_nop 0
	v_cndmask_b32_e64 v9, v33, v15, s[6:7]
	v_cndmask_b32_e32 v15, v36, v32, vcc
	v_cndmask_b32_e64 v27, v27, v15, s[2:3]
	v_cndmask_b32_e64 v29, v29, v27, s[4:5]
	v_alignbit_b32 v32, v26, v29, v31
	v_cndmask_b32_e64 v26, v32, v26, s[6:7]
	v_bfe_u32 v35, v9, 29, 1
	v_cndmask_b32_e64 v15, v15, v30, s[2:3]
	v_alignbit_b32 v32, v9, v26, 30
	v_sub_u32_e32 v36, 0, v35
	v_cndmask_b32_e64 v15, v27, v15, s[4:5]
	v_xor_b32_e32 v37, v32, v36
	v_alignbit_b32 v27, v29, v15, v31
	v_cndmask_b32_e64 v27, v27, v29, s[6:7]
	v_ffbh_u32_e32 v29, v37
	v_add_u32_e32 v29, 1, v29
	v_cmp_ne_u32_e32 vcc, v32, v36
	v_alignbit_b32 v26, v26, v27, 30
	v_alignbit_b32 v15, v27, v15, 30
	v_cndmask_b32_e32 v29, 33, v29, vcc
	v_xor_b32_e32 v26, v26, v36
	v_sub_u32_e32 v30, 32, v29
	v_xor_b32_e32 v15, v15, v36
	v_alignbit_b32 v31, v37, v26, v30
	v_alignbit_b32 v15, v26, v15, v30
	;; [unrolled: 1-line block ×3, first 2 shown]
	v_ffbh_u32_e32 v27, v26
	v_min_u32_e32 v27, 32, v27
	v_lshrrev_b32_e32 v33, 29, v9
	v_sub_u32_e32 v30, 31, v27
	v_alignbit_b32 v15, v26, v15, v30
	v_lshlrev_b32_e32 v26, 31, v33
	v_or_b32_e32 v30, 0x33800000, v26
	v_add_lshl_u32 v27, v27, v29, 23
	v_lshrrev_b32_e32 v15, 9, v15
	v_sub_u32_e32 v27, v30, v27
	v_or_b32_e32 v15, v27, v15
	v_alignbit_b32 v27, v29, v31, 9
	v_or_b32_e32 v26, v27, v26
	v_xor_b32_e32 v26, 1.0, v26
	s_mov_b32 s2, 0x3fc90fda
	v_mul_f32_e32 v27, 0x3fc90fda, v26
	v_fma_f32 v29, v26, s2, -v27
	v_fmamk_f32 v26, v26, 0x33a22168, v29
	v_fmac_f32_e32 v26, 0x3fc90fda, v15
	v_lshrrev_b32_e32 v9, 30, v9
	v_add_f32_e32 v15, v27, v26
	v_add_u32_e32 v9, v35, v9
	s_andn2_saveexec_b64 s[2:3], s[14:15]
	s_branch .LBB13_333
.LBB13_332:
	s_andn2_saveexec_b64 s[2:3], s[14:15]
.LBB13_333:
	s_mov_b32 s4, 0x3f22f983
	v_mul_f32_e64 v9, |v2|, s4
	v_rndne_f32_e32 v15, v9
	s_mov_b32 s4, 0xbfc90fda
	v_cvt_i32_f32_e32 v9, v15
	v_fma_f32 v26, v15, s4, |v2|
	v_fmamk_f32 v26, v15, 0xb3a22168, v26
	v_fmamk_f32 v15, v15, 0xa7c234c4, v26
; %bb.334:
	s_or_b64 exec, exec, s[2:3]
                                        ; implicit-def: $vgpr26
                                        ; implicit-def: $vgpr27
	s_and_saveexec_b64 s[2:3], s[12:13]
	s_xor_b64 s[12:13], exec, s[2:3]
	s_cbranch_execz .LBB13_336
; %bb.335:
	v_add_u32_e32 v26, 0xffffff88, v28
	v_not_b32_e32 v28, 63
	v_cmp_lt_u32_e32 vcc, 63, v26
	s_mov_b32 s6, 0xfe5163ab
	v_mov_b32_e32 v27, 0
	v_cndmask_b32_e32 v28, 0, v28, vcc
	v_add_u32_e32 v26, v28, v26
	v_not_b32_e32 v28, 31
	v_cmp_lt_u32_e64 s[2:3], 31, v26
	s_nop 1
	v_cndmask_b32_e64 v29, 0, v28, s[2:3]
	v_add_u32_e32 v26, v29, v26
	v_cmp_lt_u32_e64 s[4:5], 31, v26
	s_nop 1
	v_cndmask_b32_e64 v28, 0, v28, s[4:5]
	v_add_u32_e32 v48, v28, v26
	v_and_b32_e32 v26, 0x7fffff, v8
	v_or_b32_e32 v49, 0x800000, v26
	v_mad_u64_u32 v[28:29], s[6:7], v49, s6, 0
	v_mov_b32_e32 v26, v29
	s_mov_b32 s6, 0x3c439041
	v_mad_u64_u32 v[30:31], s[6:7], v49, s6, v[26:27]
	v_mov_b32_e32 v26, v31
	s_mov_b32 s6, 0xdb629599
	;; [unrolled: 3-line block ×6, first 2 shown]
	v_mad_u64_u32 v[26:27], s[6:7], v49, s6, v[26:27]
	v_cndmask_b32_e32 v29, v38, v34, vcc
	v_cndmask_b32_e32 v26, v26, v36, vcc
	;; [unrolled: 1-line block ×3, first 2 shown]
	v_cndmask_b32_e64 v31, v26, v29, s[2:3]
	v_cndmask_b32_e64 v26, v27, v26, s[2:3]
	v_cndmask_b32_e32 v27, v36, v32, vcc
	v_cndmask_b32_e64 v29, v29, v27, s[2:3]
	v_cndmask_b32_e32 v30, v34, v30, vcc
	v_cndmask_b32_e64 v26, v26, v31, s[4:5]
	v_cndmask_b32_e64 v31, v31, v29, s[4:5]
	v_sub_u32_e32 v33, 32, v48
	v_cndmask_b32_e64 v27, v27, v30, s[2:3]
	v_alignbit_b32 v35, v26, v31, v33
	v_cmp_eq_u32_e64 s[6:7], 0, v48
	v_cndmask_b32_e64 v29, v29, v27, s[4:5]
	v_alignbit_b32 v34, v31, v29, v33
	v_cndmask_b32_e64 v26, v35, v26, s[6:7]
	v_cndmask_b32_e64 v31, v34, v31, s[6:7]
	v_bfe_u32 v36, v26, 29, 1
	v_cndmask_b32_e32 v28, v32, v28, vcc
	v_alignbit_b32 v34, v26, v31, 30
	v_sub_u32_e32 v37, 0, v36
	v_cndmask_b32_e64 v28, v30, v28, s[2:3]
	v_xor_b32_e32 v38, v34, v37
	v_cndmask_b32_e64 v27, v27, v28, s[4:5]
	v_alignbit_b32 v28, v29, v27, v33
	v_ffbh_u32_e32 v30, v38
	v_cndmask_b32_e64 v28, v28, v29, s[6:7]
	v_add_u32_e32 v30, 1, v30
	v_cmp_ne_u32_e32 vcc, v34, v37
	v_alignbit_b32 v29, v31, v28, 30
	v_alignbit_b32 v27, v28, v27, 30
	v_cndmask_b32_e32 v30, 33, v30, vcc
	v_xor_b32_e32 v29, v29, v37
	v_sub_u32_e32 v31, 32, v30
	v_xor_b32_e32 v27, v27, v37
	v_alignbit_b32 v32, v38, v29, v31
	v_alignbit_b32 v27, v29, v27, v31
	;; [unrolled: 1-line block ×3, first 2 shown]
	v_ffbh_u32_e32 v29, v28
	v_min_u32_e32 v29, 32, v29
	v_lshrrev_b32_e32 v35, 29, v26
	v_sub_u32_e32 v31, 31, v29
	v_alignbit_b32 v27, v28, v27, v31
	v_lshlrev_b32_e32 v28, 31, v35
	v_or_b32_e32 v31, 0x33800000, v28
	v_add_lshl_u32 v29, v29, v30, 23
	v_lshrrev_b32_e32 v27, 9, v27
	v_sub_u32_e32 v29, v31, v29
	v_or_b32_e32 v27, v29, v27
	v_alignbit_b32 v29, v30, v32, 9
	v_or_b32_e32 v28, v29, v28
	v_xor_b32_e32 v28, 1.0, v28
	s_mov_b32 s2, 0x3fc90fda
	v_mul_f32_e32 v29, 0x3fc90fda, v28
	v_fma_f32 v30, v28, s2, -v29
	v_fmamk_f32 v28, v28, 0x33a22168, v30
	v_fmac_f32_e32 v28, 0x3fc90fda, v27
	v_lshrrev_b32_e32 v26, 30, v26
	v_add_f32_e32 v27, v29, v28
	v_add_u32_e32 v26, v36, v26
	s_andn2_saveexec_b64 s[2:3], s[12:13]
	s_cbranch_execnz .LBB13_337
	s_branch .LBB13_338
.LBB13_336:
	s_andn2_saveexec_b64 s[2:3], s[12:13]
.LBB13_337:
	s_mov_b32 s4, 0x3f22f983
	v_mul_f32_e64 v26, |v2|, s4
	v_rndne_f32_e32 v27, v26
	s_mov_b32 s4, 0xbfc90fda
	v_cvt_i32_f32_e32 v26, v27
	v_fma_f32 v28, v27, s4, |v2|
	v_fmamk_f32 v28, v27, 0xb3a22168, v28
	v_fmamk_f32 v27, v27, 0xa7c234c4, v28
.LBB13_338:
	s_or_b64 exec, exec, s[2:3]
	v_mul_f32_e32 v28, v13, v13
	s_mov_b32 s4, 0x41c80000
	v_div_scale_f32 v29, s[2:3], v28, v28, s4
	v_rcp_f32_e32 v30, v29
	v_xor_b32_e32 v8, v8, v2
	s_mov_b32 s6, 0x40a00000
	v_mov_b32_e32 v37, 0xbf000004
	v_fma_f32 v31, -v29, v30, 1.0
	v_fmac_f32_e32 v30, v31, v30
	v_div_scale_f32 v31, vcc, s4, v28, s4
	v_mul_f32_e32 v32, v31, v30
	v_fma_f32 v33, -v29, v32, v31
	v_fmac_f32_e32 v32, v33, v30
	v_fma_f32 v29, -v29, v32, v31
	v_div_fmas_f32 v29, v29, v30, v32
	v_div_fixup_f32 v28, v29, v28, s4
	v_mov_b32_e32 v29, 0x3a50e985
	v_mov_b32_e32 v30, 0x3a725406
	v_fmac_f32_e32 v29, 0, v28
	v_fmac_f32_e32 v30, 0, v28
	v_fmaak_f32 v29, v28, v29, 0x3da9a586
	v_fmaak_f32 v30, v28, v30, 0x3daf5e2d
	;; [unrolled: 1-line block ×8, first 2 shown]
	v_mov_b32_e32 v31, 0xbc3a3a12
	v_fmaak_f32 v29, v28, v29, 0x40a9b425
	v_fmaak_f32 v30, v28, v30, 0x40a9cb2f
	v_fmac_f32_e32 v31, 0, v28
	v_mov_b32_e32 v32, 0x4280a2ba
	v_fma_f32 v30, v28, v30, 1.0
	v_fmaak_f32 v31, v28, v31, 0xbfa429da
	v_fmac_f32_e32 v32, 0, v28
	v_fma_f32 v29, v28, v29, 1.0
	v_fmaak_f32 v31, v28, v31, 0xc19c6e80
	v_fmaak_f32 v32, v28, v32, 0x44561b86
	v_div_scale_f32 v33, s[2:3], v30, v30, v29
	v_fmaak_f32 v31, v28, v31, 0xc2ba697b
	v_fmaak_f32 v32, v28, v32, 0x4572a66e
	v_rcp_f32_e32 v34, v33
	v_fmaak_f32 v31, v28, v31, 0xc331ae61
	v_fmaak_f32 v32, v28, v32, 0x45e243be
	;; [unrolled: 1-line block ×8, first 2 shown]
	v_fma_f32 v32, -v33, v34, 1.0
	v_fmac_f32_e32 v34, v32, v34
	v_div_scale_f32 v32, vcc, v29, v30, v29
	v_mul_f32_e32 v35, v32, v34
	v_fma_f32 v36, -v33, v35, v32
	v_fmac_f32_e32 v35, v36, v34
	v_fma_f32 v32, -v33, v35, v32
	v_div_fmas_f32 v32, v32, v34, v35
	v_div_fixup_f32 v29, v32, v30, v29
	v_mul_f32_e32 v30, v15, v15
	v_mov_b32_e32 v32, 0x3c0881c4
	v_fmamk_f32 v33, v30, 0xb94c1982, v32
	v_fmaak_f32 v33, v30, v33, 0xbe2aaa9d
	v_mul_f32_e32 v33, v30, v33
	v_fmac_f32_e32 v15, v15, v33
	v_mov_b32_e32 v33, 0xbab64f3b
	v_fmamk_f32 v35, v30, 0x37d75334, v33
	v_fmaak_f32 v35, v30, v35, 0x3d2aabf7
	v_fmaak_f32 v35, v30, v35, 0xbf000004
	v_fma_f32 v30, v30, v35, 1.0
	v_and_b32_e32 v35, 1, v9
	v_lshlrev_b32_e32 v9, 30, v9
	v_cmp_eq_u32_e32 vcc, 0, v35
	v_and_b32_e32 v9, 0x80000000, v9
	v_xor_b32_e32 v8, v8, v9
	v_cndmask_b32_e32 v15, v30, v15, vcc
	v_div_scale_f32 v9, s[2:3], v13, v13, s6
	v_xor_b32_e32 v8, v8, v15
	v_rcp_f32_e32 v15, v9
	s_movk_i32 s4, 0x1f8
	v_mov_b32_e32 v30, 0x7fc00000
	v_cmp_class_f32_e64 s[2:3], v2, s4
	v_mov_b32_e32 v34, 0xbe2aaa9d
	v_mov_b32_e32 v36, 0x3d2aabf7
	v_cndmask_b32_e64 v2, v30, v8, s[2:3]
	v_fma_f32 v8, -v9, v15, 1.0
	v_fmac_f32_e32 v15, v8, v15
	v_div_scale_f32 v8, vcc, s6, v13, s6
	v_mul_f32_e32 v35, v8, v15
	v_fma_f32 v38, -v9, v35, v8
	v_fmac_f32_e32 v35, v38, v15
	v_fma_f32 v8, -v9, v35, v8
	v_div_scale_f32 v9, s[4:5], v28, v28, v31
	v_rcp_f32_e32 v38, v9
	v_div_fmas_f32 v8, v8, v15, v35
	v_div_fixup_f32 v8, v8, v13, s6
	v_fma_f32 v15, -v9, v38, 1.0
	v_fmac_f32_e32 v38, v15, v38
	v_div_scale_f32 v15, vcc, v31, v28, v31
	v_mul_f32_e32 v35, v15, v38
	v_fma_f32 v39, -v9, v35, v15
	v_fmac_f32_e32 v35, v39, v38
	v_fma_f32 v9, -v9, v35, v15
	v_div_fmas_f32 v9, v9, v38, v35
	v_div_fixup_f32 v9, v9, v28, v31
	v_mul_f32_e32 v8, v8, v9
	v_mul_f32_e32 v9, v27, v27
	v_fmac_f32_e32 v32, 0xb94c1982, v9
	v_fmac_f32_e32 v34, v9, v32
	;; [unrolled: 1-line block ×3, first 2 shown]
	v_mul_f32_e32 v15, v9, v34
	v_fmac_f32_e32 v36, v9, v33
	v_fmac_f32_e32 v27, v27, v15
	;; [unrolled: 1-line block ×3, first 2 shown]
	v_and_b32_e32 v15, 1, v26
	v_fma_f32 v9, v9, v37, 1.0
	v_cmp_eq_u32_e32 vcc, 0, v15
	v_lshlrev_b32_e32 v15, 30, v26
	v_and_b32_e32 v15, 0x80000000, v15
	v_cndmask_b32_e64 v9, -v27, v9, vcc
	v_xor_b32_e32 v9, v15, v9
	v_cndmask_b32_e64 v9, v30, v9, s[2:3]
	s_mov_b32 s2, 0xf800000
	v_mul_f32_e32 v15, 0x4f800000, v13
	v_cmp_gt_f32_e32 vcc, s2, v13
	v_mul_f32_e32 v8, v8, v9
	v_fmac_f32_e32 v8, v29, v2
	v_cndmask_b32_e32 v13, v13, v15, vcc
	v_sqrt_f32_e32 v15, v13
	v_mul_f32_e32 v2, 0x3f4c422a, v8
	v_add_u32_e32 v8, -1, v15
	v_fma_f32 v9, -v8, v15, v13
	v_cmp_ge_f32_e64 s[2:3], 0, v9
	v_add_u32_e32 v9, 1, v15
	s_nop 0
	v_cndmask_b32_e64 v8, v15, v8, s[2:3]
	v_fma_f32 v15, -v9, v15, v13
	v_cmp_lt_f32_e64 s[2:3], 0, v15
	s_nop 1
	v_cndmask_b32_e64 v8, v8, v9, s[2:3]
	v_mul_f32_e32 v9, 0x37800000, v8
	v_cndmask_b32_e32 v8, v8, v9, vcc
	v_mov_b32_e32 v9, 0x260
	v_cmp_class_f32_e32 vcc, v13, v9
	s_nop 1
	v_cndmask_b32_e32 v8, v8, v13, vcc
	v_div_scale_f32 v9, s[2:3], v8, v8, v2
	v_rcp_f32_e32 v13, v9
	s_nop 0
	v_fma_f32 v15, -v9, v13, 1.0
	v_fmac_f32_e32 v13, v15, v13
	v_div_scale_f32 v15, vcc, v2, v8, v2
	v_mul_f32_e32 v26, v15, v13
	v_fma_f32 v27, -v9, v26, v15
	v_fmac_f32_e32 v26, v27, v13
	v_fma_f32 v9, -v9, v26, v15
	v_div_fmas_f32 v9, v9, v13, v26
	v_div_fixup_f32 v15, v9, v8, v2
.LBB13_339:
	s_or_b64 exec, exec, s[10:11]
.LBB13_340:
	s_or_b64 exec, exec, s[8:9]
	v_add_u32_e32 v2, 0xe00, v5
	v_cmp_lt_i32_e32 vcc, v2, v4
                                        ; implicit-def: $vgpr13
	s_and_saveexec_b64 s[8:9], vcc
	s_cbranch_execz .LBB13_362
; %bb.341:
	s_mov_b32 s2, 0x40a00000
	v_cmp_ge_f32_e32 vcc, s2, v11
                                        ; implicit-def: $vgpr13
	s_and_saveexec_b64 s[2:3], vcc
	s_xor_b64 s[4:5], exec, s[2:3]
	s_cbranch_execz .LBB13_351
; %bb.342:
	v_cmp_neq_f32_e32 vcc, 0, v11
	v_mov_b32_e32 v13, 0xff800000
	s_and_saveexec_b64 s[6:7], vcc
	s_cbranch_execz .LBB13_350
; %bb.343:
	v_cmp_ngt_f32_e32 vcc, 0, v11
	v_mov_b32_e32 v13, 0x7fc00000
	s_and_saveexec_b64 s[10:11], vcc
	s_cbranch_execz .LBB13_349
; %bb.344:
	v_mul_f32_e32 v2, v11, v11
	s_mov_b32 s2, 0x3727c5ac
	v_mul_f32_e32 v8, 0, v2
	v_cmp_ngt_f32_e32 vcc, s2, v11
                                        ; implicit-def: $vgpr9
	s_and_saveexec_b64 s[2:3], vcc
	s_xor_b64 s[2:3], exec, s[2:3]
	s_cbranch_execz .LBB13_346
; %bb.345:
	v_add_f32_e32 v9, 0x43f9c815, v8
	v_fmaak_f32 v9, v2, v9, 0x4829b65a
	v_fmaak_f32 v9, v2, v9, 0x4c38c9a1
	;; [unrolled: 1-line block ×3, first 2 shown]
	s_mov_b32 s12, 0xcf8ee29d
	v_mul_f32_e32 v9, v2, v9
	s_mov_b32 s13, 0x53f5f59c
	v_pk_add_f32 v[26:27], v[8:9], s[12:13]
	s_mov_b32 s12, 0x53e3ba8e
	s_mov_b32 s13, 0x578d3514
	v_pk_fma_f32 v[26:27], v[2:3], v[26:27], s[12:13] op_sel_hi:[0,1,1]
	s_mov_b32 s12, 0xd762b0a7
	s_mov_b32 s13, 0x5ae20a0c
	v_pk_fma_f32 v[26:27], v[2:3], v[26:27], s[12:13] op_sel_hi:[0,1,1]
	;; [unrolled: 3-line block ×3, first 2 shown]
	s_mov_b32 s12, 0xc0b90fdc
	s_mov_b32 s13, 0xc1f3c525
	v_pk_add_f32 v[28:29], v[2:3], s[12:13] op_sel_hi:[0,1]
	v_mul_f32_e32 v9, v28, v29
	v_mul_f32_e32 v9, v9, v26
	v_div_scale_f32 v13, s[12:13], v27, v27, v9
	v_rcp_f32_e32 v26, v13
	s_nop 0
	v_fma_f32 v28, -v13, v26, 1.0
	v_fmac_f32_e32 v26, v28, v26
	v_div_scale_f32 v28, vcc, v9, v27, v9
	v_mul_f32_e32 v29, v28, v26
	v_fma_f32 v30, -v13, v29, v28
	v_fmac_f32_e32 v29, v30, v26
	v_fma_f32 v13, -v13, v29, v28
	v_div_fmas_f32 v13, v13, v26, v29
	v_div_fixup_f32 v9, v13, v27, v9
.LBB13_346:
	s_andn2_saveexec_b64 s[2:3], s[2:3]
; %bb.347:
	v_mov_b32_e32 v9, 1.0
	v_fmamk_f32 v9, v2, 0xbe800000, v9
; %bb.348:
	s_or_b64 exec, exec, s[2:3]
	v_add_f32_e32 v13, 0x4673a1bf, v8
	v_fmaak_f32 v13, v2, v13, 0xcb5fc0fa
	v_add_f32_e32 v8, 0x44822913, v8
	v_fmaak_f32 v13, v2, v13, 0x4fa1fbc8
	v_fmaak_f32 v8, v2, v8, 0x4918dbb5
	;; [unrolled: 1-line block ×12, first 2 shown]
	v_div_scale_f32 v13, s[2:3], v8, v8, v2
	v_rcp_f32_e32 v26, v13
	s_mov_b32 s2, 0x800000
	v_cmp_gt_f32_e64 s[2:3], s2, v11
	s_mov_b32 s12, 0x3f317217
	v_fma_f32 v27, -v13, v26, 1.0
	v_fmac_f32_e32 v26, v27, v26
	v_div_scale_f32 v27, vcc, v2, v8, v2
	v_mul_f32_e32 v28, v27, v26
	v_fma_f32 v29, -v13, v28, v27
	v_fmac_f32_e32 v28, v29, v26
	v_fma_f32 v13, -v13, v28, v27
	v_mov_b32_e32 v27, 0x4f800000
	v_cndmask_b32_e64 v27, 1.0, v27, s[2:3]
	v_mul_f32_e32 v11, v11, v27
	v_log_f32_e32 v11, v11
	v_div_fmas_f32 v13, v13, v26, v28
	v_div_fixup_f32 v13, v13, v8, v2
	v_mul_f32_e32 v2, 0x3f317217, v11
	v_fma_f32 v8, v11, s12, -v2
	v_fmamk_f32 v8, v11, 0x3377d1cf, v8
	s_mov_b32 s12, 0x7f800000
	v_add_f32_e32 v2, v2, v8
	v_cmp_lt_f32_e64 vcc, |v11|, s12
	v_mov_b32_e32 v8, 0x41b17218
	v_cndmask_b32_e64 v8, 0, v8, s[2:3]
	v_cndmask_b32_e32 v2, v11, v2, vcc
	v_sub_f32_e32 v2, v2, v8
	v_mul_f32_e32 v2, 0x3f22f983, v2
	v_fmac_f32_e32 v13, v2, v9
.LBB13_349:
	s_or_b64 exec, exec, s[10:11]
.LBB13_350:
	s_or_b64 exec, exec, s[6:7]
                                        ; implicit-def: $vgpr11
.LBB13_351:
	s_andn2_saveexec_b64 s[10:11], s[4:5]
	s_cbranch_execz .LBB13_361
; %bb.352:
	v_add_f32_e32 v2, 0xbf490fdb, v11
	v_and_b32_e32 v8, 0x7fffffff, v2
	s_brev_b32 s2, 18
	v_cmp_nlt_f32_e64 s[12:13], |v2|, s2
	v_lshrrev_b32_e32 v28, 23, v8
                                        ; implicit-def: $vgpr9
                                        ; implicit-def: $vgpr13
	s_and_saveexec_b64 s[2:3], s[12:13]
	s_xor_b64 s[14:15], exec, s[2:3]
	s_cbranch_execz .LBB13_354
; %bb.353:
	v_add_u32_e32 v9, 0xffffff88, v28
	v_not_b32_e32 v13, 63
	v_cmp_lt_u32_e32 vcc, 63, v9
	s_mov_b32 s6, 0xfe5163ab
	v_mov_b32_e32 v27, 0
	v_cndmask_b32_e32 v13, 0, v13, vcc
	v_add_u32_e32 v9, v13, v9
	v_not_b32_e32 v13, 31
	v_cmp_lt_u32_e64 s[2:3], 31, v9
	s_nop 1
	v_cndmask_b32_e64 v26, 0, v13, s[2:3]
	v_add_u32_e32 v9, v26, v9
	v_cmp_lt_u32_e64 s[4:5], 31, v9
	s_nop 1
	v_cndmask_b32_e64 v13, 0, v13, s[4:5]
	v_add_u32_e32 v9, v13, v9
	v_and_b32_e32 v13, 0x7fffff, v8
	v_or_b32_e32 v13, 0x800000, v13
	v_mad_u64_u32 v[30:31], s[6:7], v13, s6, 0
	v_mov_b32_e32 v26, v31
	s_mov_b32 s6, 0x3c439041
	v_mad_u64_u32 v[32:33], s[6:7], v13, s6, v[26:27]
	v_mov_b32_e32 v26, v33
	s_mov_b32 s6, 0xdb629599
	;; [unrolled: 3-line block ×6, first 2 shown]
	v_mad_u64_u32 v[26:27], s[6:7], v13, s6, v[26:27]
	v_cndmask_b32_e32 v29, v48, v36, vcc
	v_cndmask_b32_e32 v13, v26, v38, vcc
	;; [unrolled: 1-line block ×3, first 2 shown]
	v_cndmask_b32_e64 v26, v13, v29, s[2:3]
	v_cndmask_b32_e64 v13, v27, v13, s[2:3]
	v_cndmask_b32_e32 v27, v38, v34, vcc
	v_cndmask_b32_e64 v29, v29, v27, s[2:3]
	v_cndmask_b32_e64 v13, v13, v26, s[4:5]
	v_cndmask_b32_e64 v26, v26, v29, s[4:5]
	v_sub_u32_e32 v31, 32, v9
	v_alignbit_b32 v33, v13, v26, v31
	v_cmp_eq_u32_e64 s[6:7], 0, v9
	v_cndmask_b32_e32 v30, v34, v30, vcc
	s_nop 0
	v_cndmask_b32_e64 v9, v33, v13, s[6:7]
	v_cndmask_b32_e32 v13, v36, v32, vcc
	v_cndmask_b32_e64 v27, v27, v13, s[2:3]
	v_cndmask_b32_e64 v29, v29, v27, s[4:5]
	v_alignbit_b32 v32, v26, v29, v31
	v_cndmask_b32_e64 v26, v32, v26, s[6:7]
	v_bfe_u32 v35, v9, 29, 1
	v_cndmask_b32_e64 v13, v13, v30, s[2:3]
	v_alignbit_b32 v32, v9, v26, 30
	v_sub_u32_e32 v36, 0, v35
	v_cndmask_b32_e64 v13, v27, v13, s[4:5]
	v_xor_b32_e32 v37, v32, v36
	v_alignbit_b32 v27, v29, v13, v31
	v_cndmask_b32_e64 v27, v27, v29, s[6:7]
	v_ffbh_u32_e32 v29, v37
	v_add_u32_e32 v29, 1, v29
	v_cmp_ne_u32_e32 vcc, v32, v36
	v_alignbit_b32 v26, v26, v27, 30
	v_alignbit_b32 v13, v27, v13, 30
	v_cndmask_b32_e32 v29, 33, v29, vcc
	v_xor_b32_e32 v26, v26, v36
	v_sub_u32_e32 v30, 32, v29
	v_xor_b32_e32 v13, v13, v36
	v_alignbit_b32 v31, v37, v26, v30
	v_alignbit_b32 v13, v26, v13, v30
	;; [unrolled: 1-line block ×3, first 2 shown]
	v_ffbh_u32_e32 v27, v26
	v_min_u32_e32 v27, 32, v27
	v_lshrrev_b32_e32 v33, 29, v9
	v_sub_u32_e32 v30, 31, v27
	v_alignbit_b32 v13, v26, v13, v30
	v_lshlrev_b32_e32 v26, 31, v33
	v_or_b32_e32 v30, 0x33800000, v26
	v_add_lshl_u32 v27, v27, v29, 23
	v_lshrrev_b32_e32 v13, 9, v13
	v_sub_u32_e32 v27, v30, v27
	v_or_b32_e32 v13, v27, v13
	v_alignbit_b32 v27, v29, v31, 9
	v_or_b32_e32 v26, v27, v26
	v_xor_b32_e32 v26, 1.0, v26
	s_mov_b32 s2, 0x3fc90fda
	v_mul_f32_e32 v27, 0x3fc90fda, v26
	v_fma_f32 v29, v26, s2, -v27
	v_fmamk_f32 v26, v26, 0x33a22168, v29
	v_fmac_f32_e32 v26, 0x3fc90fda, v13
	v_lshrrev_b32_e32 v9, 30, v9
	v_add_f32_e32 v13, v27, v26
	v_add_u32_e32 v9, v35, v9
	s_andn2_saveexec_b64 s[2:3], s[14:15]
	s_branch .LBB13_355
.LBB13_354:
	s_andn2_saveexec_b64 s[2:3], s[14:15]
.LBB13_355:
	s_mov_b32 s4, 0x3f22f983
	v_mul_f32_e64 v9, |v2|, s4
	v_rndne_f32_e32 v13, v9
	s_mov_b32 s4, 0xbfc90fda
	v_cvt_i32_f32_e32 v9, v13
	v_fma_f32 v26, v13, s4, |v2|
	v_fmamk_f32 v26, v13, 0xb3a22168, v26
	v_fmamk_f32 v13, v13, 0xa7c234c4, v26
; %bb.356:
	s_or_b64 exec, exec, s[2:3]
                                        ; implicit-def: $vgpr26
                                        ; implicit-def: $vgpr27
	s_and_saveexec_b64 s[2:3], s[12:13]
	s_xor_b64 s[12:13], exec, s[2:3]
	s_cbranch_execz .LBB13_358
; %bb.357:
	v_add_u32_e32 v26, 0xffffff88, v28
	v_not_b32_e32 v28, 63
	v_cmp_lt_u32_e32 vcc, 63, v26
	s_mov_b32 s6, 0xfe5163ab
	v_mov_b32_e32 v27, 0
	v_cndmask_b32_e32 v28, 0, v28, vcc
	v_add_u32_e32 v26, v28, v26
	v_not_b32_e32 v28, 31
	v_cmp_lt_u32_e64 s[2:3], 31, v26
	s_nop 1
	v_cndmask_b32_e64 v29, 0, v28, s[2:3]
	v_add_u32_e32 v26, v29, v26
	v_cmp_lt_u32_e64 s[4:5], 31, v26
	s_nop 1
	v_cndmask_b32_e64 v28, 0, v28, s[4:5]
	v_add_u32_e32 v48, v28, v26
	v_and_b32_e32 v26, 0x7fffff, v8
	v_or_b32_e32 v49, 0x800000, v26
	v_mad_u64_u32 v[28:29], s[6:7], v49, s6, 0
	v_mov_b32_e32 v26, v29
	s_mov_b32 s6, 0x3c439041
	v_mad_u64_u32 v[30:31], s[6:7], v49, s6, v[26:27]
	v_mov_b32_e32 v26, v31
	s_mov_b32 s6, 0xdb629599
	;; [unrolled: 3-line block ×6, first 2 shown]
	v_mad_u64_u32 v[26:27], s[6:7], v49, s6, v[26:27]
	v_cndmask_b32_e32 v29, v38, v34, vcc
	v_cndmask_b32_e32 v26, v26, v36, vcc
	;; [unrolled: 1-line block ×3, first 2 shown]
	v_cndmask_b32_e64 v31, v26, v29, s[2:3]
	v_cndmask_b32_e64 v26, v27, v26, s[2:3]
	v_cndmask_b32_e32 v27, v36, v32, vcc
	v_cndmask_b32_e64 v29, v29, v27, s[2:3]
	v_cndmask_b32_e32 v30, v34, v30, vcc
	v_cndmask_b32_e64 v26, v26, v31, s[4:5]
	v_cndmask_b32_e64 v31, v31, v29, s[4:5]
	v_sub_u32_e32 v33, 32, v48
	v_cndmask_b32_e64 v27, v27, v30, s[2:3]
	v_alignbit_b32 v35, v26, v31, v33
	v_cmp_eq_u32_e64 s[6:7], 0, v48
	v_cndmask_b32_e64 v29, v29, v27, s[4:5]
	v_alignbit_b32 v34, v31, v29, v33
	v_cndmask_b32_e64 v26, v35, v26, s[6:7]
	v_cndmask_b32_e64 v31, v34, v31, s[6:7]
	v_bfe_u32 v36, v26, 29, 1
	v_cndmask_b32_e32 v28, v32, v28, vcc
	v_alignbit_b32 v34, v26, v31, 30
	v_sub_u32_e32 v37, 0, v36
	v_cndmask_b32_e64 v28, v30, v28, s[2:3]
	v_xor_b32_e32 v38, v34, v37
	v_cndmask_b32_e64 v27, v27, v28, s[4:5]
	v_alignbit_b32 v28, v29, v27, v33
	v_ffbh_u32_e32 v30, v38
	v_cndmask_b32_e64 v28, v28, v29, s[6:7]
	v_add_u32_e32 v30, 1, v30
	v_cmp_ne_u32_e32 vcc, v34, v37
	v_alignbit_b32 v29, v31, v28, 30
	v_alignbit_b32 v27, v28, v27, 30
	v_cndmask_b32_e32 v30, 33, v30, vcc
	v_xor_b32_e32 v29, v29, v37
	v_sub_u32_e32 v31, 32, v30
	v_xor_b32_e32 v27, v27, v37
	v_alignbit_b32 v32, v38, v29, v31
	v_alignbit_b32 v27, v29, v27, v31
	;; [unrolled: 1-line block ×3, first 2 shown]
	v_ffbh_u32_e32 v29, v28
	v_min_u32_e32 v29, 32, v29
	v_lshrrev_b32_e32 v35, 29, v26
	v_sub_u32_e32 v31, 31, v29
	v_alignbit_b32 v27, v28, v27, v31
	v_lshlrev_b32_e32 v28, 31, v35
	v_or_b32_e32 v31, 0x33800000, v28
	v_add_lshl_u32 v29, v29, v30, 23
	v_lshrrev_b32_e32 v27, 9, v27
	v_sub_u32_e32 v29, v31, v29
	v_or_b32_e32 v27, v29, v27
	v_alignbit_b32 v29, v30, v32, 9
	v_or_b32_e32 v28, v29, v28
	v_xor_b32_e32 v28, 1.0, v28
	s_mov_b32 s2, 0x3fc90fda
	v_mul_f32_e32 v29, 0x3fc90fda, v28
	v_fma_f32 v30, v28, s2, -v29
	v_fmamk_f32 v28, v28, 0x33a22168, v30
	v_fmac_f32_e32 v28, 0x3fc90fda, v27
	v_lshrrev_b32_e32 v26, 30, v26
	v_add_f32_e32 v27, v29, v28
	v_add_u32_e32 v26, v36, v26
	s_andn2_saveexec_b64 s[2:3], s[12:13]
	s_cbranch_execnz .LBB13_359
	s_branch .LBB13_360
.LBB13_358:
	s_andn2_saveexec_b64 s[2:3], s[12:13]
.LBB13_359:
	s_mov_b32 s4, 0x3f22f983
	v_mul_f32_e64 v26, |v2|, s4
	v_rndne_f32_e32 v27, v26
	s_mov_b32 s4, 0xbfc90fda
	v_cvt_i32_f32_e32 v26, v27
	v_fma_f32 v28, v27, s4, |v2|
	v_fmamk_f32 v28, v27, 0xb3a22168, v28
	v_fmamk_f32 v27, v27, 0xa7c234c4, v28
.LBB13_360:
	s_or_b64 exec, exec, s[2:3]
	v_mul_f32_e32 v28, v11, v11
	s_mov_b32 s4, 0x41c80000
	v_div_scale_f32 v29, s[2:3], v28, v28, s4
	v_rcp_f32_e32 v30, v29
	v_xor_b32_e32 v8, v8, v2
	s_mov_b32 s6, 0x40a00000
	v_mov_b32_e32 v37, 0xbf000004
	v_fma_f32 v31, -v29, v30, 1.0
	v_fmac_f32_e32 v30, v31, v30
	v_div_scale_f32 v31, vcc, s4, v28, s4
	v_mul_f32_e32 v32, v31, v30
	v_fma_f32 v33, -v29, v32, v31
	v_fmac_f32_e32 v32, v33, v30
	v_fma_f32 v29, -v29, v32, v31
	v_div_fmas_f32 v29, v29, v30, v32
	v_div_fixup_f32 v28, v29, v28, s4
	v_mov_b32_e32 v29, 0x3a50e985
	v_mov_b32_e32 v30, 0x3a725406
	v_fmac_f32_e32 v29, 0, v28
	v_fmac_f32_e32 v30, 0, v28
	v_fmaak_f32 v29, v28, v29, 0x3da9a586
	v_fmaak_f32 v30, v28, v30, 0x3daf5e2d
	;; [unrolled: 1-line block ×8, first 2 shown]
	v_mov_b32_e32 v31, 0xbc3a3a12
	v_fmaak_f32 v29, v28, v29, 0x40a9b425
	v_fmaak_f32 v30, v28, v30, 0x40a9cb2f
	v_fmac_f32_e32 v31, 0, v28
	v_mov_b32_e32 v32, 0x4280a2ba
	v_fma_f32 v30, v28, v30, 1.0
	v_fmaak_f32 v31, v28, v31, 0xbfa429da
	v_fmac_f32_e32 v32, 0, v28
	v_fma_f32 v29, v28, v29, 1.0
	v_fmaak_f32 v31, v28, v31, 0xc19c6e80
	v_fmaak_f32 v32, v28, v32, 0x44561b86
	v_div_scale_f32 v33, s[2:3], v30, v30, v29
	v_fmaak_f32 v31, v28, v31, 0xc2ba697b
	v_fmaak_f32 v32, v28, v32, 0x4572a66e
	v_rcp_f32_e32 v34, v33
	v_fmaak_f32 v31, v28, v31, 0xc331ae61
	v_fmaak_f32 v32, v28, v32, 0x45e243be
	;; [unrolled: 1-line block ×8, first 2 shown]
	v_fma_f32 v32, -v33, v34, 1.0
	v_fmac_f32_e32 v34, v32, v34
	v_div_scale_f32 v32, vcc, v29, v30, v29
	v_mul_f32_e32 v35, v32, v34
	v_fma_f32 v36, -v33, v35, v32
	v_fmac_f32_e32 v35, v36, v34
	v_fma_f32 v32, -v33, v35, v32
	v_div_fmas_f32 v32, v32, v34, v35
	v_div_fixup_f32 v29, v32, v30, v29
	v_mul_f32_e32 v30, v13, v13
	v_mov_b32_e32 v32, 0x3c0881c4
	v_fmamk_f32 v33, v30, 0xb94c1982, v32
	v_fmaak_f32 v33, v30, v33, 0xbe2aaa9d
	v_mul_f32_e32 v33, v30, v33
	v_fmac_f32_e32 v13, v13, v33
	v_mov_b32_e32 v33, 0xbab64f3b
	v_fmamk_f32 v35, v30, 0x37d75334, v33
	v_fmaak_f32 v35, v30, v35, 0x3d2aabf7
	v_fmaak_f32 v35, v30, v35, 0xbf000004
	v_fma_f32 v30, v30, v35, 1.0
	v_and_b32_e32 v35, 1, v9
	v_lshlrev_b32_e32 v9, 30, v9
	v_cmp_eq_u32_e32 vcc, 0, v35
	v_and_b32_e32 v9, 0x80000000, v9
	v_xor_b32_e32 v8, v8, v9
	v_cndmask_b32_e32 v13, v30, v13, vcc
	v_div_scale_f32 v9, s[2:3], v11, v11, s6
	v_xor_b32_e32 v8, v8, v13
	v_rcp_f32_e32 v13, v9
	s_movk_i32 s4, 0x1f8
	v_mov_b32_e32 v30, 0x7fc00000
	v_cmp_class_f32_e64 s[2:3], v2, s4
	v_mov_b32_e32 v34, 0xbe2aaa9d
	v_mov_b32_e32 v36, 0x3d2aabf7
	v_cndmask_b32_e64 v2, v30, v8, s[2:3]
	v_fma_f32 v8, -v9, v13, 1.0
	v_fmac_f32_e32 v13, v8, v13
	v_div_scale_f32 v8, vcc, s6, v11, s6
	v_mul_f32_e32 v35, v8, v13
	v_fma_f32 v38, -v9, v35, v8
	v_fmac_f32_e32 v35, v38, v13
	v_fma_f32 v8, -v9, v35, v8
	v_div_scale_f32 v9, s[4:5], v28, v28, v31
	v_rcp_f32_e32 v38, v9
	v_div_fmas_f32 v8, v8, v13, v35
	v_div_fixup_f32 v8, v8, v11, s6
	v_fma_f32 v13, -v9, v38, 1.0
	v_fmac_f32_e32 v38, v13, v38
	v_div_scale_f32 v13, vcc, v31, v28, v31
	v_mul_f32_e32 v35, v13, v38
	v_fma_f32 v39, -v9, v35, v13
	v_fmac_f32_e32 v35, v39, v38
	v_fma_f32 v9, -v9, v35, v13
	v_div_fmas_f32 v9, v9, v38, v35
	v_div_fixup_f32 v9, v9, v28, v31
	v_mul_f32_e32 v8, v8, v9
	v_mul_f32_e32 v9, v27, v27
	v_fmac_f32_e32 v32, 0xb94c1982, v9
	v_fmac_f32_e32 v34, v9, v32
	;; [unrolled: 1-line block ×3, first 2 shown]
	v_mul_f32_e32 v13, v9, v34
	v_fmac_f32_e32 v36, v9, v33
	v_fmac_f32_e32 v27, v27, v13
	;; [unrolled: 1-line block ×3, first 2 shown]
	v_and_b32_e32 v13, 1, v26
	v_fma_f32 v9, v9, v37, 1.0
	v_cmp_eq_u32_e32 vcc, 0, v13
	v_lshlrev_b32_e32 v13, 30, v26
	v_and_b32_e32 v13, 0x80000000, v13
	v_cndmask_b32_e64 v9, -v27, v9, vcc
	v_xor_b32_e32 v9, v13, v9
	v_cndmask_b32_e64 v9, v30, v9, s[2:3]
	s_mov_b32 s2, 0xf800000
	v_mul_f32_e32 v13, 0x4f800000, v11
	v_cmp_gt_f32_e32 vcc, s2, v11
	v_mul_f32_e32 v8, v8, v9
	v_fmac_f32_e32 v8, v29, v2
	v_cndmask_b32_e32 v11, v11, v13, vcc
	v_sqrt_f32_e32 v13, v11
	v_mul_f32_e32 v2, 0x3f4c422a, v8
	v_add_u32_e32 v8, -1, v13
	v_fma_f32 v9, -v8, v13, v11
	v_cmp_ge_f32_e64 s[2:3], 0, v9
	v_add_u32_e32 v9, 1, v13
	s_nop 0
	v_cndmask_b32_e64 v8, v13, v8, s[2:3]
	v_fma_f32 v13, -v9, v13, v11
	v_cmp_lt_f32_e64 s[2:3], 0, v13
	s_nop 1
	v_cndmask_b32_e64 v8, v8, v9, s[2:3]
	v_mul_f32_e32 v9, 0x37800000, v8
	v_cndmask_b32_e32 v8, v8, v9, vcc
	v_mov_b32_e32 v9, 0x260
	v_cmp_class_f32_e32 vcc, v11, v9
	s_nop 1
	v_cndmask_b32_e32 v8, v8, v11, vcc
	v_div_scale_f32 v9, s[2:3], v8, v8, v2
	v_rcp_f32_e32 v11, v9
	s_nop 0
	v_fma_f32 v13, -v9, v11, 1.0
	v_fmac_f32_e32 v11, v13, v11
	v_div_scale_f32 v13, vcc, v2, v8, v2
	v_mul_f32_e32 v26, v13, v11
	v_fma_f32 v27, -v9, v26, v13
	v_fmac_f32_e32 v26, v27, v11
	v_fma_f32 v9, -v9, v26, v13
	v_div_fmas_f32 v9, v9, v11, v26
	v_div_fixup_f32 v13, v9, v8, v2
.LBB13_361:
	s_or_b64 exec, exec, s[10:11]
.LBB13_362:
	s_or_b64 exec, exec, s[8:9]
	v_add_u32_e32 v2, 0xf00, v5
	v_cmp_lt_i32_e32 vcc, v2, v4
                                        ; implicit-def: $vgpr2
	s_and_saveexec_b64 s[8:9], vcc
	s_cbranch_execz .LBB13_376
; %bb.363:
	s_mov_b32 s2, 0x40a00000
	v_cmp_ge_f32_e32 vcc, s2, v7
                                        ; implicit-def: $vgpr2
	s_and_saveexec_b64 s[2:3], vcc
	s_xor_b64 s[4:5], exec, s[2:3]
	s_cbranch_execz .LBB13_373
; %bb.364:
	v_cmp_neq_f32_e32 vcc, 0, v7
	v_mov_b32_e32 v2, 0xff800000
	s_and_saveexec_b64 s[6:7], vcc
	s_cbranch_execz .LBB13_372
; %bb.365:
	v_cmp_ngt_f32_e32 vcc, 0, v7
	v_mov_b32_e32 v2, 0x7fc00000
	s_and_saveexec_b64 s[10:11], vcc
	s_cbranch_execz .LBB13_371
; %bb.366:
	v_mul_f32_e32 v2, v7, v7
	s_mov_b32 s2, 0x3727c5ac
	v_mul_f32_e32 v8, 0, v2
	v_cmp_ngt_f32_e32 vcc, s2, v7
                                        ; implicit-def: $vgpr9
	s_and_saveexec_b64 s[2:3], vcc
	s_xor_b64 s[2:3], exec, s[2:3]
	s_cbranch_execz .LBB13_368
; %bb.367:
	v_add_f32_e32 v9, 0x43f9c815, v8
	v_fmaak_f32 v9, v2, v9, 0x4829b65a
	v_fmaak_f32 v9, v2, v9, 0x4c38c9a1
	v_fmaak_f32 v9, v2, v9, 0x5026ad80
	s_mov_b32 s12, 0xcf8ee29d
	v_mul_f32_e32 v9, v2, v9
	s_mov_b32 s13, 0x53f5f59c
	v_pk_add_f32 v[26:27], v[8:9], s[12:13]
	s_mov_b32 s12, 0x53e3ba8e
	s_mov_b32 s13, 0x578d3514
	v_pk_fma_f32 v[26:27], v[2:3], v[26:27], s[12:13] op_sel_hi:[0,1,1]
	s_mov_b32 s12, 0xd762b0a7
	s_mov_b32 s13, 0x5ae20a0c
	v_pk_fma_f32 v[26:27], v[2:3], v[26:27], s[12:13] op_sel_hi:[0,1,1]
	;; [unrolled: 3-line block ×3, first 2 shown]
	s_mov_b32 s12, 0xc0b90fdc
	s_mov_b32 s13, 0xc1f3c525
	v_pk_add_f32 v[28:29], v[2:3], s[12:13] op_sel_hi:[0,1]
	v_mul_f32_e32 v9, v28, v29
	v_mul_f32_e32 v9, v9, v26
	v_div_scale_f32 v11, s[12:13], v27, v27, v9
	v_rcp_f32_e32 v26, v11
	s_nop 0
	v_fma_f32 v28, -v11, v26, 1.0
	v_fmac_f32_e32 v26, v28, v26
	v_div_scale_f32 v28, vcc, v9, v27, v9
	v_mul_f32_e32 v29, v28, v26
	v_fma_f32 v30, -v11, v29, v28
	v_fmac_f32_e32 v29, v30, v26
	v_fma_f32 v11, -v11, v29, v28
	v_div_fmas_f32 v11, v11, v26, v29
	v_div_fixup_f32 v9, v11, v27, v9
.LBB13_368:
	s_andn2_saveexec_b64 s[2:3], s[2:3]
; %bb.369:
	v_mov_b32_e32 v9, 1.0
	v_fmamk_f32 v9, v2, 0xbe800000, v9
; %bb.370:
	s_or_b64 exec, exec, s[2:3]
	v_add_f32_e32 v11, 0x4673a1bf, v8
	v_fmaak_f32 v11, v2, v11, 0xcb5fc0fa
	v_add_f32_e32 v8, 0x44822913, v8
	v_fmaak_f32 v11, v2, v11, 0x4fa1fbc8
	v_fmaak_f32 v8, v2, v8, 0x4918dbb5
	;; [unrolled: 1-line block ×12, first 2 shown]
	v_div_scale_f32 v11, s[2:3], v8, v8, v2
	v_rcp_f32_e32 v26, v11
	s_mov_b32 s2, 0x800000
	v_cmp_gt_f32_e64 s[2:3], s2, v7
	s_mov_b32 s12, 0x3f317217
	v_fma_f32 v27, -v11, v26, 1.0
	v_fmac_f32_e32 v26, v27, v26
	v_div_scale_f32 v27, vcc, v2, v8, v2
	v_mul_f32_e32 v28, v27, v26
	v_fma_f32 v29, -v11, v28, v27
	v_fmac_f32_e32 v28, v29, v26
	v_fma_f32 v11, -v11, v28, v27
	v_mov_b32_e32 v27, 0x4f800000
	v_cndmask_b32_e64 v27, 1.0, v27, s[2:3]
	v_mul_f32_e32 v7, v7, v27
	v_log_f32_e32 v7, v7
	v_div_fmas_f32 v11, v11, v26, v28
	v_div_fixup_f32 v2, v11, v8, v2
	v_mul_f32_e32 v8, 0x3f317217, v7
	v_fma_f32 v11, v7, s12, -v8
	v_fmamk_f32 v11, v7, 0x3377d1cf, v11
	s_mov_b32 s12, 0x7f800000
	v_add_f32_e32 v8, v8, v11
	v_cmp_lt_f32_e64 vcc, |v7|, s12
	s_nop 1
	v_cndmask_b32_e32 v7, v7, v8, vcc
	v_mov_b32_e32 v8, 0x41b17218
	v_cndmask_b32_e64 v8, 0, v8, s[2:3]
	v_sub_f32_e32 v7, v7, v8
	v_mul_f32_e32 v7, 0x3f22f983, v7
	v_fmac_f32_e32 v2, v7, v9
.LBB13_371:
	s_or_b64 exec, exec, s[10:11]
.LBB13_372:
	s_or_b64 exec, exec, s[6:7]
                                        ; implicit-def: $vgpr7
.LBB13_373:
	s_andn2_saveexec_b64 s[10:11], s[4:5]
	s_cbranch_execz .LBB13_400
; %bb.374:
	v_add_f32_e32 v2, 0xbf490fdb, v7
	v_and_b32_e32 v8, 0x7fffffff, v2
	s_brev_b32 s2, 18
	v_cmp_nlt_f32_e64 s[12:13], |v2|, s2
	v_lshrrev_b32_e32 v28, 23, v8
                                        ; implicit-def: $vgpr9
                                        ; implicit-def: $vgpr11
	s_and_saveexec_b64 s[2:3], s[12:13]
	s_xor_b64 s[14:15], exec, s[2:3]
	s_cbranch_execz .LBB13_393
; %bb.375:
	v_add_u32_e32 v9, 0xffffff88, v28
	v_not_b32_e32 v11, 63
	v_cmp_lt_u32_e32 vcc, 63, v9
	s_mov_b32 s6, 0xfe5163ab
	v_mov_b32_e32 v27, 0
	v_cndmask_b32_e32 v11, 0, v11, vcc
	v_add_u32_e32 v9, v11, v9
	v_not_b32_e32 v11, 31
	v_cmp_lt_u32_e64 s[2:3], 31, v9
	s_nop 1
	v_cndmask_b32_e64 v26, 0, v11, s[2:3]
	v_add_u32_e32 v9, v26, v9
	v_cmp_lt_u32_e64 s[4:5], 31, v9
	s_nop 1
	v_cndmask_b32_e64 v11, 0, v11, s[4:5]
	v_add_u32_e32 v9, v11, v9
	v_and_b32_e32 v11, 0x7fffff, v8
	v_or_b32_e32 v11, 0x800000, v11
	v_mad_u64_u32 v[30:31], s[6:7], v11, s6, 0
	v_mov_b32_e32 v26, v31
	s_mov_b32 s6, 0x3c439041
	v_mad_u64_u32 v[32:33], s[6:7], v11, s6, v[26:27]
	v_mov_b32_e32 v26, v33
	s_mov_b32 s6, 0xdb629599
	;; [unrolled: 3-line block ×6, first 2 shown]
	v_mad_u64_u32 v[26:27], s[6:7], v11, s6, v[26:27]
	v_cndmask_b32_e32 v29, v48, v36, vcc
	v_cndmask_b32_e32 v11, v26, v38, vcc
	v_cndmask_b32_e32 v27, v27, v48, vcc
	v_cndmask_b32_e64 v26, v11, v29, s[2:3]
	v_cndmask_b32_e64 v11, v27, v11, s[2:3]
	v_cndmask_b32_e32 v27, v38, v34, vcc
	v_cndmask_b32_e64 v29, v29, v27, s[2:3]
	v_cndmask_b32_e64 v11, v11, v26, s[4:5]
	;; [unrolled: 1-line block ×3, first 2 shown]
	v_sub_u32_e32 v31, 32, v9
	v_alignbit_b32 v33, v11, v26, v31
	v_cmp_eq_u32_e64 s[6:7], 0, v9
	v_cndmask_b32_e32 v30, v34, v30, vcc
	s_nop 0
	v_cndmask_b32_e64 v9, v33, v11, s[6:7]
	v_cndmask_b32_e32 v11, v36, v32, vcc
	v_cndmask_b32_e64 v27, v27, v11, s[2:3]
	v_cndmask_b32_e64 v29, v29, v27, s[4:5]
	v_alignbit_b32 v32, v26, v29, v31
	v_cndmask_b32_e64 v26, v32, v26, s[6:7]
	v_bfe_u32 v35, v9, 29, 1
	v_cndmask_b32_e64 v11, v11, v30, s[2:3]
	v_alignbit_b32 v32, v9, v26, 30
	v_sub_u32_e32 v36, 0, v35
	v_cndmask_b32_e64 v11, v27, v11, s[4:5]
	v_xor_b32_e32 v37, v32, v36
	v_alignbit_b32 v27, v29, v11, v31
	v_cndmask_b32_e64 v27, v27, v29, s[6:7]
	v_ffbh_u32_e32 v29, v37
	v_add_u32_e32 v29, 1, v29
	v_cmp_ne_u32_e32 vcc, v32, v36
	v_alignbit_b32 v26, v26, v27, 30
	v_alignbit_b32 v11, v27, v11, 30
	v_cndmask_b32_e32 v29, 33, v29, vcc
	v_xor_b32_e32 v26, v26, v36
	v_sub_u32_e32 v30, 32, v29
	v_xor_b32_e32 v11, v11, v36
	v_alignbit_b32 v31, v37, v26, v30
	v_alignbit_b32 v11, v26, v11, v30
	;; [unrolled: 1-line block ×3, first 2 shown]
	v_ffbh_u32_e32 v27, v26
	v_min_u32_e32 v27, 32, v27
	v_lshrrev_b32_e32 v33, 29, v9
	v_sub_u32_e32 v30, 31, v27
	v_alignbit_b32 v11, v26, v11, v30
	v_lshlrev_b32_e32 v26, 31, v33
	v_or_b32_e32 v30, 0x33800000, v26
	v_add_lshl_u32 v27, v27, v29, 23
	v_lshrrev_b32_e32 v11, 9, v11
	v_sub_u32_e32 v27, v30, v27
	v_or_b32_e32 v11, v27, v11
	v_alignbit_b32 v27, v29, v31, 9
	v_or_b32_e32 v26, v27, v26
	v_xor_b32_e32 v26, 1.0, v26
	s_mov_b32 s2, 0x3fc90fda
	v_mul_f32_e32 v27, 0x3fc90fda, v26
	v_fma_f32 v29, v26, s2, -v27
	v_fmamk_f32 v26, v26, 0x33a22168, v29
	v_fmac_f32_e32 v26, 0x3fc90fda, v11
	v_lshrrev_b32_e32 v9, 30, v9
	v_add_f32_e32 v11, v27, v26
	v_add_u32_e32 v9, v35, v9
	s_andn2_saveexec_b64 s[2:3], s[14:15]
	s_branch .LBB13_394
.LBB13_376:
	s_or_b64 exec, exec, s[8:9]
	s_and_saveexec_b64 s[2:3], s[0:1]
	s_xor_b64 s[0:1], exec, s[2:3]
	s_cbranch_execz .LBB13_401
.LBB13_377:
	v_mov_b32_e32 v7, 0
	v_lshl_add_u64 v[6:7], v[6:7], 2, v[0:1]
	v_mov_b32_e32 v5, v10
	flat_store_dword v[6:7], v3
	s_or_b64 exec, exec, s[0:1]
	v_cmp_lt_i32_e32 vcc, v5, v4
	s_and_saveexec_b64 s[0:1], vcc
	s_cbranch_execnz .LBB13_402
.LBB13_378:
	s_or_b64 exec, exec, s[0:1]
	v_cmp_lt_i32_e32 vcc, v5, v4
	s_and_saveexec_b64 s[0:1], vcc
	s_cbranch_execz .LBB13_403
.LBB13_379:
	v_add_u32_e32 v6, s16, v5
	v_mov_b32_e32 v7, 0
	v_lshl_add_u64 v[6:7], v[6:7], 2, v[0:1]
	v_add_u32_e32 v5, 0x100, v5
	flat_store_dword v[6:7], v14
	s_or_b64 exec, exec, s[0:1]
	v_cmp_lt_i32_e32 vcc, v5, v4
	s_and_saveexec_b64 s[0:1], vcc
	s_cbranch_execnz .LBB13_404
.LBB13_380:
	s_or_b64 exec, exec, s[0:1]
	v_cmp_lt_i32_e32 vcc, v5, v4
	s_and_saveexec_b64 s[0:1], vcc
	s_cbranch_execz .LBB13_405
.LBB13_381:
	v_add_u32_e32 v6, s16, v5
	v_mov_b32_e32 v7, 0
	v_lshl_add_u64 v[6:7], v[6:7], 2, v[0:1]
	v_add_u32_e32 v5, 0x100, v5
	flat_store_dword v[6:7], v18
	s_or_b64 exec, exec, s[0:1]
	v_cmp_lt_i32_e32 vcc, v5, v4
	s_and_saveexec_b64 s[0:1], vcc
	s_cbranch_execnz .LBB13_406
.LBB13_382:
	s_or_b64 exec, exec, s[0:1]
	v_cmp_lt_i32_e32 vcc, v5, v4
	s_and_saveexec_b64 s[0:1], vcc
	s_cbranch_execz .LBB13_407
.LBB13_383:
	v_add_u32_e32 v6, s16, v5
	v_mov_b32_e32 v7, 0
	v_lshl_add_u64 v[6:7], v[6:7], 2, v[0:1]
	v_add_u32_e32 v5, 0x100, v5
	flat_store_dword v[6:7], v22
	s_or_b64 exec, exec, s[0:1]
	v_cmp_lt_i32_e32 vcc, v5, v4
	s_and_saveexec_b64 s[0:1], vcc
	s_cbranch_execnz .LBB13_408
.LBB13_384:
	s_or_b64 exec, exec, s[0:1]
	v_cmp_lt_i32_e32 vcc, v5, v4
	s_and_saveexec_b64 s[0:1], vcc
	s_cbranch_execz .LBB13_409
.LBB13_385:
	v_add_u32_e32 v6, s16, v5
	v_mov_b32_e32 v7, 0
	v_lshl_add_u64 v[6:7], v[6:7], 2, v[0:1]
	v_add_u32_e32 v5, 0x100, v5
	flat_store_dword v[6:7], v25
	s_or_b64 exec, exec, s[0:1]
	v_cmp_lt_i32_e32 vcc, v5, v4
	s_and_saveexec_b64 s[0:1], vcc
	s_cbranch_execnz .LBB13_410
.LBB13_386:
	s_or_b64 exec, exec, s[0:1]
	v_cmp_lt_i32_e32 vcc, v5, v4
	s_and_saveexec_b64 s[0:1], vcc
	s_cbranch_execz .LBB13_411
.LBB13_387:
	v_add_u32_e32 v6, s16, v5
	v_mov_b32_e32 v7, 0
	v_lshl_add_u64 v[6:7], v[6:7], 2, v[0:1]
	v_add_u32_e32 v5, 0x100, v5
	flat_store_dword v[6:7], v21
	s_or_b64 exec, exec, s[0:1]
	v_cmp_lt_i32_e32 vcc, v5, v4
	s_and_saveexec_b64 s[0:1], vcc
	s_cbranch_execnz .LBB13_412
.LBB13_388:
	s_or_b64 exec, exec, s[0:1]
	v_cmp_lt_i32_e32 vcc, v5, v4
	s_and_saveexec_b64 s[0:1], vcc
	s_cbranch_execz .LBB13_413
.LBB13_389:
	v_add_u32_e32 v6, s16, v5
	v_mov_b32_e32 v7, 0
	v_lshl_add_u64 v[6:7], v[6:7], 2, v[0:1]
	v_add_u32_e32 v5, 0x100, v5
	flat_store_dword v[6:7], v17
	s_or_b64 exec, exec, s[0:1]
	v_cmp_lt_i32_e32 vcc, v5, v4
	s_and_saveexec_b64 s[0:1], vcc
	s_cbranch_execnz .LBB13_414
.LBB13_390:
	s_or_b64 exec, exec, s[0:1]
	v_cmp_lt_i32_e32 vcc, v5, v4
	s_and_saveexec_b64 s[0:1], vcc
	s_cbranch_execz .LBB13_415
.LBB13_391:
	v_add_u32_e32 v6, s16, v5
	v_mov_b32_e32 v7, 0
	v_lshl_add_u64 v[6:7], v[6:7], 2, v[0:1]
	v_add_u32_e32 v5, 0x100, v5
	flat_store_dword v[6:7], v13
	s_or_b64 exec, exec, s[0:1]
	v_cmp_lt_i32_e32 vcc, v5, v4
	s_and_saveexec_b64 s[0:1], vcc
	s_cbranch_execnz .LBB13_416
.LBB13_392:
	s_or_b64 exec, exec, s[0:1]
	s_waitcnt vmcnt(0) lgkmcnt(0)
	s_setpc_b64 s[30:31]
.LBB13_393:
	s_andn2_saveexec_b64 s[2:3], s[14:15]
.LBB13_394:
	s_mov_b32 s4, 0x3f22f983
	v_mul_f32_e64 v9, |v2|, s4
	v_rndne_f32_e32 v11, v9
	s_mov_b32 s4, 0xbfc90fda
	v_cvt_i32_f32_e32 v9, v11
	v_fma_f32 v26, v11, s4, |v2|
	v_fmamk_f32 v26, v11, 0xb3a22168, v26
	v_fmamk_f32 v11, v11, 0xa7c234c4, v26
; %bb.395:
	s_or_b64 exec, exec, s[2:3]
                                        ; implicit-def: $vgpr26
                                        ; implicit-def: $vgpr27
	s_and_saveexec_b64 s[2:3], s[12:13]
	s_xor_b64 s[12:13], exec, s[2:3]
	s_cbranch_execz .LBB13_397
; %bb.396:
	v_add_u32_e32 v26, 0xffffff88, v28
	v_not_b32_e32 v28, 63
	v_cmp_lt_u32_e32 vcc, 63, v26
	s_mov_b32 s6, 0xfe5163ab
	v_mov_b32_e32 v27, 0
	v_cndmask_b32_e32 v28, 0, v28, vcc
	v_add_u32_e32 v26, v28, v26
	v_not_b32_e32 v28, 31
	v_cmp_lt_u32_e64 s[2:3], 31, v26
	s_nop 1
	v_cndmask_b32_e64 v29, 0, v28, s[2:3]
	v_add_u32_e32 v26, v29, v26
	v_cmp_lt_u32_e64 s[4:5], 31, v26
	s_nop 1
	v_cndmask_b32_e64 v28, 0, v28, s[4:5]
	v_add_u32_e32 v48, v28, v26
	v_and_b32_e32 v26, 0x7fffff, v8
	v_or_b32_e32 v49, 0x800000, v26
	v_mad_u64_u32 v[28:29], s[6:7], v49, s6, 0
	v_mov_b32_e32 v26, v29
	s_mov_b32 s6, 0x3c439041
	v_mad_u64_u32 v[30:31], s[6:7], v49, s6, v[26:27]
	v_mov_b32_e32 v26, v31
	s_mov_b32 s6, 0xdb629599
	;; [unrolled: 3-line block ×6, first 2 shown]
	v_mad_u64_u32 v[26:27], s[6:7], v49, s6, v[26:27]
	v_cndmask_b32_e32 v29, v38, v34, vcc
	v_cndmask_b32_e32 v26, v26, v36, vcc
	v_cndmask_b32_e32 v27, v27, v38, vcc
	v_cndmask_b32_e64 v31, v26, v29, s[2:3]
	v_cndmask_b32_e64 v26, v27, v26, s[2:3]
	v_cndmask_b32_e32 v27, v36, v32, vcc
	v_cndmask_b32_e64 v29, v29, v27, s[2:3]
	v_cndmask_b32_e32 v30, v34, v30, vcc
	v_cndmask_b32_e64 v26, v26, v31, s[4:5]
	v_cndmask_b32_e64 v31, v31, v29, s[4:5]
	v_sub_u32_e32 v33, 32, v48
	v_cndmask_b32_e64 v27, v27, v30, s[2:3]
	v_alignbit_b32 v35, v26, v31, v33
	v_cmp_eq_u32_e64 s[6:7], 0, v48
	v_cndmask_b32_e64 v29, v29, v27, s[4:5]
	v_alignbit_b32 v34, v31, v29, v33
	v_cndmask_b32_e64 v26, v35, v26, s[6:7]
	v_cndmask_b32_e64 v31, v34, v31, s[6:7]
	v_bfe_u32 v36, v26, 29, 1
	v_cndmask_b32_e32 v28, v32, v28, vcc
	v_alignbit_b32 v34, v26, v31, 30
	v_sub_u32_e32 v37, 0, v36
	v_cndmask_b32_e64 v28, v30, v28, s[2:3]
	v_xor_b32_e32 v38, v34, v37
	v_cndmask_b32_e64 v27, v27, v28, s[4:5]
	v_alignbit_b32 v28, v29, v27, v33
	v_ffbh_u32_e32 v30, v38
	v_cndmask_b32_e64 v28, v28, v29, s[6:7]
	v_add_u32_e32 v30, 1, v30
	v_cmp_ne_u32_e32 vcc, v34, v37
	v_alignbit_b32 v29, v31, v28, 30
	v_alignbit_b32 v27, v28, v27, 30
	v_cndmask_b32_e32 v30, 33, v30, vcc
	v_xor_b32_e32 v29, v29, v37
	v_sub_u32_e32 v31, 32, v30
	v_xor_b32_e32 v27, v27, v37
	v_alignbit_b32 v32, v38, v29, v31
	v_alignbit_b32 v27, v29, v27, v31
	;; [unrolled: 1-line block ×3, first 2 shown]
	v_ffbh_u32_e32 v29, v28
	v_min_u32_e32 v29, 32, v29
	v_lshrrev_b32_e32 v35, 29, v26
	v_sub_u32_e32 v31, 31, v29
	v_alignbit_b32 v27, v28, v27, v31
	v_lshlrev_b32_e32 v28, 31, v35
	v_or_b32_e32 v31, 0x33800000, v28
	v_add_lshl_u32 v29, v29, v30, 23
	v_lshrrev_b32_e32 v27, 9, v27
	v_sub_u32_e32 v29, v31, v29
	v_or_b32_e32 v27, v29, v27
	v_alignbit_b32 v29, v30, v32, 9
	v_or_b32_e32 v28, v29, v28
	v_xor_b32_e32 v28, 1.0, v28
	s_mov_b32 s2, 0x3fc90fda
	v_mul_f32_e32 v29, 0x3fc90fda, v28
	v_fma_f32 v30, v28, s2, -v29
	v_fmamk_f32 v28, v28, 0x33a22168, v30
	v_fmac_f32_e32 v28, 0x3fc90fda, v27
	v_lshrrev_b32_e32 v26, 30, v26
	v_add_f32_e32 v27, v29, v28
	v_add_u32_e32 v26, v36, v26
	s_andn2_saveexec_b64 s[2:3], s[12:13]
	s_cbranch_execnz .LBB13_398
	s_branch .LBB13_399
.LBB13_397:
	s_andn2_saveexec_b64 s[2:3], s[12:13]
.LBB13_398:
	s_mov_b32 s4, 0x3f22f983
	v_mul_f32_e64 v26, |v2|, s4
	v_rndne_f32_e32 v27, v26
	s_mov_b32 s4, 0xbfc90fda
	v_cvt_i32_f32_e32 v26, v27
	v_fma_f32 v28, v27, s4, |v2|
	v_fmamk_f32 v28, v27, 0xb3a22168, v28
	v_fmamk_f32 v27, v27, 0xa7c234c4, v28
.LBB13_399:
	s_or_b64 exec, exec, s[2:3]
	v_mul_f32_e32 v28, v7, v7
	s_mov_b32 s4, 0x41c80000
	v_div_scale_f32 v29, s[2:3], v28, v28, s4
	v_rcp_f32_e32 v30, v29
	v_xor_b32_e32 v8, v8, v2
	s_mov_b32 s6, 0x40a00000
	v_mov_b32_e32 v37, 0xbf000004
	v_fma_f32 v31, -v29, v30, 1.0
	v_fmac_f32_e32 v30, v31, v30
	v_div_scale_f32 v31, vcc, s4, v28, s4
	v_mul_f32_e32 v32, v31, v30
	v_fma_f32 v33, -v29, v32, v31
	v_fmac_f32_e32 v32, v33, v30
	v_fma_f32 v29, -v29, v32, v31
	v_div_fmas_f32 v29, v29, v30, v32
	v_div_fixup_f32 v28, v29, v28, s4
	v_mov_b32_e32 v29, 0x3a50e985
	v_mov_b32_e32 v30, 0x3a725406
	v_fmac_f32_e32 v29, 0, v28
	v_fmac_f32_e32 v30, 0, v28
	v_fmaak_f32 v29, v28, v29, 0x3da9a586
	v_fmaak_f32 v30, v28, v30, 0x3daf5e2d
	;; [unrolled: 1-line block ×8, first 2 shown]
	v_mov_b32_e32 v31, 0xbc3a3a12
	v_fmaak_f32 v29, v28, v29, 0x40a9b425
	v_fmaak_f32 v30, v28, v30, 0x40a9cb2f
	v_fmac_f32_e32 v31, 0, v28
	v_mov_b32_e32 v32, 0x4280a2ba
	v_fma_f32 v30, v28, v30, 1.0
	v_fmaak_f32 v31, v28, v31, 0xbfa429da
	v_fmac_f32_e32 v32, 0, v28
	v_fma_f32 v29, v28, v29, 1.0
	v_fmaak_f32 v31, v28, v31, 0xc19c6e80
	v_fmaak_f32 v32, v28, v32, 0x44561b86
	v_div_scale_f32 v33, s[2:3], v30, v30, v29
	v_fmaak_f32 v31, v28, v31, 0xc2ba697b
	v_fmaak_f32 v32, v28, v32, 0x4572a66e
	v_rcp_f32_e32 v34, v33
	v_fmaak_f32 v31, v28, v31, 0xc331ae61
	v_fmaak_f32 v32, v28, v32, 0x45e243be
	;; [unrolled: 1-line block ×8, first 2 shown]
	v_fma_f32 v32, -v33, v34, 1.0
	v_fmac_f32_e32 v34, v32, v34
	v_div_scale_f32 v32, vcc, v29, v30, v29
	v_mul_f32_e32 v35, v32, v34
	v_fma_f32 v36, -v33, v35, v32
	v_fmac_f32_e32 v35, v36, v34
	v_fma_f32 v32, -v33, v35, v32
	v_div_fmas_f32 v32, v32, v34, v35
	v_div_fixup_f32 v29, v32, v30, v29
	v_mul_f32_e32 v30, v11, v11
	v_mov_b32_e32 v32, 0x3c0881c4
	v_fmamk_f32 v33, v30, 0xb94c1982, v32
	v_fmaak_f32 v33, v30, v33, 0xbe2aaa9d
	v_mul_f32_e32 v33, v30, v33
	v_fmac_f32_e32 v11, v11, v33
	v_mov_b32_e32 v33, 0xbab64f3b
	v_fmamk_f32 v35, v30, 0x37d75334, v33
	v_fmaak_f32 v35, v30, v35, 0x3d2aabf7
	v_fmaak_f32 v35, v30, v35, 0xbf000004
	v_fma_f32 v30, v30, v35, 1.0
	v_and_b32_e32 v35, 1, v9
	v_lshlrev_b32_e32 v9, 30, v9
	v_cmp_eq_u32_e32 vcc, 0, v35
	v_and_b32_e32 v9, 0x80000000, v9
	v_xor_b32_e32 v8, v8, v9
	v_cndmask_b32_e32 v11, v30, v11, vcc
	v_div_scale_f32 v9, s[2:3], v7, v7, s6
	v_xor_b32_e32 v8, v8, v11
	v_rcp_f32_e32 v11, v9
	s_movk_i32 s4, 0x1f8
	v_mov_b32_e32 v30, 0x7fc00000
	v_cmp_class_f32_e64 s[2:3], v2, s4
	v_mov_b32_e32 v34, 0xbe2aaa9d
	v_mov_b32_e32 v36, 0x3d2aabf7
	v_cndmask_b32_e64 v2, v30, v8, s[2:3]
	v_fma_f32 v8, -v9, v11, 1.0
	v_fmac_f32_e32 v11, v8, v11
	v_div_scale_f32 v8, vcc, s6, v7, s6
	v_mul_f32_e32 v35, v8, v11
	v_fma_f32 v38, -v9, v35, v8
	v_fmac_f32_e32 v35, v38, v11
	v_fma_f32 v8, -v9, v35, v8
	v_div_scale_f32 v9, s[4:5], v28, v28, v31
	v_rcp_f32_e32 v38, v9
	v_div_fmas_f32 v8, v8, v11, v35
	v_div_fixup_f32 v8, v8, v7, s6
	v_fma_f32 v11, -v9, v38, 1.0
	v_fmac_f32_e32 v38, v11, v38
	v_div_scale_f32 v11, vcc, v31, v28, v31
	v_mul_f32_e32 v35, v11, v38
	v_fma_f32 v39, -v9, v35, v11
	v_fmac_f32_e32 v35, v39, v38
	v_fma_f32 v9, -v9, v35, v11
	v_div_fmas_f32 v9, v9, v38, v35
	v_div_fixup_f32 v9, v9, v28, v31
	v_mul_f32_e32 v8, v8, v9
	v_mul_f32_e32 v9, v27, v27
	v_fmac_f32_e32 v32, 0xb94c1982, v9
	v_fmac_f32_e32 v34, v9, v32
	;; [unrolled: 1-line block ×3, first 2 shown]
	v_mul_f32_e32 v11, v9, v34
	v_fmac_f32_e32 v36, v9, v33
	v_fmac_f32_e32 v27, v27, v11
	;; [unrolled: 1-line block ×3, first 2 shown]
	v_and_b32_e32 v11, 1, v26
	v_fma_f32 v9, v9, v37, 1.0
	v_cmp_eq_u32_e32 vcc, 0, v11
	v_lshlrev_b32_e32 v11, 30, v26
	v_and_b32_e32 v11, 0x80000000, v11
	v_cndmask_b32_e64 v9, -v27, v9, vcc
	v_xor_b32_e32 v9, v11, v9
	v_cndmask_b32_e64 v9, v30, v9, s[2:3]
	s_mov_b32 s2, 0xf800000
	v_mul_f32_e32 v11, 0x4f800000, v7
	v_cmp_gt_f32_e32 vcc, s2, v7
	v_mul_f32_e32 v8, v8, v9
	v_fmac_f32_e32 v8, v29, v2
	v_cndmask_b32_e32 v7, v7, v11, vcc
	v_sqrt_f32_e32 v11, v7
	v_mul_f32_e32 v2, 0x3f4c422a, v8
	v_add_u32_e32 v8, -1, v11
	v_fma_f32 v9, -v8, v11, v7
	v_cmp_ge_f32_e64 s[2:3], 0, v9
	v_add_u32_e32 v9, 1, v11
	s_nop 0
	v_cndmask_b32_e64 v8, v11, v8, s[2:3]
	v_fma_f32 v11, -v9, v11, v7
	v_cmp_lt_f32_e64 s[2:3], 0, v11
	s_nop 1
	v_cndmask_b32_e64 v8, v8, v9, s[2:3]
	v_mul_f32_e32 v9, 0x37800000, v8
	v_cndmask_b32_e32 v8, v8, v9, vcc
	v_mov_b32_e32 v9, 0x260
	v_cmp_class_f32_e32 vcc, v7, v9
	s_nop 1
	v_cndmask_b32_e32 v7, v8, v7, vcc
	v_div_scale_f32 v8, s[2:3], v7, v7, v2
	v_rcp_f32_e32 v9, v8
	s_nop 0
	v_fma_f32 v11, -v8, v9, 1.0
	v_fmac_f32_e32 v9, v11, v9
	v_div_scale_f32 v11, vcc, v2, v7, v2
	v_mul_f32_e32 v26, v11, v9
	v_fma_f32 v27, -v8, v26, v11
	v_fmac_f32_e32 v26, v27, v9
	v_fma_f32 v8, -v8, v26, v11
	v_div_fmas_f32 v8, v8, v9, v26
	v_div_fixup_f32 v2, v8, v7, v2
.LBB13_400:
	s_or_b64 exec, exec, s[10:11]
	s_or_b64 exec, exec, s[8:9]
	s_and_saveexec_b64 s[2:3], s[0:1]
	s_xor_b64 s[0:1], exec, s[2:3]
	s_cbranch_execnz .LBB13_377
.LBB13_401:
	s_or_b64 exec, exec, s[0:1]
	v_cmp_lt_i32_e32 vcc, v5, v4
	s_and_saveexec_b64 s[0:1], vcc
	s_cbranch_execz .LBB13_378
.LBB13_402:
	v_add_u32_e32 v6, s16, v5
	v_mov_b32_e32 v7, 0
	v_lshl_add_u64 v[6:7], v[6:7], 2, v[0:1]
	v_add_u32_e32 v5, 0x100, v5
	flat_store_dword v[6:7], v12
	s_or_b64 exec, exec, s[0:1]
	v_cmp_lt_i32_e32 vcc, v5, v4
	s_and_saveexec_b64 s[0:1], vcc
	s_cbranch_execnz .LBB13_379
.LBB13_403:
	s_or_b64 exec, exec, s[0:1]
	v_cmp_lt_i32_e32 vcc, v5, v4
	s_and_saveexec_b64 s[0:1], vcc
	s_cbranch_execz .LBB13_380
.LBB13_404:
	v_add_u32_e32 v6, s16, v5
	v_mov_b32_e32 v7, 0
	v_lshl_add_u64 v[6:7], v[6:7], 2, v[0:1]
	v_add_u32_e32 v5, 0x100, v5
	flat_store_dword v[6:7], v16
	s_or_b64 exec, exec, s[0:1]
	v_cmp_lt_i32_e32 vcc, v5, v4
	s_and_saveexec_b64 s[0:1], vcc
	s_cbranch_execnz .LBB13_381
.LBB13_405:
	s_or_b64 exec, exec, s[0:1]
	v_cmp_lt_i32_e32 vcc, v5, v4
	s_and_saveexec_b64 s[0:1], vcc
	s_cbranch_execz .LBB13_382
.LBB13_406:
	v_add_u32_e32 v6, s16, v5
	v_mov_b32_e32 v7, 0
	v_lshl_add_u64 v[6:7], v[6:7], 2, v[0:1]
	v_add_u32_e32 v5, 0x100, v5
	flat_store_dword v[6:7], v20
	s_or_b64 exec, exec, s[0:1]
	v_cmp_lt_i32_e32 vcc, v5, v4
	s_and_saveexec_b64 s[0:1], vcc
	s_cbranch_execnz .LBB13_383
.LBB13_407:
	s_or_b64 exec, exec, s[0:1]
	v_cmp_lt_i32_e32 vcc, v5, v4
	s_and_saveexec_b64 s[0:1], vcc
	s_cbranch_execz .LBB13_384
.LBB13_408:
	v_add_u32_e32 v6, s16, v5
	v_mov_b32_e32 v7, 0
	v_lshl_add_u64 v[6:7], v[6:7], 2, v[0:1]
	v_add_u32_e32 v5, 0x100, v5
	flat_store_dword v[6:7], v24
	s_or_b64 exec, exec, s[0:1]
	v_cmp_lt_i32_e32 vcc, v5, v4
	s_and_saveexec_b64 s[0:1], vcc
	s_cbranch_execnz .LBB13_385
.LBB13_409:
	s_or_b64 exec, exec, s[0:1]
	v_cmp_lt_i32_e32 vcc, v5, v4
	s_and_saveexec_b64 s[0:1], vcc
	s_cbranch_execz .LBB13_386
.LBB13_410:
	v_add_u32_e32 v6, s16, v5
	v_mov_b32_e32 v7, 0
	v_lshl_add_u64 v[6:7], v[6:7], 2, v[0:1]
	v_add_u32_e32 v5, 0x100, v5
	flat_store_dword v[6:7], v23
	s_or_b64 exec, exec, s[0:1]
	v_cmp_lt_i32_e32 vcc, v5, v4
	s_and_saveexec_b64 s[0:1], vcc
	s_cbranch_execnz .LBB13_387
.LBB13_411:
	s_or_b64 exec, exec, s[0:1]
	v_cmp_lt_i32_e32 vcc, v5, v4
	s_and_saveexec_b64 s[0:1], vcc
	s_cbranch_execz .LBB13_388
.LBB13_412:
	v_add_u32_e32 v6, s16, v5
	v_mov_b32_e32 v7, 0
	v_lshl_add_u64 v[6:7], v[6:7], 2, v[0:1]
	v_add_u32_e32 v5, 0x100, v5
	flat_store_dword v[6:7], v19
	s_or_b64 exec, exec, s[0:1]
	v_cmp_lt_i32_e32 vcc, v5, v4
	s_and_saveexec_b64 s[0:1], vcc
	s_cbranch_execnz .LBB13_389
.LBB13_413:
	s_or_b64 exec, exec, s[0:1]
	v_cmp_lt_i32_e32 vcc, v5, v4
	s_and_saveexec_b64 s[0:1], vcc
	s_cbranch_execz .LBB13_390
.LBB13_414:
	v_add_u32_e32 v6, s16, v5
	v_mov_b32_e32 v7, 0
	v_lshl_add_u64 v[6:7], v[6:7], 2, v[0:1]
	v_add_u32_e32 v5, 0x100, v5
	flat_store_dword v[6:7], v15
	s_or_b64 exec, exec, s[0:1]
	v_cmp_lt_i32_e32 vcc, v5, v4
	s_and_saveexec_b64 s[0:1], vcc
	s_cbranch_execnz .LBB13_391
.LBB13_415:
	s_or_b64 exec, exec, s[0:1]
	v_cmp_lt_i32_e32 vcc, v5, v4
	s_and_saveexec_b64 s[0:1], vcc
	s_cbranch_execz .LBB13_392
.LBB13_416:
	v_add_u32_e32 v4, s16, v5
	v_mov_b32_e32 v5, 0
	v_lshl_add_u64 v[0:1], v[4:5], 2, v[0:1]
	flat_store_dword v[0:1], v2
	s_or_b64 exec, exec, s[0:1]
	s_waitcnt vmcnt(0) lgkmcnt(0)
	s_setpc_b64 s[30:31]
.Lfunc_end13:
	.size	_ZN2at6native25elementwise_kernel_helperILb0EZZZNS0_12_GLOBAL__N_121bessel_y0_kernel_cudaERNS_18TensorIteratorBaseEENKUlvE_clEvENKUlvE0_clEvEUlfE_NS0_6memory8policies11unroll_baseILi256ESt5arrayIPcLm2EE23TrivialOffsetCalculatorILi1EjESF_NS8_15LoadWithoutCastENS8_16StoreWithoutCastELi16ELi1EEEEEvT0_T1_, .Lfunc_end13-_ZN2at6native25elementwise_kernel_helperILb0EZZZNS0_12_GLOBAL__N_121bessel_y0_kernel_cudaERNS_18TensorIteratorBaseEENKUlvE_clEvENKUlvE0_clEvEUlfE_NS0_6memory8policies11unroll_baseILi256ESt5arrayIPcLm2EE23TrivialOffsetCalculatorILi1EjESF_NS8_15LoadWithoutCastENS8_16StoreWithoutCastELi16ELi1EEEEEvT0_T1_
                                        ; -- End function
	.section	.AMDGPU.csdata,"",@progbits
; Function info:
; codeLenInByte = 52532
; NumSgprs: 38
; NumVgprs: 50
; NumAgprs: 0
; TotalNumVgprs: 50
; ScratchSize: 0
; MemoryBound: 0
	.text
	.p2align	2                               ; -- Begin function _ZN2at6native25elementwise_kernel_helperILb0EZZZNS0_12_GLOBAL__N_121bessel_y0_kernel_cudaERNS_18TensorIteratorBaseEENKUlvE_clEvENKUlvE0_clEvEUlfE_NS0_6memory8policies10vectorizedILi4ESt5arrayIPcLm2EELi16EEEEEvT0_T1_
	.type	_ZN2at6native25elementwise_kernel_helperILb0EZZZNS0_12_GLOBAL__N_121bessel_y0_kernel_cudaERNS_18TensorIteratorBaseEENKUlvE_clEvENKUlvE0_clEvEUlfE_NS0_6memory8policies10vectorizedILi4ESt5arrayIPcLm2EELi16EEEEEvT0_T1_,@function
_ZN2at6native25elementwise_kernel_helperILb0EZZZNS0_12_GLOBAL__N_121bessel_y0_kernel_cudaERNS_18TensorIteratorBaseEENKUlvE_clEvENKUlvE0_clEvEUlfE_NS0_6memory8policies10vectorizedILi4ESt5arrayIPcLm2EELi16EEEEEvT0_T1_: ; @_ZN2at6native25elementwise_kernel_helperILb0EZZZNS0_12_GLOBAL__N_121bessel_y0_kernel_cudaERNS_18TensorIteratorBaseEENKUlvE_clEvENKUlvE0_clEvEUlfE_NS0_6memory8policies10vectorizedILi4ESt5arrayIPcLm2EELi16EEEEEvT0_T1_
; %bb.0:
	s_waitcnt vmcnt(0) expcnt(0) lgkmcnt(0)
	s_lshl_b32 s6, s12, 12
	s_ashr_i32 s7, s6, 31
	v_and_b32_e32 v4, 0x3ff, v31
	v_lshl_add_u64 v[2:3], s[6:7], 2, v[2:3]
	v_mov_b32_e32 v23, 0
	v_lshlrev_b32_e32 v22, 4, v4
	v_lshl_add_u64 v[2:3], v[2:3], 0, v[22:23]
	s_movk_i32 s0, 0x1000
	v_add_co_u32_e32 v4, vcc, s0, v2
	s_mov_b32 s0, 0x40a00000
	s_nop 0
	v_addc_co_u32_e32 v5, vcc, 0, v3, vcc
	v_add_co_u32_e32 v6, vcc, 0x2000, v2
	flat_load_dwordx4 v[14:17], v[2:3] nt
	flat_load_dwordx4 v[18:21], v[4:5] nt
	v_addc_co_u32_e32 v7, vcc, 0, v3, vcc
	v_add_co_u32_e32 v8, vcc, 0x3000, v2
	s_nop 1
	v_addc_co_u32_e32 v9, vcc, 0, v3, vcc
	flat_load_dwordx4 v[10:13], v[6:7] nt
	flat_load_dwordx4 v[2:5], v[8:9] nt
                                        ; implicit-def: $vgpr6
	s_waitcnt vmcnt(0) lgkmcnt(0)
	v_cmp_ge_f32_e32 vcc, s0, v14
	s_and_saveexec_b64 s[0:1], vcc
	s_xor_b64 s[2:3], exec, s[0:1]
	s_cbranch_execz .LBB14_10
; %bb.1:
	v_cmp_neq_f32_e32 vcc, 0, v14
	v_mov_b32_e32 v6, 0xff800000
	s_and_saveexec_b64 s[4:5], vcc
	s_cbranch_execz .LBB14_9
; %bb.2:
	v_cmp_ngt_f32_e32 vcc, 0, v14
	v_mov_b32_e32 v6, 0x7fc00000
	s_and_saveexec_b64 s[8:9], vcc
	s_cbranch_execz .LBB14_8
; %bb.3:
	v_mul_f32_e32 v6, v14, v14
	s_mov_b32 s0, 0x3727c5ac
	v_mul_f32_e32 v8, 0, v6
	v_cmp_ngt_f32_e32 vcc, s0, v14
                                        ; implicit-def: $vgpr7
	s_and_saveexec_b64 s[0:1], vcc
	s_xor_b64 s[0:1], exec, s[0:1]
	s_cbranch_execz .LBB14_5
; %bb.4:
	v_add_f32_e32 v7, 0x43f9c815, v8
	v_fmaak_f32 v7, v6, v7, 0x4829b65a
	v_fmaak_f32 v7, v6, v7, 0x4c38c9a1
	v_fmaak_f32 v7, v6, v7, 0x5026ad80
	s_mov_b32 s10, 0xcf8ee29d
	v_mul_f32_e32 v9, v6, v7
	s_mov_b32 s11, 0x53f5f59c
	v_pk_add_f32 v[24:25], v[8:9], s[10:11]
	s_mov_b32 s10, 0x53e3ba8e
	s_mov_b32 s11, 0x578d3514
	v_pk_fma_f32 v[24:25], v[6:7], v[24:25], s[10:11] op_sel_hi:[0,1,1]
	s_mov_b32 s10, 0xd762b0a7
	s_mov_b32 s11, 0x5ae20a0c
	v_pk_fma_f32 v[24:25], v[6:7], v[24:25], s[10:11] op_sel_hi:[0,1,1]
	;; [unrolled: 3-line block ×3, first 2 shown]
	s_mov_b32 s10, 0xc0b90fdc
	s_mov_b32 s11, 0xc1f3c525
	v_pk_add_f32 v[26:27], v[6:7], s[10:11] op_sel_hi:[0,1]
	v_mul_f32_e32 v7, v26, v27
	v_mul_f32_e32 v7, v7, v24
	v_div_scale_f32 v9, s[10:11], v25, v25, v7
	v_rcp_f32_e32 v23, v9
	s_nop 0
	v_fma_f32 v24, -v9, v23, 1.0
	v_fmac_f32_e32 v23, v24, v23
	v_div_scale_f32 v24, vcc, v7, v25, v7
	v_mul_f32_e32 v26, v24, v23
	v_fma_f32 v27, -v9, v26, v24
	v_fmac_f32_e32 v26, v27, v23
	v_fma_f32 v9, -v9, v26, v24
	v_div_fmas_f32 v9, v9, v23, v26
	v_div_fixup_f32 v7, v9, v25, v7
.LBB14_5:
	s_andn2_saveexec_b64 s[0:1], s[0:1]
; %bb.6:
	v_mov_b32_e32 v7, 1.0
	v_fmamk_f32 v7, v6, 0xbe800000, v7
; %bb.7:
	s_or_b64 exec, exec, s[0:1]
	v_add_f32_e32 v9, 0x4673a1bf, v8
	v_fmaak_f32 v9, v6, v9, 0xcb5fc0fa
	v_add_f32_e32 v8, 0x44822913, v8
	v_fmaak_f32 v9, v6, v9, 0x4fa1fbc8
	v_fmaak_f32 v8, v6, v8, 0x4918dbb5
	;; [unrolled: 1-line block ×12, first 2 shown]
	v_div_scale_f32 v9, s[0:1], v8, v8, v6
	v_rcp_f32_e32 v23, v9
	s_mov_b32 s0, 0x800000
	v_cmp_gt_f32_e64 s[0:1], s0, v14
	s_mov_b32 s10, 0x3f317217
	v_fma_f32 v24, -v9, v23, 1.0
	v_fmac_f32_e32 v23, v24, v23
	v_div_scale_f32 v24, vcc, v6, v8, v6
	v_mul_f32_e32 v25, v24, v23
	v_fma_f32 v26, -v9, v25, v24
	v_fmac_f32_e32 v25, v26, v23
	v_fma_f32 v9, -v9, v25, v24
	v_mov_b32_e32 v24, 0x4f800000
	v_cndmask_b32_e64 v24, 1.0, v24, s[0:1]
	v_mul_f32_e32 v24, v14, v24
	v_log_f32_e32 v24, v24
	v_div_fmas_f32 v9, v9, v23, v25
	v_div_fixup_f32 v6, v9, v8, v6
	v_mul_f32_e32 v8, 0x3f317217, v24
	v_fma_f32 v9, v24, s10, -v8
	v_fmamk_f32 v9, v24, 0x3377d1cf, v9
	s_mov_b32 s10, 0x7f800000
	v_add_f32_e32 v8, v8, v9
	v_cmp_lt_f32_e64 vcc, |v24|, s10
	v_mov_b32_e32 v9, 0x41b17218
	v_cndmask_b32_e64 v9, 0, v9, s[0:1]
	v_cndmask_b32_e32 v8, v24, v8, vcc
	v_sub_f32_e32 v8, v8, v9
	v_mul_f32_e32 v8, 0x3f22f983, v8
	v_fmac_f32_e32 v6, v8, v7
.LBB14_8:
	s_or_b64 exec, exec, s[8:9]
.LBB14_9:
	s_or_b64 exec, exec, s[4:5]
.LBB14_10:
	s_andn2_saveexec_b64 s[8:9], s[2:3]
	s_cbranch_execz .LBB14_20
; %bb.11:
	v_add_f32_e32 v6, 0xbf490fdb, v14
	v_and_b32_e32 v7, 0x7fffffff, v6
	s_brev_b32 s0, 18
	v_cmp_nlt_f32_e64 s[10:11], |v6|, s0
	v_lshrrev_b32_e32 v25, 23, v7
                                        ; implicit-def: $vgpr8
                                        ; implicit-def: $vgpr9
	s_and_saveexec_b64 s[0:1], s[10:11]
	s_xor_b64 s[12:13], exec, s[0:1]
	s_cbranch_execz .LBB14_13
; %bb.12:
	v_add_u32_e32 v8, 0xffffff88, v25
	v_not_b32_e32 v23, 63
	v_cmp_lt_u32_e32 vcc, 63, v8
	s_mov_b32 s4, 0xfe5163ab
	v_mov_b32_e32 v9, 0
	v_cndmask_b32_e32 v23, 0, v23, vcc
	v_add_u32_e32 v8, v23, v8
	v_not_b32_e32 v23, 31
	v_cmp_lt_u32_e64 s[0:1], 31, v8
	s_nop 1
	v_cndmask_b32_e64 v24, 0, v23, s[0:1]
	v_add_u32_e32 v8, v24, v8
	v_cmp_lt_u32_e64 s[2:3], 31, v8
	s_nop 1
	v_cndmask_b32_e64 v23, 0, v23, s[2:3]
	v_add_u32_e32 v23, v23, v8
	v_and_b32_e32 v8, 0x7fffff, v7
	v_or_b32_e32 v24, 0x800000, v8
	v_mad_u64_u32 v[26:27], s[4:5], v24, s4, 0
	v_mov_b32_e32 v8, v27
	s_mov_b32 s4, 0x3c439041
	v_mad_u64_u32 v[28:29], s[4:5], v24, s4, v[8:9]
	v_mov_b32_e32 v8, v29
	s_mov_b32 s4, 0xdb629599
	;; [unrolled: 3-line block ×6, first 2 shown]
	v_mad_u64_u32 v[8:9], s[4:5], v24, s4, v[8:9]
	v_cndmask_b32_e32 v27, v36, v32, vcc
	v_cndmask_b32_e32 v8, v8, v34, vcc
	;; [unrolled: 1-line block ×3, first 2 shown]
	v_cndmask_b32_e64 v24, v8, v27, s[0:1]
	v_cndmask_b32_e64 v8, v9, v8, s[0:1]
	v_cndmask_b32_e32 v9, v34, v30, vcc
	v_cndmask_b32_e64 v27, v27, v9, s[0:1]
	v_sub_u32_e32 v29, 32, v23
	v_cmp_eq_u32_e64 s[4:5], 0, v23
	v_cndmask_b32_e32 v23, v32, v28, vcc
	v_cndmask_b32_e64 v8, v8, v24, s[2:3]
	v_cndmask_b32_e64 v24, v24, v27, s[2:3]
	;; [unrolled: 1-line block ×3, first 2 shown]
	v_alignbit_b32 v31, v8, v24, v29
	v_cndmask_b32_e64 v27, v27, v9, s[2:3]
	v_cndmask_b32_e64 v8, v31, v8, s[4:5]
	v_alignbit_b32 v28, v24, v27, v29
	v_cndmask_b32_e64 v24, v28, v24, s[4:5]
	v_bfe_u32 v32, v8, 29, 1
	v_cndmask_b32_e32 v26, v30, v26, vcc
	v_alignbit_b32 v28, v8, v24, 30
	v_sub_u32_e32 v33, 0, v32
	v_cndmask_b32_e64 v23, v23, v26, s[0:1]
	v_xor_b32_e32 v34, v28, v33
	v_cndmask_b32_e64 v9, v9, v23, s[2:3]
	v_alignbit_b32 v23, v27, v9, v29
	v_ffbh_u32_e32 v26, v34
	v_cndmask_b32_e64 v23, v23, v27, s[4:5]
	v_add_u32_e32 v26, 1, v26
	v_cmp_ne_u32_e32 vcc, v28, v33
	v_alignbit_b32 v24, v24, v23, 30
	v_alignbit_b32 v9, v23, v9, 30
	v_cndmask_b32_e32 v26, 33, v26, vcc
	v_xor_b32_e32 v24, v24, v33
	v_sub_u32_e32 v27, 32, v26
	v_xor_b32_e32 v9, v9, v33
	v_alignbit_b32 v28, v34, v24, v27
	v_alignbit_b32 v9, v24, v9, v27
	;; [unrolled: 1-line block ×3, first 2 shown]
	v_ffbh_u32_e32 v24, v23
	v_min_u32_e32 v24, 32, v24
	v_lshrrev_b32_e32 v31, 29, v8
	v_sub_u32_e32 v27, 31, v24
	v_alignbit_b32 v9, v23, v9, v27
	v_lshlrev_b32_e32 v23, 31, v31
	v_or_b32_e32 v27, 0x33800000, v23
	v_add_lshl_u32 v24, v24, v26, 23
	v_lshrrev_b32_e32 v9, 9, v9
	v_sub_u32_e32 v24, v27, v24
	v_or_b32_e32 v9, v24, v9
	v_alignbit_b32 v24, v26, v28, 9
	v_or_b32_e32 v23, v24, v23
	v_xor_b32_e32 v23, 1.0, v23
	s_mov_b32 s0, 0x3fc90fda
	v_mul_f32_e32 v24, 0x3fc90fda, v23
	v_fma_f32 v26, v23, s0, -v24
	v_fmamk_f32 v23, v23, 0x33a22168, v26
	v_fmac_f32_e32 v23, 0x3fc90fda, v9
	v_lshrrev_b32_e32 v8, 30, v8
	v_add_f32_e32 v9, v24, v23
	v_add_u32_e32 v8, v32, v8
	s_andn2_saveexec_b64 s[0:1], s[12:13]
	s_branch .LBB14_14
.LBB14_13:
	s_andn2_saveexec_b64 s[0:1], s[12:13]
.LBB14_14:
	s_mov_b32 s2, 0x3f22f983
	v_mul_f32_e64 v8, |v6|, s2
	v_rndne_f32_e32 v9, v8
	s_mov_b32 s2, 0xbfc90fda
	v_cvt_i32_f32_e32 v8, v9
	v_fma_f32 v23, v9, s2, |v6|
	v_fmamk_f32 v23, v9, 0xb3a22168, v23
	v_fmamk_f32 v9, v9, 0xa7c234c4, v23
; %bb.15:
	s_or_b64 exec, exec, s[0:1]
                                        ; implicit-def: $vgpr23
                                        ; implicit-def: $vgpr24
	s_and_saveexec_b64 s[0:1], s[10:11]
	s_xor_b64 s[10:11], exec, s[0:1]
	s_cbranch_execz .LBB14_17
; %bb.16:
	v_add_u32_e32 v23, 0xffffff88, v25
	v_not_b32_e32 v24, 63
	v_cmp_lt_u32_e32 vcc, 63, v23
	s_mov_b32 s4, 0xfe5163ab
	v_mov_b32_e32 v25, 0
	v_cndmask_b32_e32 v24, 0, v24, vcc
	v_add_u32_e32 v23, v24, v23
	v_not_b32_e32 v24, 31
	v_cmp_lt_u32_e64 s[0:1], 31, v23
	s_nop 1
	v_cndmask_b32_e64 v26, 0, v24, s[0:1]
	v_add_u32_e32 v23, v26, v23
	v_cmp_lt_u32_e64 s[2:3], 31, v23
	s_nop 1
	v_cndmask_b32_e64 v24, 0, v24, s[2:3]
	v_add_u32_e32 v23, v24, v23
	v_and_b32_e32 v24, 0x7fffff, v7
	v_or_b32_e32 v38, 0x800000, v24
	v_mad_u64_u32 v[26:27], s[4:5], v38, s4, 0
	v_mov_b32_e32 v24, v27
	s_mov_b32 s4, 0x3c439041
	v_mad_u64_u32 v[28:29], s[4:5], v38, s4, v[24:25]
	v_mov_b32_e32 v24, v29
	s_mov_b32 s4, 0xdb629599
	;; [unrolled: 3-line block ×6, first 2 shown]
	v_mad_u64_u32 v[24:25], s[4:5], v38, s4, v[24:25]
	v_cndmask_b32_e32 v27, v36, v32, vcc
	v_cndmask_b32_e32 v24, v24, v34, vcc
	;; [unrolled: 1-line block ×3, first 2 shown]
	v_cndmask_b32_e64 v29, v24, v27, s[0:1]
	v_cndmask_b32_e64 v24, v25, v24, s[0:1]
	v_cndmask_b32_e32 v25, v34, v30, vcc
	v_cndmask_b32_e64 v27, v27, v25, s[0:1]
	v_cndmask_b32_e64 v24, v24, v29, s[2:3]
	;; [unrolled: 1-line block ×3, first 2 shown]
	v_sub_u32_e32 v31, 32, v23
	v_alignbit_b32 v33, v24, v29, v31
	v_cmp_eq_u32_e64 s[4:5], 0, v23
	v_cndmask_b32_e32 v26, v30, v26, vcc
	s_nop 0
	v_cndmask_b32_e64 v23, v33, v24, s[4:5]
	v_cndmask_b32_e32 v24, v32, v28, vcc
	v_cndmask_b32_e64 v25, v25, v24, s[0:1]
	v_cndmask_b32_e64 v27, v27, v25, s[2:3]
	v_alignbit_b32 v28, v29, v27, v31
	v_cndmask_b32_e64 v28, v28, v29, s[4:5]
	v_bfe_u32 v33, v23, 29, 1
	v_cndmask_b32_e64 v24, v24, v26, s[0:1]
	v_alignbit_b32 v29, v23, v28, 30
	v_sub_u32_e32 v34, 0, v33
	v_cndmask_b32_e64 v24, v25, v24, s[2:3]
	v_xor_b32_e32 v35, v29, v34
	v_alignbit_b32 v25, v27, v24, v31
	v_cndmask_b32_e64 v25, v25, v27, s[4:5]
	v_ffbh_u32_e32 v27, v35
	v_add_u32_e32 v27, 1, v27
	v_cmp_ne_u32_e32 vcc, v29, v34
	v_alignbit_b32 v26, v28, v25, 30
	v_alignbit_b32 v24, v25, v24, 30
	v_cndmask_b32_e32 v27, 33, v27, vcc
	v_xor_b32_e32 v26, v26, v34
	v_sub_u32_e32 v28, 32, v27
	v_xor_b32_e32 v24, v24, v34
	v_alignbit_b32 v29, v35, v26, v28
	v_alignbit_b32 v24, v26, v24, v28
	;; [unrolled: 1-line block ×3, first 2 shown]
	v_ffbh_u32_e32 v26, v25
	v_min_u32_e32 v26, 32, v26
	v_lshrrev_b32_e32 v32, 29, v23
	v_sub_u32_e32 v28, 31, v26
	v_alignbit_b32 v24, v25, v24, v28
	v_lshlrev_b32_e32 v25, 31, v32
	v_or_b32_e32 v28, 0x33800000, v25
	v_add_lshl_u32 v26, v26, v27, 23
	v_lshrrev_b32_e32 v24, 9, v24
	v_sub_u32_e32 v26, v28, v26
	v_or_b32_e32 v24, v26, v24
	v_alignbit_b32 v26, v27, v29, 9
	v_or_b32_e32 v25, v26, v25
	v_xor_b32_e32 v25, 1.0, v25
	s_mov_b32 s0, 0x3fc90fda
	v_mul_f32_e32 v26, 0x3fc90fda, v25
	v_fma_f32 v27, v25, s0, -v26
	v_fmamk_f32 v25, v25, 0x33a22168, v27
	v_fmac_f32_e32 v25, 0x3fc90fda, v24
	v_lshrrev_b32_e32 v23, 30, v23
	v_add_f32_e32 v24, v26, v25
	v_add_u32_e32 v23, v33, v23
	s_andn2_saveexec_b64 s[0:1], s[10:11]
	s_cbranch_execnz .LBB14_18
	s_branch .LBB14_19
.LBB14_17:
	s_andn2_saveexec_b64 s[0:1], s[10:11]
.LBB14_18:
	s_mov_b32 s2, 0x3f22f983
	v_mul_f32_e64 v23, |v6|, s2
	v_rndne_f32_e32 v24, v23
	s_mov_b32 s2, 0xbfc90fda
	v_cvt_i32_f32_e32 v23, v24
	v_fma_f32 v25, v24, s2, |v6|
	v_fmamk_f32 v25, v24, 0xb3a22168, v25
	v_fmamk_f32 v24, v24, 0xa7c234c4, v25
.LBB14_19:
	s_or_b64 exec, exec, s[0:1]
	v_mul_f32_e32 v25, v14, v14
	s_mov_b32 s2, 0x41c80000
	v_div_scale_f32 v26, s[0:1], v25, v25, s2
	v_rcp_f32_e32 v27, v26
	v_xor_b32_e32 v7, v7, v6
	s_mov_b32 s4, 0x40a00000
	v_mov_b32_e32 v34, 0xbf000004
	v_fma_f32 v28, -v26, v27, 1.0
	v_fmac_f32_e32 v27, v28, v27
	v_div_scale_f32 v28, vcc, s2, v25, s2
	v_mul_f32_e32 v29, v28, v27
	v_fma_f32 v30, -v26, v29, v28
	v_fmac_f32_e32 v29, v30, v27
	v_fma_f32 v26, -v26, v29, v28
	v_div_fmas_f32 v26, v26, v27, v29
	v_div_fixup_f32 v25, v26, v25, s2
	v_mov_b32_e32 v26, 0x3a50e985
	v_mov_b32_e32 v27, 0x3a725406
	v_fmac_f32_e32 v26, 0, v25
	v_fmac_f32_e32 v27, 0, v25
	v_fmaak_f32 v26, v25, v26, 0x3da9a586
	v_fmaak_f32 v27, v25, v27, 0x3daf5e2d
	;; [unrolled: 1-line block ×8, first 2 shown]
	v_mov_b32_e32 v28, 0xbc3a3a12
	v_fmaak_f32 v26, v25, v26, 0x40a9b425
	v_fmaak_f32 v27, v25, v27, 0x40a9cb2f
	v_fmac_f32_e32 v28, 0, v25
	v_mov_b32_e32 v29, 0x4280a2ba
	v_fma_f32 v27, v25, v27, 1.0
	v_fmaak_f32 v28, v25, v28, 0xbfa429da
	v_fmac_f32_e32 v29, 0, v25
	v_fma_f32 v26, v25, v26, 1.0
	v_fmaak_f32 v28, v25, v28, 0xc19c6e80
	v_fmaak_f32 v29, v25, v29, 0x44561b86
	v_div_scale_f32 v30, s[0:1], v27, v27, v26
	v_fmaak_f32 v28, v25, v28, 0xc2ba697b
	v_fmaak_f32 v29, v25, v29, 0x4572a66e
	v_rcp_f32_e32 v31, v30
	v_fmaak_f32 v28, v25, v28, 0xc331ae61
	v_fmaak_f32 v29, v25, v29, 0x45e243be
	;; [unrolled: 1-line block ×8, first 2 shown]
	v_fma_f32 v29, -v30, v31, 1.0
	v_fmac_f32_e32 v31, v29, v31
	v_div_scale_f32 v29, vcc, v26, v27, v26
	v_mul_f32_e32 v32, v29, v31
	v_fma_f32 v33, -v30, v32, v29
	v_fmac_f32_e32 v32, v33, v31
	v_fma_f32 v29, -v30, v32, v29
	v_div_fmas_f32 v29, v29, v31, v32
	v_div_fixup_f32 v26, v29, v27, v26
	v_mul_f32_e32 v27, v9, v9
	v_mov_b32_e32 v29, 0x3c0881c4
	v_fmamk_f32 v30, v27, 0xb94c1982, v29
	v_fmaak_f32 v30, v27, v30, 0xbe2aaa9d
	v_mul_f32_e32 v30, v27, v30
	v_fmac_f32_e32 v9, v9, v30
	v_mov_b32_e32 v30, 0xbab64f3b
	v_fmamk_f32 v32, v27, 0x37d75334, v30
	v_fmaak_f32 v32, v27, v32, 0x3d2aabf7
	v_fmaak_f32 v32, v27, v32, 0xbf000004
	v_fma_f32 v27, v27, v32, 1.0
	v_and_b32_e32 v32, 1, v8
	v_lshlrev_b32_e32 v8, 30, v8
	v_cmp_eq_u32_e32 vcc, 0, v32
	v_and_b32_e32 v8, 0x80000000, v8
	v_xor_b32_e32 v7, v7, v8
	v_cndmask_b32_e32 v9, v27, v9, vcc
	v_div_scale_f32 v8, s[0:1], v14, v14, s4
	v_xor_b32_e32 v7, v7, v9
	v_rcp_f32_e32 v9, v8
	s_movk_i32 s2, 0x1f8
	v_mov_b32_e32 v27, 0x7fc00000
	v_cmp_class_f32_e64 s[0:1], v6, s2
	v_mov_b32_e32 v31, 0xbe2aaa9d
	v_mov_b32_e32 v33, 0x3d2aabf7
	v_cndmask_b32_e64 v6, v27, v7, s[0:1]
	v_fma_f32 v7, -v8, v9, 1.0
	v_fmac_f32_e32 v9, v7, v9
	v_div_scale_f32 v7, vcc, s4, v14, s4
	v_mul_f32_e32 v32, v7, v9
	v_fma_f32 v35, -v8, v32, v7
	v_fmac_f32_e32 v32, v35, v9
	v_fma_f32 v7, -v8, v32, v7
	v_div_scale_f32 v8, s[2:3], v25, v25, v28
	v_rcp_f32_e32 v35, v8
	v_div_fmas_f32 v7, v7, v9, v32
	v_div_fixup_f32 v7, v7, v14, s4
	v_fma_f32 v9, -v8, v35, 1.0
	v_fmac_f32_e32 v35, v9, v35
	v_div_scale_f32 v9, vcc, v28, v25, v28
	v_mul_f32_e32 v32, v9, v35
	v_fma_f32 v36, -v8, v32, v9
	v_fmac_f32_e32 v32, v36, v35
	v_fma_f32 v8, -v8, v32, v9
	v_div_fmas_f32 v8, v8, v35, v32
	v_div_fixup_f32 v8, v8, v25, v28
	v_mul_f32_e32 v7, v7, v8
	v_mul_f32_e32 v8, v24, v24
	v_fmac_f32_e32 v29, 0xb94c1982, v8
	v_fmac_f32_e32 v31, v8, v29
	;; [unrolled: 1-line block ×3, first 2 shown]
	v_mul_f32_e32 v9, v8, v31
	v_fmac_f32_e32 v33, v8, v30
	v_fmac_f32_e32 v24, v24, v9
	;; [unrolled: 1-line block ×3, first 2 shown]
	v_and_b32_e32 v9, 1, v23
	v_fma_f32 v8, v8, v34, 1.0
	v_cmp_eq_u32_e32 vcc, 0, v9
	v_lshlrev_b32_e32 v9, 30, v23
	v_and_b32_e32 v9, 0x80000000, v9
	v_cndmask_b32_e64 v8, -v24, v8, vcc
	v_xor_b32_e32 v8, v9, v8
	v_cndmask_b32_e64 v8, v27, v8, s[0:1]
	s_mov_b32 s0, 0xf800000
	v_mul_f32_e32 v9, 0x4f800000, v14
	v_cmp_gt_f32_e32 vcc, s0, v14
	v_mul_f32_e32 v7, v7, v8
	v_fmac_f32_e32 v7, v26, v6
	v_cndmask_b32_e32 v9, v14, v9, vcc
	v_sqrt_f32_e32 v14, v9
	v_mul_f32_e32 v6, 0x3f4c422a, v7
	v_add_u32_e32 v7, -1, v14
	v_fma_f32 v8, -v7, v14, v9
	v_cmp_ge_f32_e64 s[0:1], 0, v8
	v_add_u32_e32 v8, 1, v14
	s_nop 0
	v_cndmask_b32_e64 v7, v14, v7, s[0:1]
	v_fma_f32 v14, -v8, v14, v9
	v_cmp_lt_f32_e64 s[0:1], 0, v14
	s_nop 1
	v_cndmask_b32_e64 v7, v7, v8, s[0:1]
	v_mul_f32_e32 v8, 0x37800000, v7
	v_cndmask_b32_e32 v7, v7, v8, vcc
	v_mov_b32_e32 v8, 0x260
	v_cmp_class_f32_e32 vcc, v9, v8
	s_nop 1
	v_cndmask_b32_e32 v7, v7, v9, vcc
	v_div_scale_f32 v8, s[0:1], v7, v7, v6
	v_rcp_f32_e32 v9, v8
	s_nop 0
	v_fma_f32 v14, -v8, v9, 1.0
	v_fmac_f32_e32 v9, v14, v9
	v_div_scale_f32 v14, vcc, v6, v7, v6
	v_mul_f32_e32 v23, v14, v9
	v_fma_f32 v24, -v8, v23, v14
	v_fmac_f32_e32 v23, v24, v9
	v_fma_f32 v8, -v8, v23, v14
	v_div_fmas_f32 v8, v8, v9, v23
	v_div_fixup_f32 v6, v8, v7, v6
.LBB14_20:
	s_or_b64 exec, exec, s[8:9]
	s_mov_b32 s0, 0x40a00000
	v_cmp_ge_f32_e32 vcc, s0, v15
	s_and_saveexec_b64 s[0:1], vcc
	s_xor_b64 s[2:3], exec, s[0:1]
	s_cbranch_execz .LBB14_30
; %bb.21:
	v_cmp_neq_f32_e32 vcc, 0, v15
	v_mov_b32_e32 v7, 0xff800000
	s_and_saveexec_b64 s[4:5], vcc
	s_cbranch_execz .LBB14_29
; %bb.22:
	v_cmp_ngt_f32_e32 vcc, 0, v15
	v_mov_b32_e32 v7, 0x7fc00000
	s_and_saveexec_b64 s[8:9], vcc
	s_cbranch_execz .LBB14_28
; %bb.23:
	v_mul_f32_e32 v8, v15, v15
	s_mov_b32 s0, 0x3727c5ac
	v_mul_f32_e32 v24, 0, v8
	v_cmp_ngt_f32_e32 vcc, s0, v15
                                        ; implicit-def: $vgpr9
	s_and_saveexec_b64 s[0:1], vcc
	s_xor_b64 s[0:1], exec, s[0:1]
	s_cbranch_execz .LBB14_25
; %bb.24:
	v_add_f32_e32 v7, 0x43f9c815, v24
	v_fmaak_f32 v7, v8, v7, 0x4829b65a
	v_fmaak_f32 v7, v8, v7, 0x4c38c9a1
	;; [unrolled: 1-line block ×3, first 2 shown]
	s_mov_b32 s10, 0xcf8ee29d
	v_mul_f32_e32 v25, v8, v7
	s_mov_b32 s11, 0x53f5f59c
	v_pk_add_f32 v[26:27], v[24:25], s[10:11]
	s_mov_b32 s10, 0x53e3ba8e
	s_mov_b32 s11, 0x578d3514
	v_pk_fma_f32 v[26:27], v[8:9], v[26:27], s[10:11] op_sel_hi:[0,1,1]
	s_mov_b32 s10, 0xd762b0a7
	s_mov_b32 s11, 0x5ae20a0c
	v_pk_fma_f32 v[26:27], v[8:9], v[26:27], s[10:11] op_sel_hi:[0,1,1]
	;; [unrolled: 3-line block ×3, first 2 shown]
	s_mov_b32 s10, 0xc0b90fdc
	s_mov_b32 s11, 0xc1f3c525
	v_pk_add_f32 v[28:29], v[8:9], s[10:11] op_sel_hi:[0,1]
	v_mul_f32_e32 v7, v28, v29
	v_mul_f32_e32 v7, v7, v26
	v_div_scale_f32 v9, s[10:11], v27, v27, v7
	v_rcp_f32_e32 v14, v9
	s_nop 0
	v_fma_f32 v23, -v9, v14, 1.0
	v_fmac_f32_e32 v14, v23, v14
	v_div_scale_f32 v23, vcc, v7, v27, v7
	v_mul_f32_e32 v25, v23, v14
	v_fma_f32 v26, -v9, v25, v23
	v_fmac_f32_e32 v25, v26, v14
	v_fma_f32 v9, -v9, v25, v23
	v_div_fmas_f32 v9, v9, v14, v25
	v_div_fixup_f32 v9, v9, v27, v7
.LBB14_25:
	s_andn2_saveexec_b64 s[0:1], s[0:1]
; %bb.26:
	v_mov_b32_e32 v7, 1.0
	v_fmamk_f32 v9, v8, 0xbe800000, v7
; %bb.27:
	s_or_b64 exec, exec, s[0:1]
	v_add_f32_e32 v7, 0x4673a1bf, v24
	v_fmaak_f32 v7, v8, v7, 0xcb5fc0fa
	v_add_f32_e32 v14, 0x44822913, v24
	v_fmaak_f32 v7, v8, v7, 0x4fa1fbc8
	v_fmaak_f32 v14, v8, v14, 0x4918dbb5
	;; [unrolled: 1-line block ×12, first 2 shown]
	v_div_scale_f32 v8, s[0:1], v14, v14, v7
	v_rcp_f32_e32 v23, v8
	s_mov_b32 s0, 0x800000
	v_cmp_gt_f32_e64 s[0:1], s0, v15
	s_mov_b32 s10, 0x3f317217
	v_fma_f32 v24, -v8, v23, 1.0
	v_fmac_f32_e32 v23, v24, v23
	v_div_scale_f32 v24, vcc, v7, v14, v7
	v_mul_f32_e32 v25, v24, v23
	v_fma_f32 v26, -v8, v25, v24
	v_fmac_f32_e32 v25, v26, v23
	v_fma_f32 v8, -v8, v25, v24
	v_mov_b32_e32 v24, 0x4f800000
	v_cndmask_b32_e64 v24, 1.0, v24, s[0:1]
	v_mul_f32_e32 v24, v15, v24
	v_log_f32_e32 v24, v24
	v_div_fmas_f32 v8, v8, v23, v25
	v_div_fixup_f32 v7, v8, v14, v7
	v_mul_f32_e32 v8, 0x3f317217, v24
	v_fma_f32 v14, v24, s10, -v8
	v_fmamk_f32 v14, v24, 0x3377d1cf, v14
	s_mov_b32 s10, 0x7f800000
	v_add_f32_e32 v8, v8, v14
	v_cmp_lt_f32_e64 vcc, |v24|, s10
	v_mov_b32_e32 v14, 0x41b17218
	v_cndmask_b32_e64 v14, 0, v14, s[0:1]
	v_cndmask_b32_e32 v8, v24, v8, vcc
	v_sub_f32_e32 v8, v8, v14
	v_mul_f32_e32 v8, 0x3f22f983, v8
	v_fmac_f32_e32 v7, v8, v9
.LBB14_28:
	s_or_b64 exec, exec, s[8:9]
.LBB14_29:
	s_or_b64 exec, exec, s[4:5]
.LBB14_30:
	s_andn2_saveexec_b64 s[8:9], s[2:3]
	s_cbranch_execz .LBB14_40
; %bb.31:
	v_add_f32_e32 v7, 0xbf490fdb, v15
	v_and_b32_e32 v8, 0x7fffffff, v7
	s_brev_b32 s0, 18
	v_cmp_nlt_f32_e64 s[10:11], |v7|, s0
	v_lshrrev_b32_e32 v25, 23, v8
                                        ; implicit-def: $vgpr9
                                        ; implicit-def: $vgpr14
	s_and_saveexec_b64 s[0:1], s[10:11]
	s_xor_b64 s[12:13], exec, s[0:1]
	s_cbranch_execz .LBB14_33
; %bb.32:
	v_add_u32_e32 v9, 0xffffff88, v25
	v_not_b32_e32 v14, 63
	v_cmp_lt_u32_e32 vcc, 63, v9
	s_mov_b32 s4, 0xfe5163ab
	v_mov_b32_e32 v27, 0
	v_cndmask_b32_e32 v14, 0, v14, vcc
	v_add_u32_e32 v9, v14, v9
	v_not_b32_e32 v14, 31
	v_cmp_lt_u32_e64 s[0:1], 31, v9
	s_nop 1
	v_cndmask_b32_e64 v23, 0, v14, s[0:1]
	v_add_u32_e32 v9, v23, v9
	v_cmp_lt_u32_e64 s[2:3], 31, v9
	s_nop 1
	v_cndmask_b32_e64 v14, 0, v14, s[2:3]
	v_add_u32_e32 v9, v14, v9
	v_and_b32_e32 v14, 0x7fffff, v8
	v_or_b32_e32 v14, 0x800000, v14
	v_mad_u64_u32 v[28:29], s[4:5], v14, s4, 0
	v_mov_b32_e32 v26, v29
	s_mov_b32 s4, 0x3c439041
	v_mad_u64_u32 v[30:31], s[4:5], v14, s4, v[26:27]
	v_mov_b32_e32 v26, v31
	s_mov_b32 s4, 0xdb629599
	;; [unrolled: 3-line block ×6, first 2 shown]
	v_mad_u64_u32 v[26:27], s[4:5], v14, s4, v[26:27]
	v_cndmask_b32_e32 v23, v38, v34, vcc
	v_cndmask_b32_e32 v14, v26, v36, vcc
	;; [unrolled: 1-line block ×3, first 2 shown]
	v_cndmask_b32_e64 v24, v14, v23, s[0:1]
	v_cndmask_b32_e64 v14, v26, v14, s[0:1]
	v_cndmask_b32_e32 v26, v36, v32, vcc
	v_cndmask_b32_e64 v23, v23, v26, s[0:1]
	v_cndmask_b32_e64 v14, v14, v24, s[2:3]
	v_cndmask_b32_e64 v24, v24, v23, s[2:3]
	v_sub_u32_e32 v27, 32, v9
	v_alignbit_b32 v29, v14, v24, v27
	v_cmp_eq_u32_e64 s[4:5], 0, v9
	v_cndmask_b32_e32 v28, v32, v28, vcc
	s_nop 0
	v_cndmask_b32_e64 v9, v29, v14, s[4:5]
	v_cndmask_b32_e32 v14, v34, v30, vcc
	v_cndmask_b32_e64 v26, v26, v14, s[0:1]
	v_cndmask_b32_e64 v23, v23, v26, s[2:3]
	v_alignbit_b32 v29, v24, v23, v27
	v_cndmask_b32_e64 v24, v29, v24, s[4:5]
	v_bfe_u32 v31, v9, 29, 1
	v_cndmask_b32_e64 v14, v14, v28, s[0:1]
	v_alignbit_b32 v29, v9, v24, 30
	v_sub_u32_e32 v33, 0, v31
	v_cndmask_b32_e64 v14, v26, v14, s[2:3]
	v_xor_b32_e32 v34, v29, v33
	v_alignbit_b32 v26, v23, v14, v27
	v_cndmask_b32_e64 v23, v26, v23, s[4:5]
	v_ffbh_u32_e32 v26, v34
	v_add_u32_e32 v26, 1, v26
	v_cmp_ne_u32_e32 vcc, v29, v33
	v_alignbit_b32 v24, v24, v23, 30
	v_alignbit_b32 v14, v23, v14, 30
	v_cndmask_b32_e32 v26, 33, v26, vcc
	v_xor_b32_e32 v24, v24, v33
	v_sub_u32_e32 v27, 32, v26
	v_xor_b32_e32 v14, v14, v33
	v_alignbit_b32 v28, v34, v24, v27
	v_alignbit_b32 v14, v24, v14, v27
	;; [unrolled: 1-line block ×3, first 2 shown]
	v_ffbh_u32_e32 v24, v23
	v_min_u32_e32 v24, 32, v24
	v_lshrrev_b32_e32 v30, 29, v9
	v_sub_u32_e32 v27, 31, v24
	v_alignbit_b32 v14, v23, v14, v27
	v_lshlrev_b32_e32 v23, 31, v30
	v_or_b32_e32 v27, 0x33800000, v23
	v_add_lshl_u32 v24, v24, v26, 23
	v_lshrrev_b32_e32 v14, 9, v14
	v_sub_u32_e32 v24, v27, v24
	v_or_b32_e32 v14, v24, v14
	v_alignbit_b32 v24, v26, v28, 9
	v_or_b32_e32 v23, v24, v23
	v_xor_b32_e32 v23, 1.0, v23
	s_mov_b32 s0, 0x3fc90fda
	v_mul_f32_e32 v24, 0x3fc90fda, v23
	v_fma_f32 v26, v23, s0, -v24
	v_fmamk_f32 v23, v23, 0x33a22168, v26
	v_fmac_f32_e32 v23, 0x3fc90fda, v14
	v_lshrrev_b32_e32 v9, 30, v9
	v_add_f32_e32 v14, v24, v23
	v_add_u32_e32 v9, v31, v9
	s_andn2_saveexec_b64 s[0:1], s[12:13]
	s_branch .LBB14_34
.LBB14_33:
	s_andn2_saveexec_b64 s[0:1], s[12:13]
.LBB14_34:
	s_mov_b32 s2, 0x3f22f983
	v_mul_f32_e64 v9, |v7|, s2
	v_rndne_f32_e32 v14, v9
	s_mov_b32 s2, 0xbfc90fda
	v_cvt_i32_f32_e32 v9, v14
	v_fma_f32 v23, v14, s2, |v7|
	v_fmamk_f32 v23, v14, 0xb3a22168, v23
	v_fmamk_f32 v14, v14, 0xa7c234c4, v23
; %bb.35:
	s_or_b64 exec, exec, s[0:1]
                                        ; implicit-def: $vgpr23
                                        ; implicit-def: $vgpr24
	s_and_saveexec_b64 s[0:1], s[10:11]
	s_xor_b64 s[10:11], exec, s[0:1]
	s_cbranch_execz .LBB14_37
; %bb.36:
	v_add_u32_e32 v23, 0xffffff88, v25
	v_not_b32_e32 v24, 63
	v_cmp_lt_u32_e32 vcc, 63, v23
	s_mov_b32 s4, 0xfe5163ab
	v_mov_b32_e32 v25, 0
	v_cndmask_b32_e32 v24, 0, v24, vcc
	v_add_u32_e32 v23, v24, v23
	v_not_b32_e32 v24, 31
	v_cmp_lt_u32_e64 s[0:1], 31, v23
	s_nop 1
	v_cndmask_b32_e64 v26, 0, v24, s[0:1]
	v_add_u32_e32 v23, v26, v23
	v_cmp_lt_u32_e64 s[2:3], 31, v23
	s_nop 1
	v_cndmask_b32_e64 v24, 0, v24, s[2:3]
	v_add_u32_e32 v23, v24, v23
	v_and_b32_e32 v24, 0x7fffff, v8
	v_or_b32_e32 v38, 0x800000, v24
	v_mad_u64_u32 v[26:27], s[4:5], v38, s4, 0
	v_mov_b32_e32 v24, v27
	s_mov_b32 s4, 0x3c439041
	v_mad_u64_u32 v[28:29], s[4:5], v38, s4, v[24:25]
	v_mov_b32_e32 v24, v29
	s_mov_b32 s4, 0xdb629599
	;; [unrolled: 3-line block ×6, first 2 shown]
	v_mad_u64_u32 v[24:25], s[4:5], v38, s4, v[24:25]
	v_cndmask_b32_e32 v27, v36, v32, vcc
	v_cndmask_b32_e32 v24, v24, v34, vcc
	;; [unrolled: 1-line block ×3, first 2 shown]
	v_cndmask_b32_e64 v29, v24, v27, s[0:1]
	v_cndmask_b32_e64 v24, v25, v24, s[0:1]
	v_cndmask_b32_e32 v25, v34, v30, vcc
	v_cndmask_b32_e64 v27, v27, v25, s[0:1]
	v_cndmask_b32_e64 v24, v24, v29, s[2:3]
	;; [unrolled: 1-line block ×3, first 2 shown]
	v_sub_u32_e32 v31, 32, v23
	v_alignbit_b32 v33, v24, v29, v31
	v_cmp_eq_u32_e64 s[4:5], 0, v23
	v_cndmask_b32_e32 v26, v30, v26, vcc
	s_nop 0
	v_cndmask_b32_e64 v23, v33, v24, s[4:5]
	v_cndmask_b32_e32 v24, v32, v28, vcc
	v_cndmask_b32_e64 v25, v25, v24, s[0:1]
	v_cndmask_b32_e64 v27, v27, v25, s[2:3]
	v_alignbit_b32 v28, v29, v27, v31
	v_cndmask_b32_e64 v28, v28, v29, s[4:5]
	v_bfe_u32 v33, v23, 29, 1
	v_cndmask_b32_e64 v24, v24, v26, s[0:1]
	v_alignbit_b32 v29, v23, v28, 30
	v_sub_u32_e32 v34, 0, v33
	v_cndmask_b32_e64 v24, v25, v24, s[2:3]
	v_xor_b32_e32 v35, v29, v34
	v_alignbit_b32 v25, v27, v24, v31
	v_cndmask_b32_e64 v25, v25, v27, s[4:5]
	v_ffbh_u32_e32 v27, v35
	v_add_u32_e32 v27, 1, v27
	v_cmp_ne_u32_e32 vcc, v29, v34
	v_alignbit_b32 v26, v28, v25, 30
	v_alignbit_b32 v24, v25, v24, 30
	v_cndmask_b32_e32 v27, 33, v27, vcc
	v_xor_b32_e32 v26, v26, v34
	v_sub_u32_e32 v28, 32, v27
	v_xor_b32_e32 v24, v24, v34
	v_alignbit_b32 v29, v35, v26, v28
	v_alignbit_b32 v24, v26, v24, v28
	;; [unrolled: 1-line block ×3, first 2 shown]
	v_ffbh_u32_e32 v26, v25
	v_min_u32_e32 v26, 32, v26
	v_lshrrev_b32_e32 v32, 29, v23
	v_sub_u32_e32 v28, 31, v26
	v_alignbit_b32 v24, v25, v24, v28
	v_lshlrev_b32_e32 v25, 31, v32
	v_or_b32_e32 v28, 0x33800000, v25
	v_add_lshl_u32 v26, v26, v27, 23
	v_lshrrev_b32_e32 v24, 9, v24
	v_sub_u32_e32 v26, v28, v26
	v_or_b32_e32 v24, v26, v24
	v_alignbit_b32 v26, v27, v29, 9
	v_or_b32_e32 v25, v26, v25
	v_xor_b32_e32 v25, 1.0, v25
	s_mov_b32 s0, 0x3fc90fda
	v_mul_f32_e32 v26, 0x3fc90fda, v25
	v_fma_f32 v27, v25, s0, -v26
	v_fmamk_f32 v25, v25, 0x33a22168, v27
	v_fmac_f32_e32 v25, 0x3fc90fda, v24
	v_lshrrev_b32_e32 v23, 30, v23
	v_add_f32_e32 v24, v26, v25
	v_add_u32_e32 v23, v33, v23
	s_andn2_saveexec_b64 s[0:1], s[10:11]
	s_cbranch_execnz .LBB14_38
	s_branch .LBB14_39
.LBB14_37:
	s_andn2_saveexec_b64 s[0:1], s[10:11]
.LBB14_38:
	s_mov_b32 s2, 0x3f22f983
	v_mul_f32_e64 v23, |v7|, s2
	v_rndne_f32_e32 v24, v23
	s_mov_b32 s2, 0xbfc90fda
	v_cvt_i32_f32_e32 v23, v24
	v_fma_f32 v25, v24, s2, |v7|
	v_fmamk_f32 v25, v24, 0xb3a22168, v25
	v_fmamk_f32 v24, v24, 0xa7c234c4, v25
.LBB14_39:
	s_or_b64 exec, exec, s[0:1]
	v_mul_f32_e32 v25, v15, v15
	s_mov_b32 s2, 0x41c80000
	v_div_scale_f32 v26, s[0:1], v25, v25, s2
	v_rcp_f32_e32 v27, v26
	v_xor_b32_e32 v8, v8, v7
	s_mov_b32 s4, 0x40a00000
	v_mov_b32_e32 v34, 0xbf000004
	v_fma_f32 v28, -v26, v27, 1.0
	v_fmac_f32_e32 v27, v28, v27
	v_div_scale_f32 v28, vcc, s2, v25, s2
	v_mul_f32_e32 v29, v28, v27
	v_fma_f32 v30, -v26, v29, v28
	v_fmac_f32_e32 v29, v30, v27
	v_fma_f32 v26, -v26, v29, v28
	v_div_fmas_f32 v26, v26, v27, v29
	v_div_fixup_f32 v25, v26, v25, s2
	v_mov_b32_e32 v26, 0x3a50e985
	v_mov_b32_e32 v27, 0x3a725406
	v_fmac_f32_e32 v26, 0, v25
	v_fmac_f32_e32 v27, 0, v25
	v_fmaak_f32 v26, v25, v26, 0x3da9a586
	v_fmaak_f32 v27, v25, v27, 0x3daf5e2d
	;; [unrolled: 1-line block ×8, first 2 shown]
	v_mov_b32_e32 v28, 0xbc3a3a12
	v_fmaak_f32 v26, v25, v26, 0x40a9b425
	v_fmaak_f32 v27, v25, v27, 0x40a9cb2f
	v_fmac_f32_e32 v28, 0, v25
	v_mov_b32_e32 v29, 0x4280a2ba
	v_fma_f32 v27, v25, v27, 1.0
	v_fmaak_f32 v28, v25, v28, 0xbfa429da
	v_fmac_f32_e32 v29, 0, v25
	v_fma_f32 v26, v25, v26, 1.0
	v_fmaak_f32 v28, v25, v28, 0xc19c6e80
	v_fmaak_f32 v29, v25, v29, 0x44561b86
	v_div_scale_f32 v30, s[0:1], v27, v27, v26
	v_fmaak_f32 v28, v25, v28, 0xc2ba697b
	v_fmaak_f32 v29, v25, v29, 0x4572a66e
	v_rcp_f32_e32 v31, v30
	v_fmaak_f32 v28, v25, v28, 0xc331ae61
	v_fmaak_f32 v29, v25, v29, 0x45e243be
	;; [unrolled: 1-line block ×8, first 2 shown]
	v_fma_f32 v29, -v30, v31, 1.0
	v_fmac_f32_e32 v31, v29, v31
	v_div_scale_f32 v29, vcc, v26, v27, v26
	v_mul_f32_e32 v32, v29, v31
	v_fma_f32 v33, -v30, v32, v29
	v_fmac_f32_e32 v32, v33, v31
	v_fma_f32 v29, -v30, v32, v29
	v_div_fmas_f32 v29, v29, v31, v32
	v_div_fixup_f32 v26, v29, v27, v26
	v_mul_f32_e32 v27, v14, v14
	v_mov_b32_e32 v29, 0x3c0881c4
	v_fmamk_f32 v30, v27, 0xb94c1982, v29
	v_fmaak_f32 v30, v27, v30, 0xbe2aaa9d
	v_mul_f32_e32 v30, v27, v30
	v_fmac_f32_e32 v14, v14, v30
	v_mov_b32_e32 v30, 0xbab64f3b
	v_fmamk_f32 v32, v27, 0x37d75334, v30
	v_fmaak_f32 v32, v27, v32, 0x3d2aabf7
	v_fmaak_f32 v32, v27, v32, 0xbf000004
	v_fma_f32 v27, v27, v32, 1.0
	v_and_b32_e32 v32, 1, v9
	v_lshlrev_b32_e32 v9, 30, v9
	v_cmp_eq_u32_e32 vcc, 0, v32
	v_and_b32_e32 v9, 0x80000000, v9
	v_xor_b32_e32 v8, v8, v9
	v_cndmask_b32_e32 v14, v27, v14, vcc
	v_div_scale_f32 v9, s[0:1], v15, v15, s4
	v_xor_b32_e32 v8, v8, v14
	v_rcp_f32_e32 v14, v9
	s_movk_i32 s2, 0x1f8
	v_mov_b32_e32 v27, 0x7fc00000
	v_cmp_class_f32_e64 s[0:1], v7, s2
	v_mov_b32_e32 v31, 0xbe2aaa9d
	v_mov_b32_e32 v33, 0x3d2aabf7
	v_cndmask_b32_e64 v7, v27, v8, s[0:1]
	v_fma_f32 v8, -v9, v14, 1.0
	v_fmac_f32_e32 v14, v8, v14
	v_div_scale_f32 v8, vcc, s4, v15, s4
	v_mul_f32_e32 v32, v8, v14
	v_fma_f32 v35, -v9, v32, v8
	v_fmac_f32_e32 v32, v35, v14
	v_fma_f32 v8, -v9, v32, v8
	v_div_scale_f32 v9, s[2:3], v25, v25, v28
	v_rcp_f32_e32 v35, v9
	v_div_fmas_f32 v8, v8, v14, v32
	v_div_fixup_f32 v8, v8, v15, s4
	v_fma_f32 v14, -v9, v35, 1.0
	v_fmac_f32_e32 v35, v14, v35
	v_div_scale_f32 v14, vcc, v28, v25, v28
	v_mul_f32_e32 v32, v14, v35
	v_fma_f32 v36, -v9, v32, v14
	v_fmac_f32_e32 v32, v36, v35
	v_fma_f32 v9, -v9, v32, v14
	v_div_fmas_f32 v9, v9, v35, v32
	v_div_fixup_f32 v9, v9, v25, v28
	v_mul_f32_e32 v8, v8, v9
	v_mul_f32_e32 v9, v24, v24
	v_fmac_f32_e32 v29, 0xb94c1982, v9
	v_fmac_f32_e32 v31, v9, v29
	;; [unrolled: 1-line block ×3, first 2 shown]
	v_mul_f32_e32 v14, v9, v31
	v_fmac_f32_e32 v33, v9, v30
	v_fmac_f32_e32 v24, v24, v14
	;; [unrolled: 1-line block ×3, first 2 shown]
	v_and_b32_e32 v14, 1, v23
	v_fma_f32 v9, v9, v34, 1.0
	v_cmp_eq_u32_e32 vcc, 0, v14
	v_lshlrev_b32_e32 v14, 30, v23
	v_and_b32_e32 v14, 0x80000000, v14
	v_cndmask_b32_e64 v9, -v24, v9, vcc
	v_xor_b32_e32 v9, v14, v9
	v_cndmask_b32_e64 v9, v27, v9, s[0:1]
	s_mov_b32 s0, 0xf800000
	v_mul_f32_e32 v14, 0x4f800000, v15
	v_cmp_gt_f32_e32 vcc, s0, v15
	v_mul_f32_e32 v8, v8, v9
	v_fmac_f32_e32 v8, v26, v7
	v_cndmask_b32_e32 v14, v15, v14, vcc
	v_sqrt_f32_e32 v15, v14
	v_mul_f32_e32 v7, 0x3f4c422a, v8
	v_add_u32_e32 v8, -1, v15
	v_fma_f32 v9, -v8, v15, v14
	v_cmp_ge_f32_e64 s[0:1], 0, v9
	v_add_u32_e32 v9, 1, v15
	s_nop 0
	v_cndmask_b32_e64 v8, v15, v8, s[0:1]
	v_fma_f32 v15, -v9, v15, v14
	v_cmp_lt_f32_e64 s[0:1], 0, v15
	s_nop 1
	v_cndmask_b32_e64 v8, v8, v9, s[0:1]
	v_mul_f32_e32 v9, 0x37800000, v8
	v_cndmask_b32_e32 v8, v8, v9, vcc
	v_mov_b32_e32 v9, 0x260
	v_cmp_class_f32_e32 vcc, v14, v9
	s_nop 1
	v_cndmask_b32_e32 v8, v8, v14, vcc
	v_div_scale_f32 v9, s[0:1], v8, v8, v7
	v_rcp_f32_e32 v14, v9
	s_nop 0
	v_fma_f32 v15, -v9, v14, 1.0
	v_fmac_f32_e32 v14, v15, v14
	v_div_scale_f32 v15, vcc, v7, v8, v7
	v_mul_f32_e32 v23, v15, v14
	v_fma_f32 v24, -v9, v23, v15
	v_fmac_f32_e32 v23, v24, v14
	v_fma_f32 v9, -v9, v23, v15
	v_div_fmas_f32 v9, v9, v14, v23
	v_div_fixup_f32 v7, v9, v8, v7
.LBB14_40:
	s_or_b64 exec, exec, s[8:9]
	s_mov_b32 s0, 0x40a00000
	v_cmp_ge_f32_e32 vcc, s0, v16
	s_and_saveexec_b64 s[0:1], vcc
	s_xor_b64 s[2:3], exec, s[0:1]
	s_cbranch_execz .LBB14_50
; %bb.41:
	v_cmp_neq_f32_e32 vcc, 0, v16
	v_mov_b32_e32 v8, 0xff800000
	s_and_saveexec_b64 s[4:5], vcc
	s_cbranch_execz .LBB14_49
; %bb.42:
	v_cmp_ngt_f32_e32 vcc, 0, v16
	v_mov_b32_e32 v8, 0x7fc00000
	s_and_saveexec_b64 s[8:9], vcc
	s_cbranch_execz .LBB14_48
; %bb.43:
	v_mul_f32_e32 v8, v16, v16
	s_mov_b32 s0, 0x3727c5ac
	v_mul_f32_e32 v14, 0, v8
	v_cmp_ngt_f32_e32 vcc, s0, v16
                                        ; implicit-def: $vgpr9
	s_and_saveexec_b64 s[0:1], vcc
	s_xor_b64 s[0:1], exec, s[0:1]
	s_cbranch_execz .LBB14_45
; %bb.44:
	v_add_f32_e32 v9, 0x43f9c815, v14
	v_fmaak_f32 v9, v8, v9, 0x4829b65a
	v_fmaak_f32 v9, v8, v9, 0x4c38c9a1
	;; [unrolled: 1-line block ×3, first 2 shown]
	s_mov_b32 s10, 0xcf8ee29d
	v_mul_f32_e32 v15, v8, v9
	s_mov_b32 s11, 0x53f5f59c
	v_pk_add_f32 v[24:25], v[14:15], s[10:11]
	s_mov_b32 s10, 0x53e3ba8e
	s_mov_b32 s11, 0x578d3514
	v_pk_fma_f32 v[24:25], v[8:9], v[24:25], s[10:11] op_sel_hi:[0,1,1]
	s_mov_b32 s10, 0xd762b0a7
	s_mov_b32 s11, 0x5ae20a0c
	v_pk_fma_f32 v[24:25], v[8:9], v[24:25], s[10:11] op_sel_hi:[0,1,1]
	;; [unrolled: 3-line block ×3, first 2 shown]
	s_mov_b32 s10, 0xc0b90fdc
	s_mov_b32 s11, 0xc1f3c525
	v_pk_add_f32 v[26:27], v[8:9], s[10:11] op_sel_hi:[0,1]
	v_mul_f32_e32 v9, v26, v27
	v_mul_f32_e32 v9, v9, v24
	v_div_scale_f32 v15, s[10:11], v25, v25, v9
	v_rcp_f32_e32 v23, v15
	s_nop 0
	v_fma_f32 v24, -v15, v23, 1.0
	v_fmac_f32_e32 v23, v24, v23
	v_div_scale_f32 v24, vcc, v9, v25, v9
	v_mul_f32_e32 v26, v24, v23
	v_fma_f32 v27, -v15, v26, v24
	v_fmac_f32_e32 v26, v27, v23
	v_fma_f32 v15, -v15, v26, v24
	v_div_fmas_f32 v15, v15, v23, v26
	v_div_fixup_f32 v9, v15, v25, v9
.LBB14_45:
	s_andn2_saveexec_b64 s[0:1], s[0:1]
; %bb.46:
	v_mov_b32_e32 v9, 1.0
	v_fmamk_f32 v9, v8, 0xbe800000, v9
; %bb.47:
	s_or_b64 exec, exec, s[0:1]
	v_add_f32_e32 v15, 0x4673a1bf, v14
	v_fmaak_f32 v15, v8, v15, 0xcb5fc0fa
	v_add_f32_e32 v14, 0x44822913, v14
	v_fmaak_f32 v15, v8, v15, 0x4fa1fbc8
	v_fmaak_f32 v14, v8, v14, 0x4918dbb5
	;; [unrolled: 1-line block ×12, first 2 shown]
	v_div_scale_f32 v15, s[0:1], v14, v14, v8
	v_rcp_f32_e32 v23, v15
	s_mov_b32 s0, 0x800000
	v_cmp_gt_f32_e64 s[0:1], s0, v16
	s_mov_b32 s10, 0x3f317217
	v_fma_f32 v24, -v15, v23, 1.0
	v_fmac_f32_e32 v23, v24, v23
	v_div_scale_f32 v24, vcc, v8, v14, v8
	v_mul_f32_e32 v25, v24, v23
	v_fma_f32 v26, -v15, v25, v24
	v_fmac_f32_e32 v25, v26, v23
	v_fma_f32 v15, -v15, v25, v24
	v_mov_b32_e32 v24, 0x4f800000
	v_cndmask_b32_e64 v24, 1.0, v24, s[0:1]
	v_mul_f32_e32 v24, v16, v24
	v_log_f32_e32 v24, v24
	v_div_fmas_f32 v15, v15, v23, v25
	v_div_fixup_f32 v8, v15, v14, v8
	v_mul_f32_e32 v14, 0x3f317217, v24
	v_fma_f32 v15, v24, s10, -v14
	v_fmamk_f32 v15, v24, 0x3377d1cf, v15
	s_mov_b32 s10, 0x7f800000
	v_add_f32_e32 v14, v14, v15
	v_cmp_lt_f32_e64 vcc, |v24|, s10
	v_mov_b32_e32 v15, 0x41b17218
	v_cndmask_b32_e64 v15, 0, v15, s[0:1]
	v_cndmask_b32_e32 v14, v24, v14, vcc
	v_sub_f32_e32 v14, v14, v15
	v_mul_f32_e32 v14, 0x3f22f983, v14
	v_fmac_f32_e32 v8, v14, v9
.LBB14_48:
	s_or_b64 exec, exec, s[8:9]
.LBB14_49:
	s_or_b64 exec, exec, s[4:5]
.LBB14_50:
	s_andn2_saveexec_b64 s[8:9], s[2:3]
	s_cbranch_execz .LBB14_60
; %bb.51:
	v_add_f32_e32 v8, 0xbf490fdb, v16
	v_and_b32_e32 v9, 0x7fffffff, v8
	s_brev_b32 s0, 18
	v_cmp_nlt_f32_e64 s[10:11], |v8|, s0
	v_lshrrev_b32_e32 v25, 23, v9
                                        ; implicit-def: $vgpr14
                                        ; implicit-def: $vgpr15
	s_and_saveexec_b64 s[0:1], s[10:11]
	s_xor_b64 s[12:13], exec, s[0:1]
	s_cbranch_execz .LBB14_53
; %bb.52:
	v_add_u32_e32 v14, 0xffffff88, v25
	v_not_b32_e32 v23, 63
	v_cmp_lt_u32_e32 vcc, 63, v14
	s_mov_b32 s4, 0xfe5163ab
	v_mov_b32_e32 v15, 0
	v_cndmask_b32_e32 v23, 0, v23, vcc
	v_add_u32_e32 v14, v23, v14
	v_not_b32_e32 v23, 31
	v_cmp_lt_u32_e64 s[0:1], 31, v14
	s_nop 1
	v_cndmask_b32_e64 v24, 0, v23, s[0:1]
	v_add_u32_e32 v14, v24, v14
	v_cmp_lt_u32_e64 s[2:3], 31, v14
	s_nop 1
	v_cndmask_b32_e64 v23, 0, v23, s[2:3]
	v_add_u32_e32 v23, v23, v14
	v_and_b32_e32 v14, 0x7fffff, v9
	v_or_b32_e32 v24, 0x800000, v14
	v_mad_u64_u32 v[26:27], s[4:5], v24, s4, 0
	v_mov_b32_e32 v14, v27
	s_mov_b32 s4, 0x3c439041
	v_mad_u64_u32 v[28:29], s[4:5], v24, s4, v[14:15]
	v_mov_b32_e32 v14, v29
	s_mov_b32 s4, 0xdb629599
	;; [unrolled: 3-line block ×6, first 2 shown]
	v_mad_u64_u32 v[14:15], s[4:5], v24, s4, v[14:15]
	v_cndmask_b32_e32 v27, v36, v32, vcc
	v_cndmask_b32_e32 v14, v14, v34, vcc
	;; [unrolled: 1-line block ×3, first 2 shown]
	v_cndmask_b32_e64 v24, v14, v27, s[0:1]
	v_cndmask_b32_e64 v14, v15, v14, s[0:1]
	v_cndmask_b32_e32 v15, v34, v30, vcc
	v_cndmask_b32_e64 v27, v27, v15, s[0:1]
	v_sub_u32_e32 v29, 32, v23
	v_cmp_eq_u32_e64 s[4:5], 0, v23
	v_cndmask_b32_e32 v23, v32, v28, vcc
	v_cndmask_b32_e64 v14, v14, v24, s[2:3]
	v_cndmask_b32_e64 v24, v24, v27, s[2:3]
	v_cndmask_b32_e64 v15, v15, v23, s[0:1]
	v_alignbit_b32 v31, v14, v24, v29
	v_cndmask_b32_e64 v27, v27, v15, s[2:3]
	v_cndmask_b32_e64 v14, v31, v14, s[4:5]
	v_alignbit_b32 v28, v24, v27, v29
	v_cndmask_b32_e64 v24, v28, v24, s[4:5]
	v_bfe_u32 v32, v14, 29, 1
	v_cndmask_b32_e32 v26, v30, v26, vcc
	v_alignbit_b32 v28, v14, v24, 30
	v_sub_u32_e32 v33, 0, v32
	v_cndmask_b32_e64 v23, v23, v26, s[0:1]
	v_xor_b32_e32 v34, v28, v33
	v_cndmask_b32_e64 v15, v15, v23, s[2:3]
	v_alignbit_b32 v23, v27, v15, v29
	v_ffbh_u32_e32 v26, v34
	v_cndmask_b32_e64 v23, v23, v27, s[4:5]
	v_add_u32_e32 v26, 1, v26
	v_cmp_ne_u32_e32 vcc, v28, v33
	v_alignbit_b32 v24, v24, v23, 30
	v_alignbit_b32 v15, v23, v15, 30
	v_cndmask_b32_e32 v26, 33, v26, vcc
	v_xor_b32_e32 v24, v24, v33
	v_sub_u32_e32 v27, 32, v26
	v_xor_b32_e32 v15, v15, v33
	v_alignbit_b32 v28, v34, v24, v27
	v_alignbit_b32 v15, v24, v15, v27
	;; [unrolled: 1-line block ×3, first 2 shown]
	v_ffbh_u32_e32 v24, v23
	v_min_u32_e32 v24, 32, v24
	v_lshrrev_b32_e32 v31, 29, v14
	v_sub_u32_e32 v27, 31, v24
	v_alignbit_b32 v15, v23, v15, v27
	v_lshlrev_b32_e32 v23, 31, v31
	v_or_b32_e32 v27, 0x33800000, v23
	v_add_lshl_u32 v24, v24, v26, 23
	v_lshrrev_b32_e32 v15, 9, v15
	v_sub_u32_e32 v24, v27, v24
	v_or_b32_e32 v15, v24, v15
	v_alignbit_b32 v24, v26, v28, 9
	v_or_b32_e32 v23, v24, v23
	v_xor_b32_e32 v23, 1.0, v23
	s_mov_b32 s0, 0x3fc90fda
	v_mul_f32_e32 v24, 0x3fc90fda, v23
	v_fma_f32 v26, v23, s0, -v24
	v_fmamk_f32 v23, v23, 0x33a22168, v26
	v_fmac_f32_e32 v23, 0x3fc90fda, v15
	v_lshrrev_b32_e32 v14, 30, v14
	v_add_f32_e32 v15, v24, v23
	v_add_u32_e32 v14, v32, v14
	s_andn2_saveexec_b64 s[0:1], s[12:13]
	s_branch .LBB14_54
.LBB14_53:
	s_andn2_saveexec_b64 s[0:1], s[12:13]
.LBB14_54:
	s_mov_b32 s2, 0x3f22f983
	v_mul_f32_e64 v14, |v8|, s2
	v_rndne_f32_e32 v15, v14
	s_mov_b32 s2, 0xbfc90fda
	v_cvt_i32_f32_e32 v14, v15
	v_fma_f32 v23, v15, s2, |v8|
	v_fmamk_f32 v23, v15, 0xb3a22168, v23
	v_fmamk_f32 v15, v15, 0xa7c234c4, v23
; %bb.55:
	s_or_b64 exec, exec, s[0:1]
                                        ; implicit-def: $vgpr23
                                        ; implicit-def: $vgpr24
	s_and_saveexec_b64 s[0:1], s[10:11]
	s_xor_b64 s[10:11], exec, s[0:1]
	s_cbranch_execz .LBB14_57
; %bb.56:
	v_add_u32_e32 v23, 0xffffff88, v25
	v_not_b32_e32 v24, 63
	v_cmp_lt_u32_e32 vcc, 63, v23
	s_mov_b32 s4, 0xfe5163ab
	v_mov_b32_e32 v25, 0
	v_cndmask_b32_e32 v24, 0, v24, vcc
	v_add_u32_e32 v23, v24, v23
	v_not_b32_e32 v24, 31
	v_cmp_lt_u32_e64 s[0:1], 31, v23
	s_nop 1
	v_cndmask_b32_e64 v26, 0, v24, s[0:1]
	v_add_u32_e32 v23, v26, v23
	v_cmp_lt_u32_e64 s[2:3], 31, v23
	s_nop 1
	v_cndmask_b32_e64 v24, 0, v24, s[2:3]
	v_add_u32_e32 v23, v24, v23
	v_and_b32_e32 v24, 0x7fffff, v9
	v_or_b32_e32 v38, 0x800000, v24
	v_mad_u64_u32 v[26:27], s[4:5], v38, s4, 0
	v_mov_b32_e32 v24, v27
	s_mov_b32 s4, 0x3c439041
	v_mad_u64_u32 v[28:29], s[4:5], v38, s4, v[24:25]
	v_mov_b32_e32 v24, v29
	s_mov_b32 s4, 0xdb629599
	;; [unrolled: 3-line block ×6, first 2 shown]
	v_mad_u64_u32 v[24:25], s[4:5], v38, s4, v[24:25]
	v_cndmask_b32_e32 v27, v36, v32, vcc
	v_cndmask_b32_e32 v24, v24, v34, vcc
	;; [unrolled: 1-line block ×3, first 2 shown]
	v_cndmask_b32_e64 v29, v24, v27, s[0:1]
	v_cndmask_b32_e64 v24, v25, v24, s[0:1]
	v_cndmask_b32_e32 v25, v34, v30, vcc
	v_cndmask_b32_e64 v27, v27, v25, s[0:1]
	v_cndmask_b32_e64 v24, v24, v29, s[2:3]
	;; [unrolled: 1-line block ×3, first 2 shown]
	v_sub_u32_e32 v31, 32, v23
	v_alignbit_b32 v33, v24, v29, v31
	v_cmp_eq_u32_e64 s[4:5], 0, v23
	v_cndmask_b32_e32 v26, v30, v26, vcc
	s_nop 0
	v_cndmask_b32_e64 v23, v33, v24, s[4:5]
	v_cndmask_b32_e32 v24, v32, v28, vcc
	v_cndmask_b32_e64 v25, v25, v24, s[0:1]
	v_cndmask_b32_e64 v27, v27, v25, s[2:3]
	v_alignbit_b32 v28, v29, v27, v31
	v_cndmask_b32_e64 v28, v28, v29, s[4:5]
	v_bfe_u32 v33, v23, 29, 1
	v_cndmask_b32_e64 v24, v24, v26, s[0:1]
	v_alignbit_b32 v29, v23, v28, 30
	v_sub_u32_e32 v34, 0, v33
	v_cndmask_b32_e64 v24, v25, v24, s[2:3]
	v_xor_b32_e32 v35, v29, v34
	v_alignbit_b32 v25, v27, v24, v31
	v_cndmask_b32_e64 v25, v25, v27, s[4:5]
	v_ffbh_u32_e32 v27, v35
	v_add_u32_e32 v27, 1, v27
	v_cmp_ne_u32_e32 vcc, v29, v34
	v_alignbit_b32 v26, v28, v25, 30
	v_alignbit_b32 v24, v25, v24, 30
	v_cndmask_b32_e32 v27, 33, v27, vcc
	v_xor_b32_e32 v26, v26, v34
	v_sub_u32_e32 v28, 32, v27
	v_xor_b32_e32 v24, v24, v34
	v_alignbit_b32 v29, v35, v26, v28
	v_alignbit_b32 v24, v26, v24, v28
	;; [unrolled: 1-line block ×3, first 2 shown]
	v_ffbh_u32_e32 v26, v25
	v_min_u32_e32 v26, 32, v26
	v_lshrrev_b32_e32 v32, 29, v23
	v_sub_u32_e32 v28, 31, v26
	v_alignbit_b32 v24, v25, v24, v28
	v_lshlrev_b32_e32 v25, 31, v32
	v_or_b32_e32 v28, 0x33800000, v25
	v_add_lshl_u32 v26, v26, v27, 23
	v_lshrrev_b32_e32 v24, 9, v24
	v_sub_u32_e32 v26, v28, v26
	v_or_b32_e32 v24, v26, v24
	v_alignbit_b32 v26, v27, v29, 9
	v_or_b32_e32 v25, v26, v25
	v_xor_b32_e32 v25, 1.0, v25
	s_mov_b32 s0, 0x3fc90fda
	v_mul_f32_e32 v26, 0x3fc90fda, v25
	v_fma_f32 v27, v25, s0, -v26
	v_fmamk_f32 v25, v25, 0x33a22168, v27
	v_fmac_f32_e32 v25, 0x3fc90fda, v24
	v_lshrrev_b32_e32 v23, 30, v23
	v_add_f32_e32 v24, v26, v25
	v_add_u32_e32 v23, v33, v23
	s_andn2_saveexec_b64 s[0:1], s[10:11]
	s_cbranch_execnz .LBB14_58
	s_branch .LBB14_59
.LBB14_57:
	s_andn2_saveexec_b64 s[0:1], s[10:11]
.LBB14_58:
	s_mov_b32 s2, 0x3f22f983
	v_mul_f32_e64 v23, |v8|, s2
	v_rndne_f32_e32 v24, v23
	s_mov_b32 s2, 0xbfc90fda
	v_cvt_i32_f32_e32 v23, v24
	v_fma_f32 v25, v24, s2, |v8|
	v_fmamk_f32 v25, v24, 0xb3a22168, v25
	v_fmamk_f32 v24, v24, 0xa7c234c4, v25
.LBB14_59:
	s_or_b64 exec, exec, s[0:1]
	v_mul_f32_e32 v25, v16, v16
	s_mov_b32 s2, 0x41c80000
	v_div_scale_f32 v26, s[0:1], v25, v25, s2
	v_rcp_f32_e32 v27, v26
	v_xor_b32_e32 v9, v9, v8
	s_mov_b32 s4, 0x40a00000
	v_mov_b32_e32 v34, 0xbf000004
	v_fma_f32 v28, -v26, v27, 1.0
	v_fmac_f32_e32 v27, v28, v27
	v_div_scale_f32 v28, vcc, s2, v25, s2
	v_mul_f32_e32 v29, v28, v27
	v_fma_f32 v30, -v26, v29, v28
	v_fmac_f32_e32 v29, v30, v27
	v_fma_f32 v26, -v26, v29, v28
	v_div_fmas_f32 v26, v26, v27, v29
	v_div_fixup_f32 v25, v26, v25, s2
	v_mov_b32_e32 v26, 0x3a50e985
	v_mov_b32_e32 v27, 0x3a725406
	v_fmac_f32_e32 v26, 0, v25
	v_fmac_f32_e32 v27, 0, v25
	v_fmaak_f32 v26, v25, v26, 0x3da9a586
	v_fmaak_f32 v27, v25, v27, 0x3daf5e2d
	v_fmaak_f32 v26, v25, v26, 0x3f9ea90a
	v_fmaak_f32 v27, v25, v27, 0x3fa07396
	v_fmaak_f32 v26, v25, v26, 0x40ae4fdf
	v_fmaak_f32 v27, v25, v27, 0x40af123f
	v_fmaak_f32 v26, v25, v26, 0x410bf463
	v_fmaak_f32 v27, v25, v27, 0x410c30c7
	v_mov_b32_e32 v28, 0xbc3a3a12
	v_fmaak_f32 v26, v25, v26, 0x40a9b425
	v_fmaak_f32 v27, v25, v27, 0x40a9cb2f
	v_fmac_f32_e32 v28, 0, v25
	v_mov_b32_e32 v29, 0x4280a2ba
	v_fma_f32 v27, v25, v27, 1.0
	v_fmaak_f32 v28, v25, v28, 0xbfa429da
	v_fmac_f32_e32 v29, 0, v25
	v_fma_f32 v26, v25, v26, 1.0
	v_fmaak_f32 v28, v25, v28, 0xc19c6e80
	v_fmaak_f32 v29, v25, v29, 0x44561b86
	v_div_scale_f32 v30, s[0:1], v27, v27, v26
	v_fmaak_f32 v28, v25, v28, 0xc2ba697b
	v_fmaak_f32 v29, v25, v29, 0x4572a66e
	v_rcp_f32_e32 v31, v30
	v_fmaak_f32 v28, v25, v28, 0xc331ae61
	v_fmaak_f32 v29, v25, v29, 0x45e243be
	;; [unrolled: 1-line block ×8, first 2 shown]
	v_fma_f32 v29, -v30, v31, 1.0
	v_fmac_f32_e32 v31, v29, v31
	v_div_scale_f32 v29, vcc, v26, v27, v26
	v_mul_f32_e32 v32, v29, v31
	v_fma_f32 v33, -v30, v32, v29
	v_fmac_f32_e32 v32, v33, v31
	v_fma_f32 v29, -v30, v32, v29
	v_div_fmas_f32 v29, v29, v31, v32
	v_div_fixup_f32 v26, v29, v27, v26
	v_mul_f32_e32 v27, v15, v15
	v_mov_b32_e32 v29, 0x3c0881c4
	v_fmamk_f32 v30, v27, 0xb94c1982, v29
	v_fmaak_f32 v30, v27, v30, 0xbe2aaa9d
	v_mul_f32_e32 v30, v27, v30
	v_fmac_f32_e32 v15, v15, v30
	v_mov_b32_e32 v30, 0xbab64f3b
	v_fmamk_f32 v32, v27, 0x37d75334, v30
	v_fmaak_f32 v32, v27, v32, 0x3d2aabf7
	v_fmaak_f32 v32, v27, v32, 0xbf000004
	v_fma_f32 v27, v27, v32, 1.0
	v_and_b32_e32 v32, 1, v14
	v_lshlrev_b32_e32 v14, 30, v14
	v_cmp_eq_u32_e32 vcc, 0, v32
	v_and_b32_e32 v14, 0x80000000, v14
	v_xor_b32_e32 v9, v9, v14
	v_cndmask_b32_e32 v15, v27, v15, vcc
	v_div_scale_f32 v14, s[0:1], v16, v16, s4
	v_xor_b32_e32 v9, v9, v15
	v_rcp_f32_e32 v15, v14
	s_movk_i32 s2, 0x1f8
	v_mov_b32_e32 v27, 0x7fc00000
	v_cmp_class_f32_e64 s[0:1], v8, s2
	v_mov_b32_e32 v31, 0xbe2aaa9d
	v_mov_b32_e32 v33, 0x3d2aabf7
	v_cndmask_b32_e64 v8, v27, v9, s[0:1]
	v_fma_f32 v9, -v14, v15, 1.0
	v_fmac_f32_e32 v15, v9, v15
	v_div_scale_f32 v9, vcc, s4, v16, s4
	v_mul_f32_e32 v32, v9, v15
	v_fma_f32 v35, -v14, v32, v9
	v_fmac_f32_e32 v32, v35, v15
	v_fma_f32 v9, -v14, v32, v9
	v_div_scale_f32 v14, s[2:3], v25, v25, v28
	v_rcp_f32_e32 v35, v14
	v_div_fmas_f32 v9, v9, v15, v32
	v_div_fixup_f32 v9, v9, v16, s4
	v_fma_f32 v15, -v14, v35, 1.0
	v_fmac_f32_e32 v35, v15, v35
	v_div_scale_f32 v15, vcc, v28, v25, v28
	v_mul_f32_e32 v32, v15, v35
	v_fma_f32 v36, -v14, v32, v15
	v_fmac_f32_e32 v32, v36, v35
	v_fma_f32 v14, -v14, v32, v15
	v_div_fmas_f32 v14, v14, v35, v32
	v_div_fixup_f32 v14, v14, v25, v28
	v_mul_f32_e32 v9, v9, v14
	v_mul_f32_e32 v14, v24, v24
	v_fmac_f32_e32 v29, 0xb94c1982, v14
	v_fmac_f32_e32 v31, v14, v29
	;; [unrolled: 1-line block ×3, first 2 shown]
	v_mul_f32_e32 v15, v14, v31
	v_fmac_f32_e32 v33, v14, v30
	v_fmac_f32_e32 v24, v24, v15
	;; [unrolled: 1-line block ×3, first 2 shown]
	v_and_b32_e32 v15, 1, v23
	v_fma_f32 v14, v14, v34, 1.0
	v_cmp_eq_u32_e32 vcc, 0, v15
	v_lshlrev_b32_e32 v15, 30, v23
	v_and_b32_e32 v15, 0x80000000, v15
	v_cndmask_b32_e64 v14, -v24, v14, vcc
	v_xor_b32_e32 v14, v15, v14
	v_cndmask_b32_e64 v14, v27, v14, s[0:1]
	s_mov_b32 s0, 0xf800000
	v_mul_f32_e32 v15, 0x4f800000, v16
	v_cmp_gt_f32_e32 vcc, s0, v16
	v_mul_f32_e32 v9, v9, v14
	v_fmac_f32_e32 v9, v26, v8
	v_cndmask_b32_e32 v15, v16, v15, vcc
	v_sqrt_f32_e32 v16, v15
	v_mul_f32_e32 v8, 0x3f4c422a, v9
	v_add_u32_e32 v9, -1, v16
	v_fma_f32 v14, -v9, v16, v15
	v_cmp_ge_f32_e64 s[0:1], 0, v14
	v_add_u32_e32 v14, 1, v16
	s_nop 0
	v_cndmask_b32_e64 v9, v16, v9, s[0:1]
	v_fma_f32 v16, -v14, v16, v15
	v_cmp_lt_f32_e64 s[0:1], 0, v16
	s_nop 1
	v_cndmask_b32_e64 v9, v9, v14, s[0:1]
	v_mul_f32_e32 v14, 0x37800000, v9
	v_cndmask_b32_e32 v9, v9, v14, vcc
	v_mov_b32_e32 v14, 0x260
	v_cmp_class_f32_e32 vcc, v15, v14
	s_nop 1
	v_cndmask_b32_e32 v9, v9, v15, vcc
	v_div_scale_f32 v14, s[0:1], v9, v9, v8
	v_rcp_f32_e32 v15, v14
	s_nop 0
	v_fma_f32 v16, -v14, v15, 1.0
	v_fmac_f32_e32 v15, v16, v15
	v_div_scale_f32 v16, vcc, v8, v9, v8
	v_mul_f32_e32 v23, v16, v15
	v_fma_f32 v24, -v14, v23, v16
	v_fmac_f32_e32 v23, v24, v15
	v_fma_f32 v14, -v14, v23, v16
	v_div_fmas_f32 v14, v14, v15, v23
	v_div_fixup_f32 v8, v14, v9, v8
.LBB14_60:
	s_or_b64 exec, exec, s[8:9]
	s_mov_b32 s0, 0x40a00000
	v_cmp_ge_f32_e32 vcc, s0, v17
	s_and_saveexec_b64 s[0:1], vcc
	s_xor_b64 s[2:3], exec, s[0:1]
	s_cbranch_execz .LBB14_70
; %bb.61:
	v_cmp_neq_f32_e32 vcc, 0, v17
	v_mov_b32_e32 v9, 0xff800000
	s_and_saveexec_b64 s[4:5], vcc
	s_cbranch_execz .LBB14_69
; %bb.62:
	v_cmp_ngt_f32_e32 vcc, 0, v17
	v_mov_b32_e32 v9, 0x7fc00000
	s_and_saveexec_b64 s[8:9], vcc
	s_cbranch_execz .LBB14_68
; %bb.63:
	v_mul_f32_e32 v14, v17, v17
	s_mov_b32 s0, 0x3727c5ac
	v_mul_f32_e32 v24, 0, v14
	v_cmp_ngt_f32_e32 vcc, s0, v17
                                        ; implicit-def: $vgpr15
	s_and_saveexec_b64 s[0:1], vcc
	s_xor_b64 s[0:1], exec, s[0:1]
	s_cbranch_execz .LBB14_65
; %bb.64:
	v_add_f32_e32 v9, 0x43f9c815, v24
	v_fmaak_f32 v9, v14, v9, 0x4829b65a
	v_fmaak_f32 v9, v14, v9, 0x4c38c9a1
	;; [unrolled: 1-line block ×3, first 2 shown]
	s_mov_b32 s10, 0xcf8ee29d
	v_mul_f32_e32 v25, v14, v9
	s_mov_b32 s11, 0x53f5f59c
	v_pk_add_f32 v[26:27], v[24:25], s[10:11]
	s_mov_b32 s10, 0x53e3ba8e
	s_mov_b32 s11, 0x578d3514
	v_pk_fma_f32 v[26:27], v[14:15], v[26:27], s[10:11] op_sel_hi:[0,1,1]
	s_mov_b32 s10, 0xd762b0a7
	s_mov_b32 s11, 0x5ae20a0c
	v_pk_fma_f32 v[26:27], v[14:15], v[26:27], s[10:11] op_sel_hi:[0,1,1]
	;; [unrolled: 3-line block ×3, first 2 shown]
	s_mov_b32 s10, 0xc0b90fdc
	s_mov_b32 s11, 0xc1f3c525
	v_pk_add_f32 v[28:29], v[14:15], s[10:11] op_sel_hi:[0,1]
	v_mul_f32_e32 v9, v28, v29
	v_mul_f32_e32 v9, v9, v26
	v_div_scale_f32 v15, s[10:11], v27, v27, v9
	v_rcp_f32_e32 v16, v15
	s_nop 0
	v_fma_f32 v23, -v15, v16, 1.0
	v_fmac_f32_e32 v16, v23, v16
	v_div_scale_f32 v23, vcc, v9, v27, v9
	v_mul_f32_e32 v25, v23, v16
	v_fma_f32 v26, -v15, v25, v23
	v_fmac_f32_e32 v25, v26, v16
	v_fma_f32 v15, -v15, v25, v23
	v_div_fmas_f32 v15, v15, v16, v25
	v_div_fixup_f32 v15, v15, v27, v9
.LBB14_65:
	s_andn2_saveexec_b64 s[0:1], s[0:1]
; %bb.66:
	v_mov_b32_e32 v9, 1.0
	v_fmamk_f32 v15, v14, 0xbe800000, v9
; %bb.67:
	s_or_b64 exec, exec, s[0:1]
	v_add_f32_e32 v9, 0x4673a1bf, v24
	v_fmaak_f32 v9, v14, v9, 0xcb5fc0fa
	v_add_f32_e32 v16, 0x44822913, v24
	v_fmaak_f32 v9, v14, v9, 0x4fa1fbc8
	v_fmaak_f32 v16, v14, v16, 0x4918dbb5
	;; [unrolled: 1-line block ×12, first 2 shown]
	v_div_scale_f32 v14, s[0:1], v16, v16, v9
	v_rcp_f32_e32 v23, v14
	s_mov_b32 s0, 0x800000
	v_cmp_gt_f32_e64 s[0:1], s0, v17
	s_mov_b32 s10, 0x3f317217
	v_fma_f32 v24, -v14, v23, 1.0
	v_fmac_f32_e32 v23, v24, v23
	v_div_scale_f32 v24, vcc, v9, v16, v9
	v_mul_f32_e32 v25, v24, v23
	v_fma_f32 v26, -v14, v25, v24
	v_fmac_f32_e32 v25, v26, v23
	v_fma_f32 v14, -v14, v25, v24
	v_mov_b32_e32 v24, 0x4f800000
	v_cndmask_b32_e64 v24, 1.0, v24, s[0:1]
	v_mul_f32_e32 v17, v17, v24
	v_log_f32_e32 v17, v17
	v_div_fmas_f32 v14, v14, v23, v25
	v_div_fixup_f32 v9, v14, v16, v9
	v_mul_f32_e32 v14, 0x3f317217, v17
	v_fma_f32 v16, v17, s10, -v14
	v_fmamk_f32 v16, v17, 0x3377d1cf, v16
	s_mov_b32 s10, 0x7f800000
	v_add_f32_e32 v14, v14, v16
	v_cmp_lt_f32_e64 vcc, |v17|, s10
	v_mov_b32_e32 v16, 0x41b17218
	v_cndmask_b32_e64 v16, 0, v16, s[0:1]
	v_cndmask_b32_e32 v14, v17, v14, vcc
	v_sub_f32_e32 v14, v14, v16
	v_mul_f32_e32 v14, 0x3f22f983, v14
	v_fmac_f32_e32 v9, v14, v15
.LBB14_68:
	s_or_b64 exec, exec, s[8:9]
.LBB14_69:
	s_or_b64 exec, exec, s[4:5]
                                        ; implicit-def: $vgpr14_vgpr15_vgpr16_vgpr17
.LBB14_70:
	s_andn2_saveexec_b64 s[8:9], s[2:3]
	s_cbranch_execz .LBB14_80
; %bb.71:
	v_add_f32_e32 v9, 0xbf490fdb, v17
	v_and_b32_e32 v14, 0x7fffffff, v9
	s_brev_b32 s0, 18
	v_cmp_nlt_f32_e64 s[10:11], |v9|, s0
	v_lshrrev_b32_e32 v25, 23, v14
                                        ; implicit-def: $vgpr15
                                        ; implicit-def: $vgpr16
	s_and_saveexec_b64 s[0:1], s[10:11]
	s_xor_b64 s[12:13], exec, s[0:1]
	s_cbranch_execz .LBB14_73
; %bb.72:
	v_add_u32_e32 v15, 0xffffff88, v25
	v_not_b32_e32 v16, 63
	v_cmp_lt_u32_e32 vcc, 63, v15
	s_mov_b32 s4, 0xfe5163ab
	v_mov_b32_e32 v27, 0
	v_cndmask_b32_e32 v16, 0, v16, vcc
	v_add_u32_e32 v15, v16, v15
	v_not_b32_e32 v16, 31
	v_cmp_lt_u32_e64 s[0:1], 31, v15
	s_nop 1
	v_cndmask_b32_e64 v23, 0, v16, s[0:1]
	v_add_u32_e32 v15, v23, v15
	v_cmp_lt_u32_e64 s[2:3], 31, v15
	s_nop 1
	v_cndmask_b32_e64 v16, 0, v16, s[2:3]
	v_add_u32_e32 v15, v16, v15
	v_and_b32_e32 v16, 0x7fffff, v14
	v_or_b32_e32 v16, 0x800000, v16
	v_mad_u64_u32 v[28:29], s[4:5], v16, s4, 0
	v_mov_b32_e32 v26, v29
	s_mov_b32 s4, 0x3c439041
	v_mad_u64_u32 v[30:31], s[4:5], v16, s4, v[26:27]
	v_mov_b32_e32 v26, v31
	s_mov_b32 s4, 0xdb629599
	;; [unrolled: 3-line block ×6, first 2 shown]
	v_mad_u64_u32 v[26:27], s[4:5], v16, s4, v[26:27]
	v_cndmask_b32_e32 v23, v38, v34, vcc
	v_cndmask_b32_e32 v16, v26, v36, vcc
	;; [unrolled: 1-line block ×3, first 2 shown]
	v_cndmask_b32_e64 v24, v16, v23, s[0:1]
	v_cndmask_b32_e64 v16, v26, v16, s[0:1]
	v_cndmask_b32_e32 v26, v36, v32, vcc
	v_cndmask_b32_e64 v23, v23, v26, s[0:1]
	v_cndmask_b32_e64 v16, v16, v24, s[2:3]
	;; [unrolled: 1-line block ×3, first 2 shown]
	v_sub_u32_e32 v27, 32, v15
	v_alignbit_b32 v29, v16, v24, v27
	v_cmp_eq_u32_e64 s[4:5], 0, v15
	v_cndmask_b32_e32 v28, v32, v28, vcc
	s_nop 0
	v_cndmask_b32_e64 v15, v29, v16, s[4:5]
	v_cndmask_b32_e32 v16, v34, v30, vcc
	v_cndmask_b32_e64 v26, v26, v16, s[0:1]
	v_cndmask_b32_e64 v23, v23, v26, s[2:3]
	v_alignbit_b32 v29, v24, v23, v27
	v_cndmask_b32_e64 v24, v29, v24, s[4:5]
	v_bfe_u32 v31, v15, 29, 1
	v_cndmask_b32_e64 v16, v16, v28, s[0:1]
	v_alignbit_b32 v29, v15, v24, 30
	v_sub_u32_e32 v33, 0, v31
	v_cndmask_b32_e64 v16, v26, v16, s[2:3]
	v_xor_b32_e32 v34, v29, v33
	v_alignbit_b32 v26, v23, v16, v27
	v_cndmask_b32_e64 v23, v26, v23, s[4:5]
	v_ffbh_u32_e32 v26, v34
	v_add_u32_e32 v26, 1, v26
	v_cmp_ne_u32_e32 vcc, v29, v33
	v_alignbit_b32 v24, v24, v23, 30
	v_alignbit_b32 v16, v23, v16, 30
	v_cndmask_b32_e32 v26, 33, v26, vcc
	v_xor_b32_e32 v24, v24, v33
	v_sub_u32_e32 v27, 32, v26
	v_xor_b32_e32 v16, v16, v33
	v_alignbit_b32 v28, v34, v24, v27
	v_alignbit_b32 v16, v24, v16, v27
	;; [unrolled: 1-line block ×3, first 2 shown]
	v_ffbh_u32_e32 v24, v23
	v_min_u32_e32 v24, 32, v24
	v_lshrrev_b32_e32 v30, 29, v15
	v_sub_u32_e32 v27, 31, v24
	v_alignbit_b32 v16, v23, v16, v27
	v_lshlrev_b32_e32 v23, 31, v30
	v_or_b32_e32 v27, 0x33800000, v23
	v_add_lshl_u32 v24, v24, v26, 23
	v_lshrrev_b32_e32 v16, 9, v16
	v_sub_u32_e32 v24, v27, v24
	v_or_b32_e32 v16, v24, v16
	v_alignbit_b32 v24, v26, v28, 9
	v_or_b32_e32 v23, v24, v23
	v_xor_b32_e32 v23, 1.0, v23
	s_mov_b32 s0, 0x3fc90fda
	v_mul_f32_e32 v24, 0x3fc90fda, v23
	v_fma_f32 v26, v23, s0, -v24
	v_fmamk_f32 v23, v23, 0x33a22168, v26
	v_fmac_f32_e32 v23, 0x3fc90fda, v16
	v_lshrrev_b32_e32 v15, 30, v15
	v_add_f32_e32 v16, v24, v23
	v_add_u32_e32 v15, v31, v15
	s_andn2_saveexec_b64 s[0:1], s[12:13]
	s_branch .LBB14_74
.LBB14_73:
	s_andn2_saveexec_b64 s[0:1], s[12:13]
.LBB14_74:
	s_mov_b32 s2, 0x3f22f983
	v_mul_f32_e64 v15, |v9|, s2
	v_rndne_f32_e32 v16, v15
	s_mov_b32 s2, 0xbfc90fda
	v_cvt_i32_f32_e32 v15, v16
	v_fma_f32 v23, v16, s2, |v9|
	v_fmamk_f32 v23, v16, 0xb3a22168, v23
	v_fmamk_f32 v16, v16, 0xa7c234c4, v23
; %bb.75:
	s_or_b64 exec, exec, s[0:1]
                                        ; implicit-def: $vgpr23
                                        ; implicit-def: $vgpr24
	s_and_saveexec_b64 s[0:1], s[10:11]
	s_xor_b64 s[10:11], exec, s[0:1]
	s_cbranch_execz .LBB14_77
; %bb.76:
	v_add_u32_e32 v23, 0xffffff88, v25
	v_not_b32_e32 v24, 63
	v_cmp_lt_u32_e32 vcc, 63, v23
	s_mov_b32 s4, 0xfe5163ab
	v_mov_b32_e32 v25, 0
	v_cndmask_b32_e32 v24, 0, v24, vcc
	v_add_u32_e32 v23, v24, v23
	v_not_b32_e32 v24, 31
	v_cmp_lt_u32_e64 s[0:1], 31, v23
	s_nop 1
	v_cndmask_b32_e64 v26, 0, v24, s[0:1]
	v_add_u32_e32 v23, v26, v23
	v_cmp_lt_u32_e64 s[2:3], 31, v23
	s_nop 1
	v_cndmask_b32_e64 v24, 0, v24, s[2:3]
	v_add_u32_e32 v23, v24, v23
	v_and_b32_e32 v24, 0x7fffff, v14
	v_or_b32_e32 v38, 0x800000, v24
	v_mad_u64_u32 v[26:27], s[4:5], v38, s4, 0
	v_mov_b32_e32 v24, v27
	s_mov_b32 s4, 0x3c439041
	v_mad_u64_u32 v[28:29], s[4:5], v38, s4, v[24:25]
	v_mov_b32_e32 v24, v29
	s_mov_b32 s4, 0xdb629599
	;; [unrolled: 3-line block ×6, first 2 shown]
	v_mad_u64_u32 v[24:25], s[4:5], v38, s4, v[24:25]
	v_cndmask_b32_e32 v27, v36, v32, vcc
	v_cndmask_b32_e32 v24, v24, v34, vcc
	;; [unrolled: 1-line block ×3, first 2 shown]
	v_cndmask_b32_e64 v29, v24, v27, s[0:1]
	v_cndmask_b32_e64 v24, v25, v24, s[0:1]
	v_cndmask_b32_e32 v25, v34, v30, vcc
	v_cndmask_b32_e64 v27, v27, v25, s[0:1]
	v_cndmask_b32_e64 v24, v24, v29, s[2:3]
	;; [unrolled: 1-line block ×3, first 2 shown]
	v_sub_u32_e32 v31, 32, v23
	v_alignbit_b32 v33, v24, v29, v31
	v_cmp_eq_u32_e64 s[4:5], 0, v23
	v_cndmask_b32_e32 v26, v30, v26, vcc
	s_nop 0
	v_cndmask_b32_e64 v23, v33, v24, s[4:5]
	v_cndmask_b32_e32 v24, v32, v28, vcc
	v_cndmask_b32_e64 v25, v25, v24, s[0:1]
	v_cndmask_b32_e64 v27, v27, v25, s[2:3]
	v_alignbit_b32 v28, v29, v27, v31
	v_cndmask_b32_e64 v28, v28, v29, s[4:5]
	v_bfe_u32 v33, v23, 29, 1
	v_cndmask_b32_e64 v24, v24, v26, s[0:1]
	v_alignbit_b32 v29, v23, v28, 30
	v_sub_u32_e32 v34, 0, v33
	v_cndmask_b32_e64 v24, v25, v24, s[2:3]
	v_xor_b32_e32 v35, v29, v34
	v_alignbit_b32 v25, v27, v24, v31
	v_cndmask_b32_e64 v25, v25, v27, s[4:5]
	v_ffbh_u32_e32 v27, v35
	v_add_u32_e32 v27, 1, v27
	v_cmp_ne_u32_e32 vcc, v29, v34
	v_alignbit_b32 v26, v28, v25, 30
	v_alignbit_b32 v24, v25, v24, 30
	v_cndmask_b32_e32 v27, 33, v27, vcc
	v_xor_b32_e32 v26, v26, v34
	v_sub_u32_e32 v28, 32, v27
	v_xor_b32_e32 v24, v24, v34
	v_alignbit_b32 v29, v35, v26, v28
	v_alignbit_b32 v24, v26, v24, v28
	;; [unrolled: 1-line block ×3, first 2 shown]
	v_ffbh_u32_e32 v26, v25
	v_min_u32_e32 v26, 32, v26
	v_lshrrev_b32_e32 v32, 29, v23
	v_sub_u32_e32 v28, 31, v26
	v_alignbit_b32 v24, v25, v24, v28
	v_lshlrev_b32_e32 v25, 31, v32
	v_or_b32_e32 v28, 0x33800000, v25
	v_add_lshl_u32 v26, v26, v27, 23
	v_lshrrev_b32_e32 v24, 9, v24
	v_sub_u32_e32 v26, v28, v26
	v_or_b32_e32 v24, v26, v24
	v_alignbit_b32 v26, v27, v29, 9
	v_or_b32_e32 v25, v26, v25
	v_xor_b32_e32 v25, 1.0, v25
	s_mov_b32 s0, 0x3fc90fda
	v_mul_f32_e32 v26, 0x3fc90fda, v25
	v_fma_f32 v27, v25, s0, -v26
	v_fmamk_f32 v25, v25, 0x33a22168, v27
	v_fmac_f32_e32 v25, 0x3fc90fda, v24
	v_lshrrev_b32_e32 v23, 30, v23
	v_add_f32_e32 v24, v26, v25
	v_add_u32_e32 v23, v33, v23
	s_andn2_saveexec_b64 s[0:1], s[10:11]
	s_cbranch_execnz .LBB14_78
	s_branch .LBB14_79
.LBB14_77:
	s_andn2_saveexec_b64 s[0:1], s[10:11]
.LBB14_78:
	s_mov_b32 s2, 0x3f22f983
	v_mul_f32_e64 v23, |v9|, s2
	v_rndne_f32_e32 v24, v23
	s_mov_b32 s2, 0xbfc90fda
	v_cvt_i32_f32_e32 v23, v24
	v_fma_f32 v25, v24, s2, |v9|
	v_fmamk_f32 v25, v24, 0xb3a22168, v25
	v_fmamk_f32 v24, v24, 0xa7c234c4, v25
.LBB14_79:
	s_or_b64 exec, exec, s[0:1]
	v_mul_f32_e32 v25, v17, v17
	s_mov_b32 s2, 0x41c80000
	v_div_scale_f32 v26, s[0:1], v25, v25, s2
	v_rcp_f32_e32 v27, v26
	v_xor_b32_e32 v14, v14, v9
	s_mov_b32 s4, 0x40a00000
	v_mov_b32_e32 v34, 0xbf000004
	v_fma_f32 v28, -v26, v27, 1.0
	v_fmac_f32_e32 v27, v28, v27
	v_div_scale_f32 v28, vcc, s2, v25, s2
	v_mul_f32_e32 v29, v28, v27
	v_fma_f32 v30, -v26, v29, v28
	v_fmac_f32_e32 v29, v30, v27
	v_fma_f32 v26, -v26, v29, v28
	v_div_fmas_f32 v26, v26, v27, v29
	v_div_fixup_f32 v25, v26, v25, s2
	v_mov_b32_e32 v26, 0x3a50e985
	v_mov_b32_e32 v27, 0x3a725406
	v_fmac_f32_e32 v26, 0, v25
	v_fmac_f32_e32 v27, 0, v25
	v_fmaak_f32 v26, v25, v26, 0x3da9a586
	v_fmaak_f32 v27, v25, v27, 0x3daf5e2d
	;; [unrolled: 1-line block ×8, first 2 shown]
	v_mov_b32_e32 v28, 0xbc3a3a12
	v_fmaak_f32 v26, v25, v26, 0x40a9b425
	v_fmaak_f32 v27, v25, v27, 0x40a9cb2f
	v_fmac_f32_e32 v28, 0, v25
	v_mov_b32_e32 v29, 0x4280a2ba
	v_fma_f32 v27, v25, v27, 1.0
	v_fmaak_f32 v28, v25, v28, 0xbfa429da
	v_fmac_f32_e32 v29, 0, v25
	v_fma_f32 v26, v25, v26, 1.0
	v_fmaak_f32 v28, v25, v28, 0xc19c6e80
	v_fmaak_f32 v29, v25, v29, 0x44561b86
	v_div_scale_f32 v30, s[0:1], v27, v27, v26
	v_fmaak_f32 v28, v25, v28, 0xc2ba697b
	v_fmaak_f32 v29, v25, v29, 0x4572a66e
	v_rcp_f32_e32 v31, v30
	v_fmaak_f32 v28, v25, v28, 0xc331ae61
	v_fmaak_f32 v29, v25, v29, 0x45e243be
	;; [unrolled: 1-line block ×8, first 2 shown]
	v_fma_f32 v29, -v30, v31, 1.0
	v_fmac_f32_e32 v31, v29, v31
	v_div_scale_f32 v29, vcc, v26, v27, v26
	v_mul_f32_e32 v32, v29, v31
	v_fma_f32 v33, -v30, v32, v29
	v_fmac_f32_e32 v32, v33, v31
	v_fma_f32 v29, -v30, v32, v29
	v_div_fmas_f32 v29, v29, v31, v32
	v_div_fixup_f32 v26, v29, v27, v26
	v_mul_f32_e32 v27, v16, v16
	v_mov_b32_e32 v29, 0x3c0881c4
	v_fmamk_f32 v30, v27, 0xb94c1982, v29
	v_fmaak_f32 v30, v27, v30, 0xbe2aaa9d
	v_mul_f32_e32 v30, v27, v30
	v_fmac_f32_e32 v16, v16, v30
	v_mov_b32_e32 v30, 0xbab64f3b
	v_fmamk_f32 v32, v27, 0x37d75334, v30
	v_fmaak_f32 v32, v27, v32, 0x3d2aabf7
	v_fmaak_f32 v32, v27, v32, 0xbf000004
	v_fma_f32 v27, v27, v32, 1.0
	v_and_b32_e32 v32, 1, v15
	v_lshlrev_b32_e32 v15, 30, v15
	v_cmp_eq_u32_e32 vcc, 0, v32
	v_and_b32_e32 v15, 0x80000000, v15
	v_xor_b32_e32 v14, v14, v15
	v_cndmask_b32_e32 v16, v27, v16, vcc
	v_div_scale_f32 v15, s[0:1], v17, v17, s4
	v_xor_b32_e32 v14, v14, v16
	v_rcp_f32_e32 v16, v15
	s_movk_i32 s2, 0x1f8
	v_mov_b32_e32 v27, 0x7fc00000
	v_cmp_class_f32_e64 s[0:1], v9, s2
	v_mov_b32_e32 v31, 0xbe2aaa9d
	v_mov_b32_e32 v33, 0x3d2aabf7
	v_cndmask_b32_e64 v9, v27, v14, s[0:1]
	v_fma_f32 v14, -v15, v16, 1.0
	v_fmac_f32_e32 v16, v14, v16
	v_div_scale_f32 v14, vcc, s4, v17, s4
	v_mul_f32_e32 v32, v14, v16
	v_fma_f32 v35, -v15, v32, v14
	v_fmac_f32_e32 v32, v35, v16
	v_fma_f32 v14, -v15, v32, v14
	v_div_scale_f32 v15, s[2:3], v25, v25, v28
	v_rcp_f32_e32 v35, v15
	v_div_fmas_f32 v14, v14, v16, v32
	v_div_fixup_f32 v14, v14, v17, s4
	v_fma_f32 v16, -v15, v35, 1.0
	v_fmac_f32_e32 v35, v16, v35
	v_div_scale_f32 v16, vcc, v28, v25, v28
	v_mul_f32_e32 v32, v16, v35
	v_fma_f32 v36, -v15, v32, v16
	v_fmac_f32_e32 v32, v36, v35
	v_fma_f32 v15, -v15, v32, v16
	v_div_fmas_f32 v15, v15, v35, v32
	v_div_fixup_f32 v15, v15, v25, v28
	v_mul_f32_e32 v14, v14, v15
	v_mul_f32_e32 v15, v24, v24
	v_fmac_f32_e32 v29, 0xb94c1982, v15
	v_fmac_f32_e32 v31, v15, v29
	;; [unrolled: 1-line block ×3, first 2 shown]
	v_mul_f32_e32 v16, v15, v31
	v_fmac_f32_e32 v33, v15, v30
	v_fmac_f32_e32 v24, v24, v16
	v_fmac_f32_e32 v34, v15, v33
	v_and_b32_e32 v16, 1, v23
	v_fma_f32 v15, v15, v34, 1.0
	v_cmp_eq_u32_e32 vcc, 0, v16
	v_lshlrev_b32_e32 v16, 30, v23
	v_and_b32_e32 v16, 0x80000000, v16
	v_cndmask_b32_e64 v15, -v24, v15, vcc
	v_xor_b32_e32 v15, v16, v15
	v_cndmask_b32_e64 v15, v27, v15, s[0:1]
	s_mov_b32 s0, 0xf800000
	v_mul_f32_e32 v16, 0x4f800000, v17
	v_cmp_gt_f32_e32 vcc, s0, v17
	v_mul_f32_e32 v14, v14, v15
	v_fmac_f32_e32 v14, v26, v9
	v_cndmask_b32_e32 v16, v17, v16, vcc
	v_sqrt_f32_e32 v17, v16
	v_mul_f32_e32 v9, 0x3f4c422a, v14
	v_add_u32_e32 v14, -1, v17
	v_fma_f32 v15, -v14, v17, v16
	v_cmp_ge_f32_e64 s[0:1], 0, v15
	v_add_u32_e32 v15, 1, v17
	s_nop 0
	v_cndmask_b32_e64 v14, v17, v14, s[0:1]
	v_fma_f32 v17, -v15, v17, v16
	v_cmp_lt_f32_e64 s[0:1], 0, v17
	s_nop 1
	v_cndmask_b32_e64 v14, v14, v15, s[0:1]
	v_mul_f32_e32 v15, 0x37800000, v14
	v_cndmask_b32_e32 v14, v14, v15, vcc
	v_mov_b32_e32 v15, 0x260
	v_cmp_class_f32_e32 vcc, v16, v15
	s_nop 1
	v_cndmask_b32_e32 v14, v14, v16, vcc
	v_div_scale_f32 v15, s[0:1], v14, v14, v9
	v_rcp_f32_e32 v16, v15
	s_nop 0
	v_fma_f32 v17, -v15, v16, 1.0
	v_fmac_f32_e32 v16, v17, v16
	v_div_scale_f32 v17, vcc, v9, v14, v9
	v_mul_f32_e32 v23, v17, v16
	v_fma_f32 v24, -v15, v23, v17
	v_fmac_f32_e32 v23, v24, v16
	v_fma_f32 v15, -v15, v23, v17
	v_div_fmas_f32 v15, v15, v16, v23
	v_div_fixup_f32 v9, v15, v14, v9
.LBB14_80:
	s_or_b64 exec, exec, s[8:9]
	s_mov_b32 s0, 0x40a00000
	v_cmp_ge_f32_e32 vcc, s0, v18
                                        ; implicit-def: $vgpr14
	s_and_saveexec_b64 s[0:1], vcc
	s_xor_b64 s[2:3], exec, s[0:1]
	s_cbranch_execz .LBB14_90
; %bb.81:
	v_cmp_neq_f32_e32 vcc, 0, v18
	v_mov_b32_e32 v14, 0xff800000
	s_and_saveexec_b64 s[4:5], vcc
	s_cbranch_execz .LBB14_89
; %bb.82:
	v_cmp_ngt_f32_e32 vcc, 0, v18
	v_mov_b32_e32 v14, 0x7fc00000
	s_and_saveexec_b64 s[8:9], vcc
	s_cbranch_execz .LBB14_88
; %bb.83:
	v_mul_f32_e32 v14, v18, v18
	s_mov_b32 s0, 0x3727c5ac
	v_mul_f32_e32 v16, 0, v14
	v_cmp_ngt_f32_e32 vcc, s0, v18
                                        ; implicit-def: $vgpr15
	s_and_saveexec_b64 s[0:1], vcc
	s_xor_b64 s[0:1], exec, s[0:1]
	s_cbranch_execz .LBB14_85
; %bb.84:
	v_add_f32_e32 v15, 0x43f9c815, v16
	v_fmaak_f32 v15, v14, v15, 0x4829b65a
	v_fmaak_f32 v15, v14, v15, 0x4c38c9a1
	;; [unrolled: 1-line block ×3, first 2 shown]
	s_mov_b32 s10, 0xcf8ee29d
	v_mul_f32_e32 v17, v14, v15
	s_mov_b32 s11, 0x53f5f59c
	v_pk_add_f32 v[24:25], v[16:17], s[10:11]
	s_mov_b32 s10, 0x53e3ba8e
	s_mov_b32 s11, 0x578d3514
	v_pk_fma_f32 v[24:25], v[14:15], v[24:25], s[10:11] op_sel_hi:[0,1,1]
	s_mov_b32 s10, 0xd762b0a7
	s_mov_b32 s11, 0x5ae20a0c
	v_pk_fma_f32 v[24:25], v[14:15], v[24:25], s[10:11] op_sel_hi:[0,1,1]
	;; [unrolled: 3-line block ×3, first 2 shown]
	s_mov_b32 s10, 0xc0b90fdc
	s_mov_b32 s11, 0xc1f3c525
	v_pk_add_f32 v[26:27], v[14:15], s[10:11] op_sel_hi:[0,1]
	v_mul_f32_e32 v15, v26, v27
	v_mul_f32_e32 v15, v15, v24
	v_div_scale_f32 v17, s[10:11], v25, v25, v15
	v_rcp_f32_e32 v23, v17
	s_nop 0
	v_fma_f32 v24, -v17, v23, 1.0
	v_fmac_f32_e32 v23, v24, v23
	v_div_scale_f32 v24, vcc, v15, v25, v15
	v_mul_f32_e32 v26, v24, v23
	v_fma_f32 v27, -v17, v26, v24
	v_fmac_f32_e32 v26, v27, v23
	v_fma_f32 v17, -v17, v26, v24
	v_div_fmas_f32 v17, v17, v23, v26
	v_div_fixup_f32 v15, v17, v25, v15
.LBB14_85:
	s_andn2_saveexec_b64 s[0:1], s[0:1]
; %bb.86:
	v_mov_b32_e32 v15, 1.0
	v_fmamk_f32 v15, v14, 0xbe800000, v15
; %bb.87:
	s_or_b64 exec, exec, s[0:1]
	v_add_f32_e32 v17, 0x4673a1bf, v16
	v_fmaak_f32 v17, v14, v17, 0xcb5fc0fa
	v_add_f32_e32 v16, 0x44822913, v16
	v_fmaak_f32 v17, v14, v17, 0x4fa1fbc8
	v_fmaak_f32 v16, v14, v16, 0x4918dbb5
	;; [unrolled: 1-line block ×12, first 2 shown]
	v_div_scale_f32 v17, s[0:1], v16, v16, v14
	v_rcp_f32_e32 v23, v17
	s_mov_b32 s0, 0x800000
	v_cmp_gt_f32_e64 s[0:1], s0, v18
	s_mov_b32 s10, 0x3f317217
	v_fma_f32 v24, -v17, v23, 1.0
	v_fmac_f32_e32 v23, v24, v23
	v_div_scale_f32 v24, vcc, v14, v16, v14
	v_mul_f32_e32 v25, v24, v23
	v_fma_f32 v26, -v17, v25, v24
	v_fmac_f32_e32 v25, v26, v23
	v_fma_f32 v17, -v17, v25, v24
	v_mov_b32_e32 v24, 0x4f800000
	v_cndmask_b32_e64 v24, 1.0, v24, s[0:1]
	v_mul_f32_e32 v24, v18, v24
	v_log_f32_e32 v24, v24
	v_div_fmas_f32 v17, v17, v23, v25
	v_div_fixup_f32 v14, v17, v16, v14
	v_mul_f32_e32 v16, 0x3f317217, v24
	v_fma_f32 v17, v24, s10, -v16
	v_fmamk_f32 v17, v24, 0x3377d1cf, v17
	s_mov_b32 s10, 0x7f800000
	v_add_f32_e32 v16, v16, v17
	v_cmp_lt_f32_e64 vcc, |v24|, s10
	v_mov_b32_e32 v17, 0x41b17218
	v_cndmask_b32_e64 v17, 0, v17, s[0:1]
	v_cndmask_b32_e32 v16, v24, v16, vcc
	v_sub_f32_e32 v16, v16, v17
	v_mul_f32_e32 v16, 0x3f22f983, v16
	v_fmac_f32_e32 v14, v16, v15
.LBB14_88:
	s_or_b64 exec, exec, s[8:9]
.LBB14_89:
	s_or_b64 exec, exec, s[4:5]
.LBB14_90:
	s_andn2_saveexec_b64 s[8:9], s[2:3]
	s_cbranch_execz .LBB14_100
; %bb.91:
	v_add_f32_e32 v14, 0xbf490fdb, v18
	v_and_b32_e32 v15, 0x7fffffff, v14
	s_brev_b32 s0, 18
	v_cmp_nlt_f32_e64 s[10:11], |v14|, s0
	v_lshrrev_b32_e32 v25, 23, v15
                                        ; implicit-def: $vgpr16
                                        ; implicit-def: $vgpr17
	s_and_saveexec_b64 s[0:1], s[10:11]
	s_xor_b64 s[12:13], exec, s[0:1]
	s_cbranch_execz .LBB14_93
; %bb.92:
	v_add_u32_e32 v16, 0xffffff88, v25
	v_not_b32_e32 v23, 63
	v_cmp_lt_u32_e32 vcc, 63, v16
	s_mov_b32 s4, 0xfe5163ab
	v_mov_b32_e32 v17, 0
	v_cndmask_b32_e32 v23, 0, v23, vcc
	v_add_u32_e32 v16, v23, v16
	v_not_b32_e32 v23, 31
	v_cmp_lt_u32_e64 s[0:1], 31, v16
	s_nop 1
	v_cndmask_b32_e64 v24, 0, v23, s[0:1]
	v_add_u32_e32 v16, v24, v16
	v_cmp_lt_u32_e64 s[2:3], 31, v16
	s_nop 1
	v_cndmask_b32_e64 v23, 0, v23, s[2:3]
	v_add_u32_e32 v23, v23, v16
	v_and_b32_e32 v16, 0x7fffff, v15
	v_or_b32_e32 v24, 0x800000, v16
	v_mad_u64_u32 v[26:27], s[4:5], v24, s4, 0
	v_mov_b32_e32 v16, v27
	s_mov_b32 s4, 0x3c439041
	v_mad_u64_u32 v[28:29], s[4:5], v24, s4, v[16:17]
	v_mov_b32_e32 v16, v29
	s_mov_b32 s4, 0xdb629599
	;; [unrolled: 3-line block ×6, first 2 shown]
	v_mad_u64_u32 v[16:17], s[4:5], v24, s4, v[16:17]
	v_cndmask_b32_e32 v27, v36, v32, vcc
	v_cndmask_b32_e32 v16, v16, v34, vcc
	;; [unrolled: 1-line block ×3, first 2 shown]
	v_cndmask_b32_e64 v24, v16, v27, s[0:1]
	v_cndmask_b32_e64 v16, v17, v16, s[0:1]
	v_cndmask_b32_e32 v17, v34, v30, vcc
	v_cndmask_b32_e64 v27, v27, v17, s[0:1]
	v_sub_u32_e32 v29, 32, v23
	v_cmp_eq_u32_e64 s[4:5], 0, v23
	v_cndmask_b32_e32 v23, v32, v28, vcc
	v_cndmask_b32_e64 v16, v16, v24, s[2:3]
	v_cndmask_b32_e64 v24, v24, v27, s[2:3]
	;; [unrolled: 1-line block ×3, first 2 shown]
	v_alignbit_b32 v31, v16, v24, v29
	v_cndmask_b32_e64 v27, v27, v17, s[2:3]
	v_cndmask_b32_e64 v16, v31, v16, s[4:5]
	v_alignbit_b32 v28, v24, v27, v29
	v_cndmask_b32_e64 v24, v28, v24, s[4:5]
	v_bfe_u32 v32, v16, 29, 1
	v_cndmask_b32_e32 v26, v30, v26, vcc
	v_alignbit_b32 v28, v16, v24, 30
	v_sub_u32_e32 v33, 0, v32
	v_cndmask_b32_e64 v23, v23, v26, s[0:1]
	v_xor_b32_e32 v34, v28, v33
	v_cndmask_b32_e64 v17, v17, v23, s[2:3]
	v_alignbit_b32 v23, v27, v17, v29
	v_ffbh_u32_e32 v26, v34
	v_cndmask_b32_e64 v23, v23, v27, s[4:5]
	v_add_u32_e32 v26, 1, v26
	v_cmp_ne_u32_e32 vcc, v28, v33
	v_alignbit_b32 v24, v24, v23, 30
	v_alignbit_b32 v17, v23, v17, 30
	v_cndmask_b32_e32 v26, 33, v26, vcc
	v_xor_b32_e32 v24, v24, v33
	v_sub_u32_e32 v27, 32, v26
	v_xor_b32_e32 v17, v17, v33
	v_alignbit_b32 v28, v34, v24, v27
	v_alignbit_b32 v17, v24, v17, v27
	v_alignbit_b32 v23, v28, v17, 9
	v_ffbh_u32_e32 v24, v23
	v_min_u32_e32 v24, 32, v24
	v_lshrrev_b32_e32 v31, 29, v16
	v_sub_u32_e32 v27, 31, v24
	v_alignbit_b32 v17, v23, v17, v27
	v_lshlrev_b32_e32 v23, 31, v31
	v_or_b32_e32 v27, 0x33800000, v23
	v_add_lshl_u32 v24, v24, v26, 23
	v_lshrrev_b32_e32 v17, 9, v17
	v_sub_u32_e32 v24, v27, v24
	v_or_b32_e32 v17, v24, v17
	v_alignbit_b32 v24, v26, v28, 9
	v_or_b32_e32 v23, v24, v23
	v_xor_b32_e32 v23, 1.0, v23
	s_mov_b32 s0, 0x3fc90fda
	v_mul_f32_e32 v24, 0x3fc90fda, v23
	v_fma_f32 v26, v23, s0, -v24
	v_fmamk_f32 v23, v23, 0x33a22168, v26
	v_fmac_f32_e32 v23, 0x3fc90fda, v17
	v_lshrrev_b32_e32 v16, 30, v16
	v_add_f32_e32 v17, v24, v23
	v_add_u32_e32 v16, v32, v16
	s_andn2_saveexec_b64 s[0:1], s[12:13]
	s_branch .LBB14_94
.LBB14_93:
	s_andn2_saveexec_b64 s[0:1], s[12:13]
.LBB14_94:
	s_mov_b32 s2, 0x3f22f983
	v_mul_f32_e64 v16, |v14|, s2
	v_rndne_f32_e32 v17, v16
	s_mov_b32 s2, 0xbfc90fda
	v_cvt_i32_f32_e32 v16, v17
	v_fma_f32 v23, v17, s2, |v14|
	v_fmamk_f32 v23, v17, 0xb3a22168, v23
	v_fmamk_f32 v17, v17, 0xa7c234c4, v23
; %bb.95:
	s_or_b64 exec, exec, s[0:1]
                                        ; implicit-def: $vgpr23
                                        ; implicit-def: $vgpr24
	s_and_saveexec_b64 s[0:1], s[10:11]
	s_xor_b64 s[10:11], exec, s[0:1]
	s_cbranch_execz .LBB14_97
; %bb.96:
	v_add_u32_e32 v23, 0xffffff88, v25
	v_not_b32_e32 v24, 63
	v_cmp_lt_u32_e32 vcc, 63, v23
	s_mov_b32 s4, 0xfe5163ab
	v_mov_b32_e32 v25, 0
	v_cndmask_b32_e32 v24, 0, v24, vcc
	v_add_u32_e32 v23, v24, v23
	v_not_b32_e32 v24, 31
	v_cmp_lt_u32_e64 s[0:1], 31, v23
	s_nop 1
	v_cndmask_b32_e64 v26, 0, v24, s[0:1]
	v_add_u32_e32 v23, v26, v23
	v_cmp_lt_u32_e64 s[2:3], 31, v23
	s_nop 1
	v_cndmask_b32_e64 v24, 0, v24, s[2:3]
	v_add_u32_e32 v23, v24, v23
	v_and_b32_e32 v24, 0x7fffff, v15
	v_or_b32_e32 v38, 0x800000, v24
	v_mad_u64_u32 v[26:27], s[4:5], v38, s4, 0
	v_mov_b32_e32 v24, v27
	s_mov_b32 s4, 0x3c439041
	v_mad_u64_u32 v[28:29], s[4:5], v38, s4, v[24:25]
	v_mov_b32_e32 v24, v29
	s_mov_b32 s4, 0xdb629599
	;; [unrolled: 3-line block ×6, first 2 shown]
	v_mad_u64_u32 v[24:25], s[4:5], v38, s4, v[24:25]
	v_cndmask_b32_e32 v27, v36, v32, vcc
	v_cndmask_b32_e32 v24, v24, v34, vcc
	;; [unrolled: 1-line block ×3, first 2 shown]
	v_cndmask_b32_e64 v29, v24, v27, s[0:1]
	v_cndmask_b32_e64 v24, v25, v24, s[0:1]
	v_cndmask_b32_e32 v25, v34, v30, vcc
	v_cndmask_b32_e64 v27, v27, v25, s[0:1]
	v_cndmask_b32_e64 v24, v24, v29, s[2:3]
	;; [unrolled: 1-line block ×3, first 2 shown]
	v_sub_u32_e32 v31, 32, v23
	v_alignbit_b32 v33, v24, v29, v31
	v_cmp_eq_u32_e64 s[4:5], 0, v23
	v_cndmask_b32_e32 v26, v30, v26, vcc
	s_nop 0
	v_cndmask_b32_e64 v23, v33, v24, s[4:5]
	v_cndmask_b32_e32 v24, v32, v28, vcc
	v_cndmask_b32_e64 v25, v25, v24, s[0:1]
	v_cndmask_b32_e64 v27, v27, v25, s[2:3]
	v_alignbit_b32 v28, v29, v27, v31
	v_cndmask_b32_e64 v28, v28, v29, s[4:5]
	v_bfe_u32 v33, v23, 29, 1
	v_cndmask_b32_e64 v24, v24, v26, s[0:1]
	v_alignbit_b32 v29, v23, v28, 30
	v_sub_u32_e32 v34, 0, v33
	v_cndmask_b32_e64 v24, v25, v24, s[2:3]
	v_xor_b32_e32 v35, v29, v34
	v_alignbit_b32 v25, v27, v24, v31
	v_cndmask_b32_e64 v25, v25, v27, s[4:5]
	v_ffbh_u32_e32 v27, v35
	v_add_u32_e32 v27, 1, v27
	v_cmp_ne_u32_e32 vcc, v29, v34
	v_alignbit_b32 v26, v28, v25, 30
	v_alignbit_b32 v24, v25, v24, 30
	v_cndmask_b32_e32 v27, 33, v27, vcc
	v_xor_b32_e32 v26, v26, v34
	v_sub_u32_e32 v28, 32, v27
	v_xor_b32_e32 v24, v24, v34
	v_alignbit_b32 v29, v35, v26, v28
	v_alignbit_b32 v24, v26, v24, v28
	;; [unrolled: 1-line block ×3, first 2 shown]
	v_ffbh_u32_e32 v26, v25
	v_min_u32_e32 v26, 32, v26
	v_lshrrev_b32_e32 v32, 29, v23
	v_sub_u32_e32 v28, 31, v26
	v_alignbit_b32 v24, v25, v24, v28
	v_lshlrev_b32_e32 v25, 31, v32
	v_or_b32_e32 v28, 0x33800000, v25
	v_add_lshl_u32 v26, v26, v27, 23
	v_lshrrev_b32_e32 v24, 9, v24
	v_sub_u32_e32 v26, v28, v26
	v_or_b32_e32 v24, v26, v24
	v_alignbit_b32 v26, v27, v29, 9
	v_or_b32_e32 v25, v26, v25
	v_xor_b32_e32 v25, 1.0, v25
	s_mov_b32 s0, 0x3fc90fda
	v_mul_f32_e32 v26, 0x3fc90fda, v25
	v_fma_f32 v27, v25, s0, -v26
	v_fmamk_f32 v25, v25, 0x33a22168, v27
	v_fmac_f32_e32 v25, 0x3fc90fda, v24
	v_lshrrev_b32_e32 v23, 30, v23
	v_add_f32_e32 v24, v26, v25
	v_add_u32_e32 v23, v33, v23
	s_andn2_saveexec_b64 s[0:1], s[10:11]
	s_cbranch_execnz .LBB14_98
	s_branch .LBB14_99
.LBB14_97:
	s_andn2_saveexec_b64 s[0:1], s[10:11]
.LBB14_98:
	s_mov_b32 s2, 0x3f22f983
	v_mul_f32_e64 v23, |v14|, s2
	v_rndne_f32_e32 v24, v23
	s_mov_b32 s2, 0xbfc90fda
	v_cvt_i32_f32_e32 v23, v24
	v_fma_f32 v25, v24, s2, |v14|
	v_fmamk_f32 v25, v24, 0xb3a22168, v25
	v_fmamk_f32 v24, v24, 0xa7c234c4, v25
.LBB14_99:
	s_or_b64 exec, exec, s[0:1]
	v_mul_f32_e32 v25, v18, v18
	s_mov_b32 s2, 0x41c80000
	v_div_scale_f32 v26, s[0:1], v25, v25, s2
	v_rcp_f32_e32 v27, v26
	v_xor_b32_e32 v15, v15, v14
	s_mov_b32 s4, 0x40a00000
	v_mov_b32_e32 v34, 0xbf000004
	v_fma_f32 v28, -v26, v27, 1.0
	v_fmac_f32_e32 v27, v28, v27
	v_div_scale_f32 v28, vcc, s2, v25, s2
	v_mul_f32_e32 v29, v28, v27
	v_fma_f32 v30, -v26, v29, v28
	v_fmac_f32_e32 v29, v30, v27
	v_fma_f32 v26, -v26, v29, v28
	v_div_fmas_f32 v26, v26, v27, v29
	v_div_fixup_f32 v25, v26, v25, s2
	v_mov_b32_e32 v26, 0x3a50e985
	v_mov_b32_e32 v27, 0x3a725406
	v_fmac_f32_e32 v26, 0, v25
	v_fmac_f32_e32 v27, 0, v25
	v_fmaak_f32 v26, v25, v26, 0x3da9a586
	v_fmaak_f32 v27, v25, v27, 0x3daf5e2d
	;; [unrolled: 1-line block ×8, first 2 shown]
	v_mov_b32_e32 v28, 0xbc3a3a12
	v_fmaak_f32 v26, v25, v26, 0x40a9b425
	v_fmaak_f32 v27, v25, v27, 0x40a9cb2f
	v_fmac_f32_e32 v28, 0, v25
	v_mov_b32_e32 v29, 0x4280a2ba
	v_fma_f32 v27, v25, v27, 1.0
	v_fmaak_f32 v28, v25, v28, 0xbfa429da
	v_fmac_f32_e32 v29, 0, v25
	v_fma_f32 v26, v25, v26, 1.0
	v_fmaak_f32 v28, v25, v28, 0xc19c6e80
	v_fmaak_f32 v29, v25, v29, 0x44561b86
	v_div_scale_f32 v30, s[0:1], v27, v27, v26
	v_fmaak_f32 v28, v25, v28, 0xc2ba697b
	v_fmaak_f32 v29, v25, v29, 0x4572a66e
	v_rcp_f32_e32 v31, v30
	v_fmaak_f32 v28, v25, v28, 0xc331ae61
	v_fmaak_f32 v29, v25, v29, 0x45e243be
	;; [unrolled: 1-line block ×8, first 2 shown]
	v_fma_f32 v29, -v30, v31, 1.0
	v_fmac_f32_e32 v31, v29, v31
	v_div_scale_f32 v29, vcc, v26, v27, v26
	v_mul_f32_e32 v32, v29, v31
	v_fma_f32 v33, -v30, v32, v29
	v_fmac_f32_e32 v32, v33, v31
	v_fma_f32 v29, -v30, v32, v29
	v_div_fmas_f32 v29, v29, v31, v32
	v_div_fixup_f32 v26, v29, v27, v26
	v_mul_f32_e32 v27, v17, v17
	v_mov_b32_e32 v29, 0x3c0881c4
	v_fmamk_f32 v30, v27, 0xb94c1982, v29
	v_fmaak_f32 v30, v27, v30, 0xbe2aaa9d
	v_mul_f32_e32 v30, v27, v30
	v_fmac_f32_e32 v17, v17, v30
	v_mov_b32_e32 v30, 0xbab64f3b
	v_fmamk_f32 v32, v27, 0x37d75334, v30
	v_fmaak_f32 v32, v27, v32, 0x3d2aabf7
	v_fmaak_f32 v32, v27, v32, 0xbf000004
	v_fma_f32 v27, v27, v32, 1.0
	v_and_b32_e32 v32, 1, v16
	v_lshlrev_b32_e32 v16, 30, v16
	v_cmp_eq_u32_e32 vcc, 0, v32
	v_and_b32_e32 v16, 0x80000000, v16
	v_xor_b32_e32 v15, v15, v16
	v_cndmask_b32_e32 v17, v27, v17, vcc
	v_div_scale_f32 v16, s[0:1], v18, v18, s4
	v_xor_b32_e32 v15, v15, v17
	v_rcp_f32_e32 v17, v16
	s_movk_i32 s2, 0x1f8
	v_mov_b32_e32 v27, 0x7fc00000
	v_cmp_class_f32_e64 s[0:1], v14, s2
	v_mov_b32_e32 v31, 0xbe2aaa9d
	v_mov_b32_e32 v33, 0x3d2aabf7
	v_cndmask_b32_e64 v14, v27, v15, s[0:1]
	v_fma_f32 v15, -v16, v17, 1.0
	v_fmac_f32_e32 v17, v15, v17
	v_div_scale_f32 v15, vcc, s4, v18, s4
	v_mul_f32_e32 v32, v15, v17
	v_fma_f32 v35, -v16, v32, v15
	v_fmac_f32_e32 v32, v35, v17
	v_fma_f32 v15, -v16, v32, v15
	v_div_scale_f32 v16, s[2:3], v25, v25, v28
	v_rcp_f32_e32 v35, v16
	v_div_fmas_f32 v15, v15, v17, v32
	v_div_fixup_f32 v15, v15, v18, s4
	v_fma_f32 v17, -v16, v35, 1.0
	v_fmac_f32_e32 v35, v17, v35
	v_div_scale_f32 v17, vcc, v28, v25, v28
	v_mul_f32_e32 v32, v17, v35
	v_fma_f32 v36, -v16, v32, v17
	v_fmac_f32_e32 v32, v36, v35
	v_fma_f32 v16, -v16, v32, v17
	v_div_fmas_f32 v16, v16, v35, v32
	v_div_fixup_f32 v16, v16, v25, v28
	v_mul_f32_e32 v15, v15, v16
	v_mul_f32_e32 v16, v24, v24
	v_fmac_f32_e32 v29, 0xb94c1982, v16
	v_fmac_f32_e32 v31, v16, v29
	;; [unrolled: 1-line block ×3, first 2 shown]
	v_mul_f32_e32 v17, v16, v31
	v_fmac_f32_e32 v33, v16, v30
	v_fmac_f32_e32 v24, v24, v17
	;; [unrolled: 1-line block ×3, first 2 shown]
	v_and_b32_e32 v17, 1, v23
	v_fma_f32 v16, v16, v34, 1.0
	v_cmp_eq_u32_e32 vcc, 0, v17
	v_lshlrev_b32_e32 v17, 30, v23
	v_and_b32_e32 v17, 0x80000000, v17
	v_cndmask_b32_e64 v16, -v24, v16, vcc
	v_xor_b32_e32 v16, v17, v16
	v_cndmask_b32_e64 v16, v27, v16, s[0:1]
	s_mov_b32 s0, 0xf800000
	v_mul_f32_e32 v17, 0x4f800000, v18
	v_cmp_gt_f32_e32 vcc, s0, v18
	v_mul_f32_e32 v15, v15, v16
	v_fmac_f32_e32 v15, v26, v14
	v_cndmask_b32_e32 v17, v18, v17, vcc
	v_sqrt_f32_e32 v18, v17
	v_mul_f32_e32 v14, 0x3f4c422a, v15
	v_add_u32_e32 v15, -1, v18
	v_fma_f32 v16, -v15, v18, v17
	v_cmp_ge_f32_e64 s[0:1], 0, v16
	v_add_u32_e32 v16, 1, v18
	s_nop 0
	v_cndmask_b32_e64 v15, v18, v15, s[0:1]
	v_fma_f32 v18, -v16, v18, v17
	v_cmp_lt_f32_e64 s[0:1], 0, v18
	s_nop 1
	v_cndmask_b32_e64 v15, v15, v16, s[0:1]
	v_mul_f32_e32 v16, 0x37800000, v15
	v_cndmask_b32_e32 v15, v15, v16, vcc
	v_mov_b32_e32 v16, 0x260
	v_cmp_class_f32_e32 vcc, v17, v16
	s_nop 1
	v_cndmask_b32_e32 v15, v15, v17, vcc
	v_div_scale_f32 v16, s[0:1], v15, v15, v14
	v_rcp_f32_e32 v17, v16
	s_nop 0
	v_fma_f32 v18, -v16, v17, 1.0
	v_fmac_f32_e32 v17, v18, v17
	v_div_scale_f32 v18, vcc, v14, v15, v14
	v_mul_f32_e32 v23, v18, v17
	v_fma_f32 v24, -v16, v23, v18
	v_fmac_f32_e32 v23, v24, v17
	v_fma_f32 v16, -v16, v23, v18
	v_div_fmas_f32 v16, v16, v17, v23
	v_div_fixup_f32 v14, v16, v15, v14
.LBB14_100:
	s_or_b64 exec, exec, s[8:9]
	s_mov_b32 s0, 0x40a00000
	v_cmp_ge_f32_e32 vcc, s0, v19
	s_and_saveexec_b64 s[0:1], vcc
	s_xor_b64 s[2:3], exec, s[0:1]
	s_cbranch_execz .LBB14_110
; %bb.101:
	v_cmp_neq_f32_e32 vcc, 0, v19
	v_mov_b32_e32 v15, 0xff800000
	s_and_saveexec_b64 s[4:5], vcc
	s_cbranch_execz .LBB14_109
; %bb.102:
	v_cmp_ngt_f32_e32 vcc, 0, v19
	v_mov_b32_e32 v15, 0x7fc00000
	s_and_saveexec_b64 s[8:9], vcc
	s_cbranch_execz .LBB14_108
; %bb.103:
	v_mul_f32_e32 v16, v19, v19
	s_mov_b32 s0, 0x3727c5ac
	v_mul_f32_e32 v24, 0, v16
	v_cmp_ngt_f32_e32 vcc, s0, v19
                                        ; implicit-def: $vgpr17
	s_and_saveexec_b64 s[0:1], vcc
	s_xor_b64 s[0:1], exec, s[0:1]
	s_cbranch_execz .LBB14_105
; %bb.104:
	v_add_f32_e32 v15, 0x43f9c815, v24
	v_fmaak_f32 v15, v16, v15, 0x4829b65a
	v_fmaak_f32 v15, v16, v15, 0x4c38c9a1
	;; [unrolled: 1-line block ×3, first 2 shown]
	s_mov_b32 s10, 0xcf8ee29d
	v_mul_f32_e32 v25, v16, v15
	s_mov_b32 s11, 0x53f5f59c
	v_pk_add_f32 v[26:27], v[24:25], s[10:11]
	s_mov_b32 s10, 0x53e3ba8e
	s_mov_b32 s11, 0x578d3514
	v_pk_fma_f32 v[26:27], v[16:17], v[26:27], s[10:11] op_sel_hi:[0,1,1]
	s_mov_b32 s10, 0xd762b0a7
	s_mov_b32 s11, 0x5ae20a0c
	v_pk_fma_f32 v[26:27], v[16:17], v[26:27], s[10:11] op_sel_hi:[0,1,1]
	;; [unrolled: 3-line block ×3, first 2 shown]
	s_mov_b32 s10, 0xc0b90fdc
	s_mov_b32 s11, 0xc1f3c525
	v_pk_add_f32 v[28:29], v[16:17], s[10:11] op_sel_hi:[0,1]
	v_mul_f32_e32 v15, v28, v29
	v_mul_f32_e32 v15, v15, v26
	v_div_scale_f32 v17, s[10:11], v27, v27, v15
	v_rcp_f32_e32 v18, v17
	s_nop 0
	v_fma_f32 v23, -v17, v18, 1.0
	v_fmac_f32_e32 v18, v23, v18
	v_div_scale_f32 v23, vcc, v15, v27, v15
	v_mul_f32_e32 v25, v23, v18
	v_fma_f32 v26, -v17, v25, v23
	v_fmac_f32_e32 v25, v26, v18
	v_fma_f32 v17, -v17, v25, v23
	v_div_fmas_f32 v17, v17, v18, v25
	v_div_fixup_f32 v17, v17, v27, v15
.LBB14_105:
	s_andn2_saveexec_b64 s[0:1], s[0:1]
; %bb.106:
	v_mov_b32_e32 v15, 1.0
	v_fmamk_f32 v17, v16, 0xbe800000, v15
; %bb.107:
	s_or_b64 exec, exec, s[0:1]
	v_add_f32_e32 v15, 0x4673a1bf, v24
	v_fmaak_f32 v15, v16, v15, 0xcb5fc0fa
	v_add_f32_e32 v18, 0x44822913, v24
	v_fmaak_f32 v15, v16, v15, 0x4fa1fbc8
	v_fmaak_f32 v18, v16, v18, 0x4918dbb5
	v_fmaak_f32 v15, v16, v15, 0xd364abdf
	v_fmaak_f32 v18, v16, v18, 0x4d803b1b
	v_fmaak_f32 v15, v16, v15, 0x569f5392
	v_fmaak_f32 v18, v16, v18, 0x51a0eed9
	v_fmaak_f32 v15, v16, v15, 0xd945090f
	v_fmaak_f32 v18, v16, v18, 0x5593afe6
	v_fmaak_f32 v15, v16, v15, 0x5b1d4a5b
	v_fmaak_f32 v18, v16, v18, 0x59344887
	v_fmaak_f32 v18, v16, v18, 0x5c5e92fe
	v_fmaak_f32 v15, v16, v15, 0xda836a5b
	v_div_scale_f32 v16, s[0:1], v18, v18, v15
	v_rcp_f32_e32 v23, v16
	s_mov_b32 s0, 0x800000
	v_cmp_gt_f32_e64 s[0:1], s0, v19
	s_mov_b32 s10, 0x3f317217
	v_fma_f32 v24, -v16, v23, 1.0
	v_fmac_f32_e32 v23, v24, v23
	v_div_scale_f32 v24, vcc, v15, v18, v15
	v_mul_f32_e32 v25, v24, v23
	v_fma_f32 v26, -v16, v25, v24
	v_fmac_f32_e32 v25, v26, v23
	v_fma_f32 v16, -v16, v25, v24
	v_mov_b32_e32 v24, 0x4f800000
	v_cndmask_b32_e64 v24, 1.0, v24, s[0:1]
	v_mul_f32_e32 v24, v19, v24
	v_log_f32_e32 v24, v24
	v_div_fmas_f32 v16, v16, v23, v25
	v_div_fixup_f32 v15, v16, v18, v15
	v_mul_f32_e32 v16, 0x3f317217, v24
	v_fma_f32 v18, v24, s10, -v16
	v_fmamk_f32 v18, v24, 0x3377d1cf, v18
	s_mov_b32 s10, 0x7f800000
	v_add_f32_e32 v16, v16, v18
	v_cmp_lt_f32_e64 vcc, |v24|, s10
	v_mov_b32_e32 v18, 0x41b17218
	v_cndmask_b32_e64 v18, 0, v18, s[0:1]
	v_cndmask_b32_e32 v16, v24, v16, vcc
	v_sub_f32_e32 v16, v16, v18
	v_mul_f32_e32 v16, 0x3f22f983, v16
	v_fmac_f32_e32 v15, v16, v17
.LBB14_108:
	s_or_b64 exec, exec, s[8:9]
.LBB14_109:
	s_or_b64 exec, exec, s[4:5]
.LBB14_110:
	s_andn2_saveexec_b64 s[8:9], s[2:3]
	s_cbranch_execz .LBB14_120
; %bb.111:
	v_add_f32_e32 v15, 0xbf490fdb, v19
	v_and_b32_e32 v16, 0x7fffffff, v15
	s_brev_b32 s0, 18
	v_cmp_nlt_f32_e64 s[10:11], |v15|, s0
	v_lshrrev_b32_e32 v25, 23, v16
                                        ; implicit-def: $vgpr17
                                        ; implicit-def: $vgpr18
	s_and_saveexec_b64 s[0:1], s[10:11]
	s_xor_b64 s[12:13], exec, s[0:1]
	s_cbranch_execz .LBB14_113
; %bb.112:
	v_add_u32_e32 v17, 0xffffff88, v25
	v_not_b32_e32 v18, 63
	v_cmp_lt_u32_e32 vcc, 63, v17
	s_mov_b32 s4, 0xfe5163ab
	v_mov_b32_e32 v27, 0
	v_cndmask_b32_e32 v18, 0, v18, vcc
	v_add_u32_e32 v17, v18, v17
	v_not_b32_e32 v18, 31
	v_cmp_lt_u32_e64 s[0:1], 31, v17
	s_nop 1
	v_cndmask_b32_e64 v23, 0, v18, s[0:1]
	v_add_u32_e32 v17, v23, v17
	v_cmp_lt_u32_e64 s[2:3], 31, v17
	s_nop 1
	v_cndmask_b32_e64 v18, 0, v18, s[2:3]
	v_add_u32_e32 v17, v18, v17
	v_and_b32_e32 v18, 0x7fffff, v16
	v_or_b32_e32 v18, 0x800000, v18
	v_mad_u64_u32 v[28:29], s[4:5], v18, s4, 0
	v_mov_b32_e32 v26, v29
	s_mov_b32 s4, 0x3c439041
	v_mad_u64_u32 v[30:31], s[4:5], v18, s4, v[26:27]
	v_mov_b32_e32 v26, v31
	s_mov_b32 s4, 0xdb629599
	;; [unrolled: 3-line block ×6, first 2 shown]
	v_mad_u64_u32 v[26:27], s[4:5], v18, s4, v[26:27]
	v_cndmask_b32_e32 v23, v38, v34, vcc
	v_cndmask_b32_e32 v18, v26, v36, vcc
	;; [unrolled: 1-line block ×3, first 2 shown]
	v_cndmask_b32_e64 v24, v18, v23, s[0:1]
	v_cndmask_b32_e64 v18, v26, v18, s[0:1]
	v_cndmask_b32_e32 v26, v36, v32, vcc
	v_cndmask_b32_e64 v23, v23, v26, s[0:1]
	v_cndmask_b32_e64 v18, v18, v24, s[2:3]
	;; [unrolled: 1-line block ×3, first 2 shown]
	v_sub_u32_e32 v27, 32, v17
	v_alignbit_b32 v29, v18, v24, v27
	v_cmp_eq_u32_e64 s[4:5], 0, v17
	v_cndmask_b32_e32 v28, v32, v28, vcc
	s_nop 0
	v_cndmask_b32_e64 v17, v29, v18, s[4:5]
	v_cndmask_b32_e32 v18, v34, v30, vcc
	v_cndmask_b32_e64 v26, v26, v18, s[0:1]
	v_cndmask_b32_e64 v23, v23, v26, s[2:3]
	v_alignbit_b32 v29, v24, v23, v27
	v_cndmask_b32_e64 v24, v29, v24, s[4:5]
	v_bfe_u32 v31, v17, 29, 1
	v_cndmask_b32_e64 v18, v18, v28, s[0:1]
	v_alignbit_b32 v29, v17, v24, 30
	v_sub_u32_e32 v33, 0, v31
	v_cndmask_b32_e64 v18, v26, v18, s[2:3]
	v_xor_b32_e32 v34, v29, v33
	v_alignbit_b32 v26, v23, v18, v27
	v_cndmask_b32_e64 v23, v26, v23, s[4:5]
	v_ffbh_u32_e32 v26, v34
	v_add_u32_e32 v26, 1, v26
	v_cmp_ne_u32_e32 vcc, v29, v33
	v_alignbit_b32 v24, v24, v23, 30
	v_alignbit_b32 v18, v23, v18, 30
	v_cndmask_b32_e32 v26, 33, v26, vcc
	v_xor_b32_e32 v24, v24, v33
	v_sub_u32_e32 v27, 32, v26
	v_xor_b32_e32 v18, v18, v33
	v_alignbit_b32 v28, v34, v24, v27
	v_alignbit_b32 v18, v24, v18, v27
	;; [unrolled: 1-line block ×3, first 2 shown]
	v_ffbh_u32_e32 v24, v23
	v_min_u32_e32 v24, 32, v24
	v_lshrrev_b32_e32 v30, 29, v17
	v_sub_u32_e32 v27, 31, v24
	v_alignbit_b32 v18, v23, v18, v27
	v_lshlrev_b32_e32 v23, 31, v30
	v_or_b32_e32 v27, 0x33800000, v23
	v_add_lshl_u32 v24, v24, v26, 23
	v_lshrrev_b32_e32 v18, 9, v18
	v_sub_u32_e32 v24, v27, v24
	v_or_b32_e32 v18, v24, v18
	v_alignbit_b32 v24, v26, v28, 9
	v_or_b32_e32 v23, v24, v23
	v_xor_b32_e32 v23, 1.0, v23
	s_mov_b32 s0, 0x3fc90fda
	v_mul_f32_e32 v24, 0x3fc90fda, v23
	v_fma_f32 v26, v23, s0, -v24
	v_fmamk_f32 v23, v23, 0x33a22168, v26
	v_fmac_f32_e32 v23, 0x3fc90fda, v18
	v_lshrrev_b32_e32 v17, 30, v17
	v_add_f32_e32 v18, v24, v23
	v_add_u32_e32 v17, v31, v17
	s_andn2_saveexec_b64 s[0:1], s[12:13]
	s_branch .LBB14_114
.LBB14_113:
	s_andn2_saveexec_b64 s[0:1], s[12:13]
.LBB14_114:
	s_mov_b32 s2, 0x3f22f983
	v_mul_f32_e64 v17, |v15|, s2
	v_rndne_f32_e32 v18, v17
	s_mov_b32 s2, 0xbfc90fda
	v_cvt_i32_f32_e32 v17, v18
	v_fma_f32 v23, v18, s2, |v15|
	v_fmamk_f32 v23, v18, 0xb3a22168, v23
	v_fmamk_f32 v18, v18, 0xa7c234c4, v23
; %bb.115:
	s_or_b64 exec, exec, s[0:1]
                                        ; implicit-def: $vgpr23
                                        ; implicit-def: $vgpr24
	s_and_saveexec_b64 s[0:1], s[10:11]
	s_xor_b64 s[10:11], exec, s[0:1]
	s_cbranch_execz .LBB14_117
; %bb.116:
	v_add_u32_e32 v23, 0xffffff88, v25
	v_not_b32_e32 v24, 63
	v_cmp_lt_u32_e32 vcc, 63, v23
	s_mov_b32 s4, 0xfe5163ab
	v_mov_b32_e32 v25, 0
	v_cndmask_b32_e32 v24, 0, v24, vcc
	v_add_u32_e32 v23, v24, v23
	v_not_b32_e32 v24, 31
	v_cmp_lt_u32_e64 s[0:1], 31, v23
	s_nop 1
	v_cndmask_b32_e64 v26, 0, v24, s[0:1]
	v_add_u32_e32 v23, v26, v23
	v_cmp_lt_u32_e64 s[2:3], 31, v23
	s_nop 1
	v_cndmask_b32_e64 v24, 0, v24, s[2:3]
	v_add_u32_e32 v23, v24, v23
	v_and_b32_e32 v24, 0x7fffff, v16
	v_or_b32_e32 v38, 0x800000, v24
	v_mad_u64_u32 v[26:27], s[4:5], v38, s4, 0
	v_mov_b32_e32 v24, v27
	s_mov_b32 s4, 0x3c439041
	v_mad_u64_u32 v[28:29], s[4:5], v38, s4, v[24:25]
	v_mov_b32_e32 v24, v29
	s_mov_b32 s4, 0xdb629599
	;; [unrolled: 3-line block ×6, first 2 shown]
	v_mad_u64_u32 v[24:25], s[4:5], v38, s4, v[24:25]
	v_cndmask_b32_e32 v27, v36, v32, vcc
	v_cndmask_b32_e32 v24, v24, v34, vcc
	;; [unrolled: 1-line block ×3, first 2 shown]
	v_cndmask_b32_e64 v29, v24, v27, s[0:1]
	v_cndmask_b32_e64 v24, v25, v24, s[0:1]
	v_cndmask_b32_e32 v25, v34, v30, vcc
	v_cndmask_b32_e64 v27, v27, v25, s[0:1]
	v_cndmask_b32_e64 v24, v24, v29, s[2:3]
	;; [unrolled: 1-line block ×3, first 2 shown]
	v_sub_u32_e32 v31, 32, v23
	v_alignbit_b32 v33, v24, v29, v31
	v_cmp_eq_u32_e64 s[4:5], 0, v23
	v_cndmask_b32_e32 v26, v30, v26, vcc
	s_nop 0
	v_cndmask_b32_e64 v23, v33, v24, s[4:5]
	v_cndmask_b32_e32 v24, v32, v28, vcc
	v_cndmask_b32_e64 v25, v25, v24, s[0:1]
	v_cndmask_b32_e64 v27, v27, v25, s[2:3]
	v_alignbit_b32 v28, v29, v27, v31
	v_cndmask_b32_e64 v28, v28, v29, s[4:5]
	v_bfe_u32 v33, v23, 29, 1
	v_cndmask_b32_e64 v24, v24, v26, s[0:1]
	v_alignbit_b32 v29, v23, v28, 30
	v_sub_u32_e32 v34, 0, v33
	v_cndmask_b32_e64 v24, v25, v24, s[2:3]
	v_xor_b32_e32 v35, v29, v34
	v_alignbit_b32 v25, v27, v24, v31
	v_cndmask_b32_e64 v25, v25, v27, s[4:5]
	v_ffbh_u32_e32 v27, v35
	v_add_u32_e32 v27, 1, v27
	v_cmp_ne_u32_e32 vcc, v29, v34
	v_alignbit_b32 v26, v28, v25, 30
	v_alignbit_b32 v24, v25, v24, 30
	v_cndmask_b32_e32 v27, 33, v27, vcc
	v_xor_b32_e32 v26, v26, v34
	v_sub_u32_e32 v28, 32, v27
	v_xor_b32_e32 v24, v24, v34
	v_alignbit_b32 v29, v35, v26, v28
	v_alignbit_b32 v24, v26, v24, v28
	;; [unrolled: 1-line block ×3, first 2 shown]
	v_ffbh_u32_e32 v26, v25
	v_min_u32_e32 v26, 32, v26
	v_lshrrev_b32_e32 v32, 29, v23
	v_sub_u32_e32 v28, 31, v26
	v_alignbit_b32 v24, v25, v24, v28
	v_lshlrev_b32_e32 v25, 31, v32
	v_or_b32_e32 v28, 0x33800000, v25
	v_add_lshl_u32 v26, v26, v27, 23
	v_lshrrev_b32_e32 v24, 9, v24
	v_sub_u32_e32 v26, v28, v26
	v_or_b32_e32 v24, v26, v24
	v_alignbit_b32 v26, v27, v29, 9
	v_or_b32_e32 v25, v26, v25
	v_xor_b32_e32 v25, 1.0, v25
	s_mov_b32 s0, 0x3fc90fda
	v_mul_f32_e32 v26, 0x3fc90fda, v25
	v_fma_f32 v27, v25, s0, -v26
	v_fmamk_f32 v25, v25, 0x33a22168, v27
	v_fmac_f32_e32 v25, 0x3fc90fda, v24
	v_lshrrev_b32_e32 v23, 30, v23
	v_add_f32_e32 v24, v26, v25
	v_add_u32_e32 v23, v33, v23
	s_andn2_saveexec_b64 s[0:1], s[10:11]
	s_cbranch_execnz .LBB14_118
	s_branch .LBB14_119
.LBB14_117:
	s_andn2_saveexec_b64 s[0:1], s[10:11]
.LBB14_118:
	s_mov_b32 s2, 0x3f22f983
	v_mul_f32_e64 v23, |v15|, s2
	v_rndne_f32_e32 v24, v23
	s_mov_b32 s2, 0xbfc90fda
	v_cvt_i32_f32_e32 v23, v24
	v_fma_f32 v25, v24, s2, |v15|
	v_fmamk_f32 v25, v24, 0xb3a22168, v25
	v_fmamk_f32 v24, v24, 0xa7c234c4, v25
.LBB14_119:
	s_or_b64 exec, exec, s[0:1]
	v_mul_f32_e32 v25, v19, v19
	s_mov_b32 s2, 0x41c80000
	v_div_scale_f32 v26, s[0:1], v25, v25, s2
	v_rcp_f32_e32 v27, v26
	v_xor_b32_e32 v16, v16, v15
	s_mov_b32 s4, 0x40a00000
	v_mov_b32_e32 v34, 0xbf000004
	v_fma_f32 v28, -v26, v27, 1.0
	v_fmac_f32_e32 v27, v28, v27
	v_div_scale_f32 v28, vcc, s2, v25, s2
	v_mul_f32_e32 v29, v28, v27
	v_fma_f32 v30, -v26, v29, v28
	v_fmac_f32_e32 v29, v30, v27
	v_fma_f32 v26, -v26, v29, v28
	v_div_fmas_f32 v26, v26, v27, v29
	v_div_fixup_f32 v25, v26, v25, s2
	v_mov_b32_e32 v26, 0x3a50e985
	v_mov_b32_e32 v27, 0x3a725406
	v_fmac_f32_e32 v26, 0, v25
	v_fmac_f32_e32 v27, 0, v25
	v_fmaak_f32 v26, v25, v26, 0x3da9a586
	v_fmaak_f32 v27, v25, v27, 0x3daf5e2d
	;; [unrolled: 1-line block ×8, first 2 shown]
	v_mov_b32_e32 v28, 0xbc3a3a12
	v_fmaak_f32 v26, v25, v26, 0x40a9b425
	v_fmaak_f32 v27, v25, v27, 0x40a9cb2f
	v_fmac_f32_e32 v28, 0, v25
	v_mov_b32_e32 v29, 0x4280a2ba
	v_fma_f32 v27, v25, v27, 1.0
	v_fmaak_f32 v28, v25, v28, 0xbfa429da
	v_fmac_f32_e32 v29, 0, v25
	v_fma_f32 v26, v25, v26, 1.0
	v_fmaak_f32 v28, v25, v28, 0xc19c6e80
	v_fmaak_f32 v29, v25, v29, 0x44561b86
	v_div_scale_f32 v30, s[0:1], v27, v27, v26
	v_fmaak_f32 v28, v25, v28, 0xc2ba697b
	v_fmaak_f32 v29, v25, v29, 0x4572a66e
	v_rcp_f32_e32 v31, v30
	v_fmaak_f32 v28, v25, v28, 0xc331ae61
	v_fmaak_f32 v29, v25, v29, 0x45e243be
	;; [unrolled: 1-line block ×8, first 2 shown]
	v_fma_f32 v29, -v30, v31, 1.0
	v_fmac_f32_e32 v31, v29, v31
	v_div_scale_f32 v29, vcc, v26, v27, v26
	v_mul_f32_e32 v32, v29, v31
	v_fma_f32 v33, -v30, v32, v29
	v_fmac_f32_e32 v32, v33, v31
	v_fma_f32 v29, -v30, v32, v29
	v_div_fmas_f32 v29, v29, v31, v32
	v_div_fixup_f32 v26, v29, v27, v26
	v_mul_f32_e32 v27, v18, v18
	v_mov_b32_e32 v29, 0x3c0881c4
	v_fmamk_f32 v30, v27, 0xb94c1982, v29
	v_fmaak_f32 v30, v27, v30, 0xbe2aaa9d
	v_mul_f32_e32 v30, v27, v30
	v_fmac_f32_e32 v18, v18, v30
	v_mov_b32_e32 v30, 0xbab64f3b
	v_fmamk_f32 v32, v27, 0x37d75334, v30
	v_fmaak_f32 v32, v27, v32, 0x3d2aabf7
	v_fmaak_f32 v32, v27, v32, 0xbf000004
	v_fma_f32 v27, v27, v32, 1.0
	v_and_b32_e32 v32, 1, v17
	v_lshlrev_b32_e32 v17, 30, v17
	v_cmp_eq_u32_e32 vcc, 0, v32
	v_and_b32_e32 v17, 0x80000000, v17
	v_xor_b32_e32 v16, v16, v17
	v_cndmask_b32_e32 v18, v27, v18, vcc
	v_div_scale_f32 v17, s[0:1], v19, v19, s4
	v_xor_b32_e32 v16, v16, v18
	v_rcp_f32_e32 v18, v17
	s_movk_i32 s2, 0x1f8
	v_mov_b32_e32 v27, 0x7fc00000
	v_cmp_class_f32_e64 s[0:1], v15, s2
	v_mov_b32_e32 v31, 0xbe2aaa9d
	v_mov_b32_e32 v33, 0x3d2aabf7
	v_cndmask_b32_e64 v15, v27, v16, s[0:1]
	v_fma_f32 v16, -v17, v18, 1.0
	v_fmac_f32_e32 v18, v16, v18
	v_div_scale_f32 v16, vcc, s4, v19, s4
	v_mul_f32_e32 v32, v16, v18
	v_fma_f32 v35, -v17, v32, v16
	v_fmac_f32_e32 v32, v35, v18
	v_fma_f32 v16, -v17, v32, v16
	v_div_scale_f32 v17, s[2:3], v25, v25, v28
	v_rcp_f32_e32 v35, v17
	v_div_fmas_f32 v16, v16, v18, v32
	v_div_fixup_f32 v16, v16, v19, s4
	v_fma_f32 v18, -v17, v35, 1.0
	v_fmac_f32_e32 v35, v18, v35
	v_div_scale_f32 v18, vcc, v28, v25, v28
	v_mul_f32_e32 v32, v18, v35
	v_fma_f32 v36, -v17, v32, v18
	v_fmac_f32_e32 v32, v36, v35
	v_fma_f32 v17, -v17, v32, v18
	v_div_fmas_f32 v17, v17, v35, v32
	v_div_fixup_f32 v17, v17, v25, v28
	v_mul_f32_e32 v16, v16, v17
	v_mul_f32_e32 v17, v24, v24
	v_fmac_f32_e32 v29, 0xb94c1982, v17
	v_fmac_f32_e32 v31, v17, v29
	;; [unrolled: 1-line block ×3, first 2 shown]
	v_mul_f32_e32 v18, v17, v31
	v_fmac_f32_e32 v33, v17, v30
	v_fmac_f32_e32 v24, v24, v18
	;; [unrolled: 1-line block ×3, first 2 shown]
	v_and_b32_e32 v18, 1, v23
	v_fma_f32 v17, v17, v34, 1.0
	v_cmp_eq_u32_e32 vcc, 0, v18
	v_lshlrev_b32_e32 v18, 30, v23
	v_and_b32_e32 v18, 0x80000000, v18
	v_cndmask_b32_e64 v17, -v24, v17, vcc
	v_xor_b32_e32 v17, v18, v17
	v_cndmask_b32_e64 v17, v27, v17, s[0:1]
	s_mov_b32 s0, 0xf800000
	v_mul_f32_e32 v18, 0x4f800000, v19
	v_cmp_gt_f32_e32 vcc, s0, v19
	v_mul_f32_e32 v16, v16, v17
	v_fmac_f32_e32 v16, v26, v15
	v_cndmask_b32_e32 v18, v19, v18, vcc
	v_sqrt_f32_e32 v19, v18
	v_mul_f32_e32 v15, 0x3f4c422a, v16
	v_add_u32_e32 v16, -1, v19
	v_fma_f32 v17, -v16, v19, v18
	v_cmp_ge_f32_e64 s[0:1], 0, v17
	v_add_u32_e32 v17, 1, v19
	s_nop 0
	v_cndmask_b32_e64 v16, v19, v16, s[0:1]
	v_fma_f32 v19, -v17, v19, v18
	v_cmp_lt_f32_e64 s[0:1], 0, v19
	s_nop 1
	v_cndmask_b32_e64 v16, v16, v17, s[0:1]
	v_mul_f32_e32 v17, 0x37800000, v16
	v_cndmask_b32_e32 v16, v16, v17, vcc
	v_mov_b32_e32 v17, 0x260
	v_cmp_class_f32_e32 vcc, v18, v17
	s_nop 1
	v_cndmask_b32_e32 v16, v16, v18, vcc
	v_div_scale_f32 v17, s[0:1], v16, v16, v15
	v_rcp_f32_e32 v18, v17
	s_nop 0
	v_fma_f32 v19, -v17, v18, 1.0
	v_fmac_f32_e32 v18, v19, v18
	v_div_scale_f32 v19, vcc, v15, v16, v15
	v_mul_f32_e32 v23, v19, v18
	v_fma_f32 v24, -v17, v23, v19
	v_fmac_f32_e32 v23, v24, v18
	v_fma_f32 v17, -v17, v23, v19
	v_div_fmas_f32 v17, v17, v18, v23
	v_div_fixup_f32 v15, v17, v16, v15
.LBB14_120:
	s_or_b64 exec, exec, s[8:9]
	s_mov_b32 s0, 0x40a00000
	v_cmp_ge_f32_e32 vcc, s0, v20
	s_and_saveexec_b64 s[0:1], vcc
	s_xor_b64 s[2:3], exec, s[0:1]
	s_cbranch_execz .LBB14_130
; %bb.121:
	v_cmp_neq_f32_e32 vcc, 0, v20
	v_mov_b32_e32 v16, 0xff800000
	s_and_saveexec_b64 s[4:5], vcc
	s_cbranch_execz .LBB14_129
; %bb.122:
	v_cmp_ngt_f32_e32 vcc, 0, v20
	v_mov_b32_e32 v16, 0x7fc00000
	s_and_saveexec_b64 s[8:9], vcc
	s_cbranch_execz .LBB14_128
; %bb.123:
	v_mul_f32_e32 v16, v20, v20
	s_mov_b32 s0, 0x3727c5ac
	v_mul_f32_e32 v18, 0, v16
	v_cmp_ngt_f32_e32 vcc, s0, v20
                                        ; implicit-def: $vgpr17
	s_and_saveexec_b64 s[0:1], vcc
	s_xor_b64 s[0:1], exec, s[0:1]
	s_cbranch_execz .LBB14_125
; %bb.124:
	v_add_f32_e32 v17, 0x43f9c815, v18
	v_fmaak_f32 v17, v16, v17, 0x4829b65a
	v_fmaak_f32 v17, v16, v17, 0x4c38c9a1
	;; [unrolled: 1-line block ×3, first 2 shown]
	s_mov_b32 s10, 0xcf8ee29d
	v_mul_f32_e32 v19, v16, v17
	s_mov_b32 s11, 0x53f5f59c
	v_pk_add_f32 v[24:25], v[18:19], s[10:11]
	s_mov_b32 s10, 0x53e3ba8e
	s_mov_b32 s11, 0x578d3514
	v_pk_fma_f32 v[24:25], v[16:17], v[24:25], s[10:11] op_sel_hi:[0,1,1]
	s_mov_b32 s10, 0xd762b0a7
	s_mov_b32 s11, 0x5ae20a0c
	v_pk_fma_f32 v[24:25], v[16:17], v[24:25], s[10:11] op_sel_hi:[0,1,1]
	;; [unrolled: 3-line block ×3, first 2 shown]
	s_mov_b32 s10, 0xc0b90fdc
	s_mov_b32 s11, 0xc1f3c525
	v_pk_add_f32 v[26:27], v[16:17], s[10:11] op_sel_hi:[0,1]
	v_mul_f32_e32 v17, v26, v27
	v_mul_f32_e32 v17, v17, v24
	v_div_scale_f32 v19, s[10:11], v25, v25, v17
	v_rcp_f32_e32 v23, v19
	s_nop 0
	v_fma_f32 v24, -v19, v23, 1.0
	v_fmac_f32_e32 v23, v24, v23
	v_div_scale_f32 v24, vcc, v17, v25, v17
	v_mul_f32_e32 v26, v24, v23
	v_fma_f32 v27, -v19, v26, v24
	v_fmac_f32_e32 v26, v27, v23
	v_fma_f32 v19, -v19, v26, v24
	v_div_fmas_f32 v19, v19, v23, v26
	v_div_fixup_f32 v17, v19, v25, v17
.LBB14_125:
	s_andn2_saveexec_b64 s[0:1], s[0:1]
; %bb.126:
	v_mov_b32_e32 v17, 1.0
	v_fmamk_f32 v17, v16, 0xbe800000, v17
; %bb.127:
	s_or_b64 exec, exec, s[0:1]
	v_add_f32_e32 v19, 0x4673a1bf, v18
	v_fmaak_f32 v19, v16, v19, 0xcb5fc0fa
	v_add_f32_e32 v18, 0x44822913, v18
	v_fmaak_f32 v19, v16, v19, 0x4fa1fbc8
	v_fmaak_f32 v18, v16, v18, 0x4918dbb5
	;; [unrolled: 1-line block ×12, first 2 shown]
	v_div_scale_f32 v19, s[0:1], v18, v18, v16
	v_rcp_f32_e32 v23, v19
	s_mov_b32 s0, 0x800000
	v_cmp_gt_f32_e64 s[0:1], s0, v20
	s_mov_b32 s10, 0x3f317217
	v_fma_f32 v24, -v19, v23, 1.0
	v_fmac_f32_e32 v23, v24, v23
	v_div_scale_f32 v24, vcc, v16, v18, v16
	v_mul_f32_e32 v25, v24, v23
	v_fma_f32 v26, -v19, v25, v24
	v_fmac_f32_e32 v25, v26, v23
	v_fma_f32 v19, -v19, v25, v24
	v_mov_b32_e32 v24, 0x4f800000
	v_cndmask_b32_e64 v24, 1.0, v24, s[0:1]
	v_mul_f32_e32 v24, v20, v24
	v_log_f32_e32 v24, v24
	v_div_fmas_f32 v19, v19, v23, v25
	v_div_fixup_f32 v16, v19, v18, v16
	v_mul_f32_e32 v18, 0x3f317217, v24
	v_fma_f32 v19, v24, s10, -v18
	v_fmamk_f32 v19, v24, 0x3377d1cf, v19
	s_mov_b32 s10, 0x7f800000
	v_add_f32_e32 v18, v18, v19
	v_cmp_lt_f32_e64 vcc, |v24|, s10
	v_mov_b32_e32 v19, 0x41b17218
	v_cndmask_b32_e64 v19, 0, v19, s[0:1]
	v_cndmask_b32_e32 v18, v24, v18, vcc
	v_sub_f32_e32 v18, v18, v19
	v_mul_f32_e32 v18, 0x3f22f983, v18
	v_fmac_f32_e32 v16, v18, v17
.LBB14_128:
	s_or_b64 exec, exec, s[8:9]
.LBB14_129:
	s_or_b64 exec, exec, s[4:5]
.LBB14_130:
	s_andn2_saveexec_b64 s[8:9], s[2:3]
	s_cbranch_execz .LBB14_140
; %bb.131:
	v_add_f32_e32 v16, 0xbf490fdb, v20
	v_and_b32_e32 v17, 0x7fffffff, v16
	s_brev_b32 s0, 18
	v_cmp_nlt_f32_e64 s[10:11], |v16|, s0
	v_lshrrev_b32_e32 v25, 23, v17
                                        ; implicit-def: $vgpr18
                                        ; implicit-def: $vgpr19
	s_and_saveexec_b64 s[0:1], s[10:11]
	s_xor_b64 s[12:13], exec, s[0:1]
	s_cbranch_execz .LBB14_133
; %bb.132:
	v_add_u32_e32 v18, 0xffffff88, v25
	v_not_b32_e32 v23, 63
	v_cmp_lt_u32_e32 vcc, 63, v18
	s_mov_b32 s4, 0xfe5163ab
	v_mov_b32_e32 v19, 0
	v_cndmask_b32_e32 v23, 0, v23, vcc
	v_add_u32_e32 v18, v23, v18
	v_not_b32_e32 v23, 31
	v_cmp_lt_u32_e64 s[0:1], 31, v18
	s_nop 1
	v_cndmask_b32_e64 v24, 0, v23, s[0:1]
	v_add_u32_e32 v18, v24, v18
	v_cmp_lt_u32_e64 s[2:3], 31, v18
	s_nop 1
	v_cndmask_b32_e64 v23, 0, v23, s[2:3]
	v_add_u32_e32 v23, v23, v18
	v_and_b32_e32 v18, 0x7fffff, v17
	v_or_b32_e32 v24, 0x800000, v18
	v_mad_u64_u32 v[26:27], s[4:5], v24, s4, 0
	v_mov_b32_e32 v18, v27
	s_mov_b32 s4, 0x3c439041
	v_mad_u64_u32 v[28:29], s[4:5], v24, s4, v[18:19]
	v_mov_b32_e32 v18, v29
	s_mov_b32 s4, 0xdb629599
	;; [unrolled: 3-line block ×6, first 2 shown]
	v_mad_u64_u32 v[18:19], s[4:5], v24, s4, v[18:19]
	v_cndmask_b32_e32 v27, v36, v32, vcc
	v_cndmask_b32_e32 v18, v18, v34, vcc
	;; [unrolled: 1-line block ×3, first 2 shown]
	v_cndmask_b32_e64 v24, v18, v27, s[0:1]
	v_cndmask_b32_e64 v18, v19, v18, s[0:1]
	v_cndmask_b32_e32 v19, v34, v30, vcc
	v_cndmask_b32_e64 v27, v27, v19, s[0:1]
	v_sub_u32_e32 v29, 32, v23
	v_cmp_eq_u32_e64 s[4:5], 0, v23
	v_cndmask_b32_e32 v23, v32, v28, vcc
	v_cndmask_b32_e64 v18, v18, v24, s[2:3]
	v_cndmask_b32_e64 v24, v24, v27, s[2:3]
	;; [unrolled: 1-line block ×3, first 2 shown]
	v_alignbit_b32 v31, v18, v24, v29
	v_cndmask_b32_e64 v27, v27, v19, s[2:3]
	v_cndmask_b32_e64 v18, v31, v18, s[4:5]
	v_alignbit_b32 v28, v24, v27, v29
	v_cndmask_b32_e64 v24, v28, v24, s[4:5]
	v_bfe_u32 v32, v18, 29, 1
	v_cndmask_b32_e32 v26, v30, v26, vcc
	v_alignbit_b32 v28, v18, v24, 30
	v_sub_u32_e32 v33, 0, v32
	v_cndmask_b32_e64 v23, v23, v26, s[0:1]
	v_xor_b32_e32 v34, v28, v33
	v_cndmask_b32_e64 v19, v19, v23, s[2:3]
	v_alignbit_b32 v23, v27, v19, v29
	v_ffbh_u32_e32 v26, v34
	v_cndmask_b32_e64 v23, v23, v27, s[4:5]
	v_add_u32_e32 v26, 1, v26
	v_cmp_ne_u32_e32 vcc, v28, v33
	v_alignbit_b32 v24, v24, v23, 30
	v_alignbit_b32 v19, v23, v19, 30
	v_cndmask_b32_e32 v26, 33, v26, vcc
	v_xor_b32_e32 v24, v24, v33
	v_sub_u32_e32 v27, 32, v26
	v_xor_b32_e32 v19, v19, v33
	v_alignbit_b32 v28, v34, v24, v27
	v_alignbit_b32 v19, v24, v19, v27
	;; [unrolled: 1-line block ×3, first 2 shown]
	v_ffbh_u32_e32 v24, v23
	v_min_u32_e32 v24, 32, v24
	v_lshrrev_b32_e32 v31, 29, v18
	v_sub_u32_e32 v27, 31, v24
	v_alignbit_b32 v19, v23, v19, v27
	v_lshlrev_b32_e32 v23, 31, v31
	v_or_b32_e32 v27, 0x33800000, v23
	v_add_lshl_u32 v24, v24, v26, 23
	v_lshrrev_b32_e32 v19, 9, v19
	v_sub_u32_e32 v24, v27, v24
	v_or_b32_e32 v19, v24, v19
	v_alignbit_b32 v24, v26, v28, 9
	v_or_b32_e32 v23, v24, v23
	v_xor_b32_e32 v23, 1.0, v23
	s_mov_b32 s0, 0x3fc90fda
	v_mul_f32_e32 v24, 0x3fc90fda, v23
	v_fma_f32 v26, v23, s0, -v24
	v_fmamk_f32 v23, v23, 0x33a22168, v26
	v_fmac_f32_e32 v23, 0x3fc90fda, v19
	v_lshrrev_b32_e32 v18, 30, v18
	v_add_f32_e32 v19, v24, v23
	v_add_u32_e32 v18, v32, v18
	s_andn2_saveexec_b64 s[0:1], s[12:13]
	s_branch .LBB14_134
.LBB14_133:
	s_andn2_saveexec_b64 s[0:1], s[12:13]
.LBB14_134:
	s_mov_b32 s2, 0x3f22f983
	v_mul_f32_e64 v18, |v16|, s2
	v_rndne_f32_e32 v19, v18
	s_mov_b32 s2, 0xbfc90fda
	v_cvt_i32_f32_e32 v18, v19
	v_fma_f32 v23, v19, s2, |v16|
	v_fmamk_f32 v23, v19, 0xb3a22168, v23
	v_fmamk_f32 v19, v19, 0xa7c234c4, v23
; %bb.135:
	s_or_b64 exec, exec, s[0:1]
                                        ; implicit-def: $vgpr23
                                        ; implicit-def: $vgpr24
	s_and_saveexec_b64 s[0:1], s[10:11]
	s_xor_b64 s[10:11], exec, s[0:1]
	s_cbranch_execz .LBB14_137
; %bb.136:
	v_add_u32_e32 v23, 0xffffff88, v25
	v_not_b32_e32 v24, 63
	v_cmp_lt_u32_e32 vcc, 63, v23
	s_mov_b32 s4, 0xfe5163ab
	v_mov_b32_e32 v25, 0
	v_cndmask_b32_e32 v24, 0, v24, vcc
	v_add_u32_e32 v23, v24, v23
	v_not_b32_e32 v24, 31
	v_cmp_lt_u32_e64 s[0:1], 31, v23
	s_nop 1
	v_cndmask_b32_e64 v26, 0, v24, s[0:1]
	v_add_u32_e32 v23, v26, v23
	v_cmp_lt_u32_e64 s[2:3], 31, v23
	s_nop 1
	v_cndmask_b32_e64 v24, 0, v24, s[2:3]
	v_add_u32_e32 v23, v24, v23
	v_and_b32_e32 v24, 0x7fffff, v17
	v_or_b32_e32 v38, 0x800000, v24
	v_mad_u64_u32 v[26:27], s[4:5], v38, s4, 0
	v_mov_b32_e32 v24, v27
	s_mov_b32 s4, 0x3c439041
	v_mad_u64_u32 v[28:29], s[4:5], v38, s4, v[24:25]
	v_mov_b32_e32 v24, v29
	s_mov_b32 s4, 0xdb629599
	;; [unrolled: 3-line block ×6, first 2 shown]
	v_mad_u64_u32 v[24:25], s[4:5], v38, s4, v[24:25]
	v_cndmask_b32_e32 v27, v36, v32, vcc
	v_cndmask_b32_e32 v24, v24, v34, vcc
	;; [unrolled: 1-line block ×3, first 2 shown]
	v_cndmask_b32_e64 v29, v24, v27, s[0:1]
	v_cndmask_b32_e64 v24, v25, v24, s[0:1]
	v_cndmask_b32_e32 v25, v34, v30, vcc
	v_cndmask_b32_e64 v27, v27, v25, s[0:1]
	v_cndmask_b32_e64 v24, v24, v29, s[2:3]
	;; [unrolled: 1-line block ×3, first 2 shown]
	v_sub_u32_e32 v31, 32, v23
	v_alignbit_b32 v33, v24, v29, v31
	v_cmp_eq_u32_e64 s[4:5], 0, v23
	v_cndmask_b32_e32 v26, v30, v26, vcc
	s_nop 0
	v_cndmask_b32_e64 v23, v33, v24, s[4:5]
	v_cndmask_b32_e32 v24, v32, v28, vcc
	v_cndmask_b32_e64 v25, v25, v24, s[0:1]
	v_cndmask_b32_e64 v27, v27, v25, s[2:3]
	v_alignbit_b32 v28, v29, v27, v31
	v_cndmask_b32_e64 v28, v28, v29, s[4:5]
	v_bfe_u32 v33, v23, 29, 1
	v_cndmask_b32_e64 v24, v24, v26, s[0:1]
	v_alignbit_b32 v29, v23, v28, 30
	v_sub_u32_e32 v34, 0, v33
	v_cndmask_b32_e64 v24, v25, v24, s[2:3]
	v_xor_b32_e32 v35, v29, v34
	v_alignbit_b32 v25, v27, v24, v31
	v_cndmask_b32_e64 v25, v25, v27, s[4:5]
	v_ffbh_u32_e32 v27, v35
	v_add_u32_e32 v27, 1, v27
	v_cmp_ne_u32_e32 vcc, v29, v34
	v_alignbit_b32 v26, v28, v25, 30
	v_alignbit_b32 v24, v25, v24, 30
	v_cndmask_b32_e32 v27, 33, v27, vcc
	v_xor_b32_e32 v26, v26, v34
	v_sub_u32_e32 v28, 32, v27
	v_xor_b32_e32 v24, v24, v34
	v_alignbit_b32 v29, v35, v26, v28
	v_alignbit_b32 v24, v26, v24, v28
	;; [unrolled: 1-line block ×3, first 2 shown]
	v_ffbh_u32_e32 v26, v25
	v_min_u32_e32 v26, 32, v26
	v_lshrrev_b32_e32 v32, 29, v23
	v_sub_u32_e32 v28, 31, v26
	v_alignbit_b32 v24, v25, v24, v28
	v_lshlrev_b32_e32 v25, 31, v32
	v_or_b32_e32 v28, 0x33800000, v25
	v_add_lshl_u32 v26, v26, v27, 23
	v_lshrrev_b32_e32 v24, 9, v24
	v_sub_u32_e32 v26, v28, v26
	v_or_b32_e32 v24, v26, v24
	v_alignbit_b32 v26, v27, v29, 9
	v_or_b32_e32 v25, v26, v25
	v_xor_b32_e32 v25, 1.0, v25
	s_mov_b32 s0, 0x3fc90fda
	v_mul_f32_e32 v26, 0x3fc90fda, v25
	v_fma_f32 v27, v25, s0, -v26
	v_fmamk_f32 v25, v25, 0x33a22168, v27
	v_fmac_f32_e32 v25, 0x3fc90fda, v24
	v_lshrrev_b32_e32 v23, 30, v23
	v_add_f32_e32 v24, v26, v25
	v_add_u32_e32 v23, v33, v23
	s_andn2_saveexec_b64 s[0:1], s[10:11]
	s_cbranch_execnz .LBB14_138
	s_branch .LBB14_139
.LBB14_137:
	s_andn2_saveexec_b64 s[0:1], s[10:11]
.LBB14_138:
	s_mov_b32 s2, 0x3f22f983
	v_mul_f32_e64 v23, |v16|, s2
	v_rndne_f32_e32 v24, v23
	s_mov_b32 s2, 0xbfc90fda
	v_cvt_i32_f32_e32 v23, v24
	v_fma_f32 v25, v24, s2, |v16|
	v_fmamk_f32 v25, v24, 0xb3a22168, v25
	v_fmamk_f32 v24, v24, 0xa7c234c4, v25
.LBB14_139:
	s_or_b64 exec, exec, s[0:1]
	v_mul_f32_e32 v25, v20, v20
	s_mov_b32 s2, 0x41c80000
	v_div_scale_f32 v26, s[0:1], v25, v25, s2
	v_rcp_f32_e32 v27, v26
	v_xor_b32_e32 v17, v17, v16
	s_mov_b32 s4, 0x40a00000
	v_mov_b32_e32 v34, 0xbf000004
	v_fma_f32 v28, -v26, v27, 1.0
	v_fmac_f32_e32 v27, v28, v27
	v_div_scale_f32 v28, vcc, s2, v25, s2
	v_mul_f32_e32 v29, v28, v27
	v_fma_f32 v30, -v26, v29, v28
	v_fmac_f32_e32 v29, v30, v27
	v_fma_f32 v26, -v26, v29, v28
	v_div_fmas_f32 v26, v26, v27, v29
	v_div_fixup_f32 v25, v26, v25, s2
	v_mov_b32_e32 v26, 0x3a50e985
	v_mov_b32_e32 v27, 0x3a725406
	v_fmac_f32_e32 v26, 0, v25
	v_fmac_f32_e32 v27, 0, v25
	v_fmaak_f32 v26, v25, v26, 0x3da9a586
	v_fmaak_f32 v27, v25, v27, 0x3daf5e2d
	v_fmaak_f32 v26, v25, v26, 0x3f9ea90a
	v_fmaak_f32 v27, v25, v27, 0x3fa07396
	v_fmaak_f32 v26, v25, v26, 0x40ae4fdf
	v_fmaak_f32 v27, v25, v27, 0x40af123f
	v_fmaak_f32 v26, v25, v26, 0x410bf463
	v_fmaak_f32 v27, v25, v27, 0x410c30c7
	v_mov_b32_e32 v28, 0xbc3a3a12
	v_fmaak_f32 v26, v25, v26, 0x40a9b425
	v_fmaak_f32 v27, v25, v27, 0x40a9cb2f
	v_fmac_f32_e32 v28, 0, v25
	v_mov_b32_e32 v29, 0x4280a2ba
	v_fma_f32 v27, v25, v27, 1.0
	v_fmaak_f32 v28, v25, v28, 0xbfa429da
	v_fmac_f32_e32 v29, 0, v25
	v_fma_f32 v26, v25, v26, 1.0
	v_fmaak_f32 v28, v25, v28, 0xc19c6e80
	v_fmaak_f32 v29, v25, v29, 0x44561b86
	v_div_scale_f32 v30, s[0:1], v27, v27, v26
	v_fmaak_f32 v28, v25, v28, 0xc2ba697b
	v_fmaak_f32 v29, v25, v29, 0x4572a66e
	v_rcp_f32_e32 v31, v30
	v_fmaak_f32 v28, v25, v28, 0xc331ae61
	v_fmaak_f32 v29, v25, v29, 0x45e243be
	;; [unrolled: 1-line block ×8, first 2 shown]
	v_fma_f32 v29, -v30, v31, 1.0
	v_fmac_f32_e32 v31, v29, v31
	v_div_scale_f32 v29, vcc, v26, v27, v26
	v_mul_f32_e32 v32, v29, v31
	v_fma_f32 v33, -v30, v32, v29
	v_fmac_f32_e32 v32, v33, v31
	v_fma_f32 v29, -v30, v32, v29
	v_div_fmas_f32 v29, v29, v31, v32
	v_div_fixup_f32 v26, v29, v27, v26
	v_mul_f32_e32 v27, v19, v19
	v_mov_b32_e32 v29, 0x3c0881c4
	v_fmamk_f32 v30, v27, 0xb94c1982, v29
	v_fmaak_f32 v30, v27, v30, 0xbe2aaa9d
	v_mul_f32_e32 v30, v27, v30
	v_fmac_f32_e32 v19, v19, v30
	v_mov_b32_e32 v30, 0xbab64f3b
	v_fmamk_f32 v32, v27, 0x37d75334, v30
	v_fmaak_f32 v32, v27, v32, 0x3d2aabf7
	v_fmaak_f32 v32, v27, v32, 0xbf000004
	v_fma_f32 v27, v27, v32, 1.0
	v_and_b32_e32 v32, 1, v18
	v_lshlrev_b32_e32 v18, 30, v18
	v_cmp_eq_u32_e32 vcc, 0, v32
	v_and_b32_e32 v18, 0x80000000, v18
	v_xor_b32_e32 v17, v17, v18
	v_cndmask_b32_e32 v19, v27, v19, vcc
	v_div_scale_f32 v18, s[0:1], v20, v20, s4
	v_xor_b32_e32 v17, v17, v19
	v_rcp_f32_e32 v19, v18
	s_movk_i32 s2, 0x1f8
	v_mov_b32_e32 v27, 0x7fc00000
	v_cmp_class_f32_e64 s[0:1], v16, s2
	v_mov_b32_e32 v31, 0xbe2aaa9d
	v_mov_b32_e32 v33, 0x3d2aabf7
	v_cndmask_b32_e64 v16, v27, v17, s[0:1]
	v_fma_f32 v17, -v18, v19, 1.0
	v_fmac_f32_e32 v19, v17, v19
	v_div_scale_f32 v17, vcc, s4, v20, s4
	v_mul_f32_e32 v32, v17, v19
	v_fma_f32 v35, -v18, v32, v17
	v_fmac_f32_e32 v32, v35, v19
	v_fma_f32 v17, -v18, v32, v17
	v_div_scale_f32 v18, s[2:3], v25, v25, v28
	v_rcp_f32_e32 v35, v18
	v_div_fmas_f32 v17, v17, v19, v32
	v_div_fixup_f32 v17, v17, v20, s4
	v_fma_f32 v19, -v18, v35, 1.0
	v_fmac_f32_e32 v35, v19, v35
	v_div_scale_f32 v19, vcc, v28, v25, v28
	v_mul_f32_e32 v32, v19, v35
	v_fma_f32 v36, -v18, v32, v19
	v_fmac_f32_e32 v32, v36, v35
	v_fma_f32 v18, -v18, v32, v19
	v_div_fmas_f32 v18, v18, v35, v32
	v_div_fixup_f32 v18, v18, v25, v28
	v_mul_f32_e32 v17, v17, v18
	v_mul_f32_e32 v18, v24, v24
	v_fmac_f32_e32 v29, 0xb94c1982, v18
	v_fmac_f32_e32 v31, v18, v29
	;; [unrolled: 1-line block ×3, first 2 shown]
	v_mul_f32_e32 v19, v18, v31
	v_fmac_f32_e32 v33, v18, v30
	v_fmac_f32_e32 v24, v24, v19
	;; [unrolled: 1-line block ×3, first 2 shown]
	v_and_b32_e32 v19, 1, v23
	v_fma_f32 v18, v18, v34, 1.0
	v_cmp_eq_u32_e32 vcc, 0, v19
	v_lshlrev_b32_e32 v19, 30, v23
	v_and_b32_e32 v19, 0x80000000, v19
	v_cndmask_b32_e64 v18, -v24, v18, vcc
	v_xor_b32_e32 v18, v19, v18
	v_cndmask_b32_e64 v18, v27, v18, s[0:1]
	s_mov_b32 s0, 0xf800000
	v_mul_f32_e32 v19, 0x4f800000, v20
	v_cmp_gt_f32_e32 vcc, s0, v20
	v_mul_f32_e32 v17, v17, v18
	v_fmac_f32_e32 v17, v26, v16
	v_cndmask_b32_e32 v19, v20, v19, vcc
	v_sqrt_f32_e32 v20, v19
	v_mul_f32_e32 v16, 0x3f4c422a, v17
	v_add_u32_e32 v17, -1, v20
	v_fma_f32 v18, -v17, v20, v19
	v_cmp_ge_f32_e64 s[0:1], 0, v18
	v_add_u32_e32 v18, 1, v20
	s_nop 0
	v_cndmask_b32_e64 v17, v20, v17, s[0:1]
	v_fma_f32 v20, -v18, v20, v19
	v_cmp_lt_f32_e64 s[0:1], 0, v20
	s_nop 1
	v_cndmask_b32_e64 v17, v17, v18, s[0:1]
	v_mul_f32_e32 v18, 0x37800000, v17
	v_cndmask_b32_e32 v17, v17, v18, vcc
	v_mov_b32_e32 v18, 0x260
	v_cmp_class_f32_e32 vcc, v19, v18
	s_nop 1
	v_cndmask_b32_e32 v17, v17, v19, vcc
	v_div_scale_f32 v18, s[0:1], v17, v17, v16
	v_rcp_f32_e32 v19, v18
	s_nop 0
	v_fma_f32 v20, -v18, v19, 1.0
	v_fmac_f32_e32 v19, v20, v19
	v_div_scale_f32 v20, vcc, v16, v17, v16
	v_mul_f32_e32 v23, v20, v19
	v_fma_f32 v24, -v18, v23, v20
	v_fmac_f32_e32 v23, v24, v19
	v_fma_f32 v18, -v18, v23, v20
	v_div_fmas_f32 v18, v18, v19, v23
	v_div_fixup_f32 v16, v18, v17, v16
.LBB14_140:
	s_or_b64 exec, exec, s[8:9]
	s_mov_b32 s0, 0x40a00000
	v_cmp_ge_f32_e32 vcc, s0, v21
	s_and_saveexec_b64 s[0:1], vcc
	s_xor_b64 s[2:3], exec, s[0:1]
	s_cbranch_execz .LBB14_150
; %bb.141:
	v_cmp_neq_f32_e32 vcc, 0, v21
	v_mov_b32_e32 v17, 0xff800000
	s_and_saveexec_b64 s[4:5], vcc
	s_cbranch_execz .LBB14_149
; %bb.142:
	v_cmp_ngt_f32_e32 vcc, 0, v21
	v_mov_b32_e32 v17, 0x7fc00000
	s_and_saveexec_b64 s[8:9], vcc
	s_cbranch_execz .LBB14_148
; %bb.143:
	v_mul_f32_e32 v18, v21, v21
	s_mov_b32 s0, 0x3727c5ac
	v_mul_f32_e32 v24, 0, v18
	v_cmp_ngt_f32_e32 vcc, s0, v21
                                        ; implicit-def: $vgpr19
	s_and_saveexec_b64 s[0:1], vcc
	s_xor_b64 s[0:1], exec, s[0:1]
	s_cbranch_execz .LBB14_145
; %bb.144:
	v_add_f32_e32 v17, 0x43f9c815, v24
	v_fmaak_f32 v17, v18, v17, 0x4829b65a
	v_fmaak_f32 v17, v18, v17, 0x4c38c9a1
	;; [unrolled: 1-line block ×3, first 2 shown]
	s_mov_b32 s10, 0xcf8ee29d
	v_mul_f32_e32 v25, v18, v17
	s_mov_b32 s11, 0x53f5f59c
	v_pk_add_f32 v[26:27], v[24:25], s[10:11]
	s_mov_b32 s10, 0x53e3ba8e
	s_mov_b32 s11, 0x578d3514
	v_pk_fma_f32 v[26:27], v[18:19], v[26:27], s[10:11] op_sel_hi:[0,1,1]
	s_mov_b32 s10, 0xd762b0a7
	s_mov_b32 s11, 0x5ae20a0c
	v_pk_fma_f32 v[26:27], v[18:19], v[26:27], s[10:11] op_sel_hi:[0,1,1]
	s_mov_b32 s10, 0x5a09f7c3
	s_mov_b32 s11, 0x5dbdf1a6
	v_pk_fma_f32 v[26:27], v[18:19], v[26:27], s[10:11] op_sel_hi:[0,1,1]
	s_mov_b32 s10, 0xc0b90fdc
	s_mov_b32 s11, 0xc1f3c525
	v_pk_add_f32 v[28:29], v[18:19], s[10:11] op_sel_hi:[0,1]
	v_mul_f32_e32 v17, v28, v29
	v_mul_f32_e32 v17, v17, v26
	v_div_scale_f32 v19, s[10:11], v27, v27, v17
	v_rcp_f32_e32 v20, v19
	s_nop 0
	v_fma_f32 v23, -v19, v20, 1.0
	v_fmac_f32_e32 v20, v23, v20
	v_div_scale_f32 v23, vcc, v17, v27, v17
	v_mul_f32_e32 v25, v23, v20
	v_fma_f32 v26, -v19, v25, v23
	v_fmac_f32_e32 v25, v26, v20
	v_fma_f32 v19, -v19, v25, v23
	v_div_fmas_f32 v19, v19, v20, v25
	v_div_fixup_f32 v19, v19, v27, v17
.LBB14_145:
	s_andn2_saveexec_b64 s[0:1], s[0:1]
; %bb.146:
	v_mov_b32_e32 v17, 1.0
	v_fmamk_f32 v19, v18, 0xbe800000, v17
; %bb.147:
	s_or_b64 exec, exec, s[0:1]
	v_add_f32_e32 v17, 0x4673a1bf, v24
	v_fmaak_f32 v17, v18, v17, 0xcb5fc0fa
	v_add_f32_e32 v20, 0x44822913, v24
	v_fmaak_f32 v17, v18, v17, 0x4fa1fbc8
	v_fmaak_f32 v20, v18, v20, 0x4918dbb5
	;; [unrolled: 1-line block ×12, first 2 shown]
	v_div_scale_f32 v18, s[0:1], v20, v20, v17
	v_rcp_f32_e32 v23, v18
	s_mov_b32 s0, 0x800000
	v_cmp_gt_f32_e64 s[0:1], s0, v21
	s_mov_b32 s10, 0x3f317217
	v_fma_f32 v24, -v18, v23, 1.0
	v_fmac_f32_e32 v23, v24, v23
	v_div_scale_f32 v24, vcc, v17, v20, v17
	v_mul_f32_e32 v25, v24, v23
	v_fma_f32 v26, -v18, v25, v24
	v_fmac_f32_e32 v25, v26, v23
	v_fma_f32 v18, -v18, v25, v24
	v_mov_b32_e32 v24, 0x4f800000
	v_cndmask_b32_e64 v24, 1.0, v24, s[0:1]
	v_mul_f32_e32 v21, v21, v24
	v_log_f32_e32 v21, v21
	v_div_fmas_f32 v18, v18, v23, v25
	v_div_fixup_f32 v17, v18, v20, v17
	v_mul_f32_e32 v18, 0x3f317217, v21
	v_fma_f32 v20, v21, s10, -v18
	v_fmamk_f32 v20, v21, 0x3377d1cf, v20
	s_mov_b32 s10, 0x7f800000
	v_add_f32_e32 v18, v18, v20
	v_cmp_lt_f32_e64 vcc, |v21|, s10
	v_mov_b32_e32 v20, 0x41b17218
	v_cndmask_b32_e64 v20, 0, v20, s[0:1]
	v_cndmask_b32_e32 v18, v21, v18, vcc
	v_sub_f32_e32 v18, v18, v20
	v_mul_f32_e32 v18, 0x3f22f983, v18
	v_fmac_f32_e32 v17, v18, v19
.LBB14_148:
	s_or_b64 exec, exec, s[8:9]
.LBB14_149:
	s_or_b64 exec, exec, s[4:5]
                                        ; implicit-def: $vgpr18_vgpr19_vgpr20_vgpr21
.LBB14_150:
	s_andn2_saveexec_b64 s[8:9], s[2:3]
	s_cbranch_execz .LBB14_160
; %bb.151:
	v_add_f32_e32 v17, 0xbf490fdb, v21
	v_and_b32_e32 v18, 0x7fffffff, v17
	s_brev_b32 s0, 18
	v_cmp_nlt_f32_e64 s[10:11], |v17|, s0
	v_lshrrev_b32_e32 v25, 23, v18
                                        ; implicit-def: $vgpr19
                                        ; implicit-def: $vgpr20
	s_and_saveexec_b64 s[0:1], s[10:11]
	s_xor_b64 s[12:13], exec, s[0:1]
	s_cbranch_execz .LBB14_153
; %bb.152:
	v_add_u32_e32 v19, 0xffffff88, v25
	v_not_b32_e32 v20, 63
	v_cmp_lt_u32_e32 vcc, 63, v19
	s_mov_b32 s4, 0xfe5163ab
	v_mov_b32_e32 v27, 0
	v_cndmask_b32_e32 v20, 0, v20, vcc
	v_add_u32_e32 v19, v20, v19
	v_not_b32_e32 v20, 31
	v_cmp_lt_u32_e64 s[0:1], 31, v19
	s_nop 1
	v_cndmask_b32_e64 v23, 0, v20, s[0:1]
	v_add_u32_e32 v19, v23, v19
	v_cmp_lt_u32_e64 s[2:3], 31, v19
	s_nop 1
	v_cndmask_b32_e64 v20, 0, v20, s[2:3]
	v_add_u32_e32 v19, v20, v19
	v_and_b32_e32 v20, 0x7fffff, v18
	v_or_b32_e32 v20, 0x800000, v20
	v_mad_u64_u32 v[28:29], s[4:5], v20, s4, 0
	v_mov_b32_e32 v26, v29
	s_mov_b32 s4, 0x3c439041
	v_mad_u64_u32 v[30:31], s[4:5], v20, s4, v[26:27]
	v_mov_b32_e32 v26, v31
	s_mov_b32 s4, 0xdb629599
	;; [unrolled: 3-line block ×6, first 2 shown]
	v_mad_u64_u32 v[26:27], s[4:5], v20, s4, v[26:27]
	v_cndmask_b32_e32 v23, v38, v34, vcc
	v_cndmask_b32_e32 v20, v26, v36, vcc
	;; [unrolled: 1-line block ×3, first 2 shown]
	v_cndmask_b32_e64 v24, v20, v23, s[0:1]
	v_cndmask_b32_e64 v20, v26, v20, s[0:1]
	v_cndmask_b32_e32 v26, v36, v32, vcc
	v_cndmask_b32_e64 v23, v23, v26, s[0:1]
	v_cndmask_b32_e64 v20, v20, v24, s[2:3]
	;; [unrolled: 1-line block ×3, first 2 shown]
	v_sub_u32_e32 v27, 32, v19
	v_alignbit_b32 v29, v20, v24, v27
	v_cmp_eq_u32_e64 s[4:5], 0, v19
	v_cndmask_b32_e32 v28, v32, v28, vcc
	s_nop 0
	v_cndmask_b32_e64 v19, v29, v20, s[4:5]
	v_cndmask_b32_e32 v20, v34, v30, vcc
	v_cndmask_b32_e64 v26, v26, v20, s[0:1]
	v_cndmask_b32_e64 v23, v23, v26, s[2:3]
	v_alignbit_b32 v29, v24, v23, v27
	v_cndmask_b32_e64 v24, v29, v24, s[4:5]
	v_bfe_u32 v31, v19, 29, 1
	v_cndmask_b32_e64 v20, v20, v28, s[0:1]
	v_alignbit_b32 v29, v19, v24, 30
	v_sub_u32_e32 v33, 0, v31
	v_cndmask_b32_e64 v20, v26, v20, s[2:3]
	v_xor_b32_e32 v34, v29, v33
	v_alignbit_b32 v26, v23, v20, v27
	v_cndmask_b32_e64 v23, v26, v23, s[4:5]
	v_ffbh_u32_e32 v26, v34
	v_add_u32_e32 v26, 1, v26
	v_cmp_ne_u32_e32 vcc, v29, v33
	v_alignbit_b32 v24, v24, v23, 30
	v_alignbit_b32 v20, v23, v20, 30
	v_cndmask_b32_e32 v26, 33, v26, vcc
	v_xor_b32_e32 v24, v24, v33
	v_sub_u32_e32 v27, 32, v26
	v_xor_b32_e32 v20, v20, v33
	v_alignbit_b32 v28, v34, v24, v27
	v_alignbit_b32 v20, v24, v20, v27
	;; [unrolled: 1-line block ×3, first 2 shown]
	v_ffbh_u32_e32 v24, v23
	v_min_u32_e32 v24, 32, v24
	v_lshrrev_b32_e32 v30, 29, v19
	v_sub_u32_e32 v27, 31, v24
	v_alignbit_b32 v20, v23, v20, v27
	v_lshlrev_b32_e32 v23, 31, v30
	v_or_b32_e32 v27, 0x33800000, v23
	v_add_lshl_u32 v24, v24, v26, 23
	v_lshrrev_b32_e32 v20, 9, v20
	v_sub_u32_e32 v24, v27, v24
	v_or_b32_e32 v20, v24, v20
	v_alignbit_b32 v24, v26, v28, 9
	v_or_b32_e32 v23, v24, v23
	v_xor_b32_e32 v23, 1.0, v23
	s_mov_b32 s0, 0x3fc90fda
	v_mul_f32_e32 v24, 0x3fc90fda, v23
	v_fma_f32 v26, v23, s0, -v24
	v_fmamk_f32 v23, v23, 0x33a22168, v26
	v_fmac_f32_e32 v23, 0x3fc90fda, v20
	v_lshrrev_b32_e32 v19, 30, v19
	v_add_f32_e32 v20, v24, v23
	v_add_u32_e32 v19, v31, v19
	s_andn2_saveexec_b64 s[0:1], s[12:13]
	s_branch .LBB14_154
.LBB14_153:
	s_andn2_saveexec_b64 s[0:1], s[12:13]
.LBB14_154:
	s_mov_b32 s2, 0x3f22f983
	v_mul_f32_e64 v19, |v17|, s2
	v_rndne_f32_e32 v20, v19
	s_mov_b32 s2, 0xbfc90fda
	v_cvt_i32_f32_e32 v19, v20
	v_fma_f32 v23, v20, s2, |v17|
	v_fmamk_f32 v23, v20, 0xb3a22168, v23
	v_fmamk_f32 v20, v20, 0xa7c234c4, v23
; %bb.155:
	s_or_b64 exec, exec, s[0:1]
                                        ; implicit-def: $vgpr23
                                        ; implicit-def: $vgpr24
	s_and_saveexec_b64 s[0:1], s[10:11]
	s_xor_b64 s[10:11], exec, s[0:1]
	s_cbranch_execz .LBB14_157
; %bb.156:
	v_add_u32_e32 v23, 0xffffff88, v25
	v_not_b32_e32 v24, 63
	v_cmp_lt_u32_e32 vcc, 63, v23
	s_mov_b32 s4, 0xfe5163ab
	v_mov_b32_e32 v25, 0
	v_cndmask_b32_e32 v24, 0, v24, vcc
	v_add_u32_e32 v23, v24, v23
	v_not_b32_e32 v24, 31
	v_cmp_lt_u32_e64 s[0:1], 31, v23
	s_nop 1
	v_cndmask_b32_e64 v26, 0, v24, s[0:1]
	v_add_u32_e32 v23, v26, v23
	v_cmp_lt_u32_e64 s[2:3], 31, v23
	s_nop 1
	v_cndmask_b32_e64 v24, 0, v24, s[2:3]
	v_add_u32_e32 v23, v24, v23
	v_and_b32_e32 v24, 0x7fffff, v18
	v_or_b32_e32 v38, 0x800000, v24
	v_mad_u64_u32 v[26:27], s[4:5], v38, s4, 0
	v_mov_b32_e32 v24, v27
	s_mov_b32 s4, 0x3c439041
	v_mad_u64_u32 v[28:29], s[4:5], v38, s4, v[24:25]
	v_mov_b32_e32 v24, v29
	s_mov_b32 s4, 0xdb629599
	;; [unrolled: 3-line block ×6, first 2 shown]
	v_mad_u64_u32 v[24:25], s[4:5], v38, s4, v[24:25]
	v_cndmask_b32_e32 v27, v36, v32, vcc
	v_cndmask_b32_e32 v24, v24, v34, vcc
	;; [unrolled: 1-line block ×3, first 2 shown]
	v_cndmask_b32_e64 v29, v24, v27, s[0:1]
	v_cndmask_b32_e64 v24, v25, v24, s[0:1]
	v_cndmask_b32_e32 v25, v34, v30, vcc
	v_cndmask_b32_e64 v27, v27, v25, s[0:1]
	v_cndmask_b32_e64 v24, v24, v29, s[2:3]
	;; [unrolled: 1-line block ×3, first 2 shown]
	v_sub_u32_e32 v31, 32, v23
	v_alignbit_b32 v33, v24, v29, v31
	v_cmp_eq_u32_e64 s[4:5], 0, v23
	v_cndmask_b32_e32 v26, v30, v26, vcc
	s_nop 0
	v_cndmask_b32_e64 v23, v33, v24, s[4:5]
	v_cndmask_b32_e32 v24, v32, v28, vcc
	v_cndmask_b32_e64 v25, v25, v24, s[0:1]
	v_cndmask_b32_e64 v27, v27, v25, s[2:3]
	v_alignbit_b32 v28, v29, v27, v31
	v_cndmask_b32_e64 v28, v28, v29, s[4:5]
	v_bfe_u32 v33, v23, 29, 1
	v_cndmask_b32_e64 v24, v24, v26, s[0:1]
	v_alignbit_b32 v29, v23, v28, 30
	v_sub_u32_e32 v34, 0, v33
	v_cndmask_b32_e64 v24, v25, v24, s[2:3]
	v_xor_b32_e32 v35, v29, v34
	v_alignbit_b32 v25, v27, v24, v31
	v_cndmask_b32_e64 v25, v25, v27, s[4:5]
	v_ffbh_u32_e32 v27, v35
	v_add_u32_e32 v27, 1, v27
	v_cmp_ne_u32_e32 vcc, v29, v34
	v_alignbit_b32 v26, v28, v25, 30
	v_alignbit_b32 v24, v25, v24, 30
	v_cndmask_b32_e32 v27, 33, v27, vcc
	v_xor_b32_e32 v26, v26, v34
	v_sub_u32_e32 v28, 32, v27
	v_xor_b32_e32 v24, v24, v34
	v_alignbit_b32 v29, v35, v26, v28
	v_alignbit_b32 v24, v26, v24, v28
	;; [unrolled: 1-line block ×3, first 2 shown]
	v_ffbh_u32_e32 v26, v25
	v_min_u32_e32 v26, 32, v26
	v_lshrrev_b32_e32 v32, 29, v23
	v_sub_u32_e32 v28, 31, v26
	v_alignbit_b32 v24, v25, v24, v28
	v_lshlrev_b32_e32 v25, 31, v32
	v_or_b32_e32 v28, 0x33800000, v25
	v_add_lshl_u32 v26, v26, v27, 23
	v_lshrrev_b32_e32 v24, 9, v24
	v_sub_u32_e32 v26, v28, v26
	v_or_b32_e32 v24, v26, v24
	v_alignbit_b32 v26, v27, v29, 9
	v_or_b32_e32 v25, v26, v25
	v_xor_b32_e32 v25, 1.0, v25
	s_mov_b32 s0, 0x3fc90fda
	v_mul_f32_e32 v26, 0x3fc90fda, v25
	v_fma_f32 v27, v25, s0, -v26
	v_fmamk_f32 v25, v25, 0x33a22168, v27
	v_fmac_f32_e32 v25, 0x3fc90fda, v24
	v_lshrrev_b32_e32 v23, 30, v23
	v_add_f32_e32 v24, v26, v25
	v_add_u32_e32 v23, v33, v23
	s_andn2_saveexec_b64 s[0:1], s[10:11]
	s_cbranch_execnz .LBB14_158
	s_branch .LBB14_159
.LBB14_157:
	s_andn2_saveexec_b64 s[0:1], s[10:11]
.LBB14_158:
	s_mov_b32 s2, 0x3f22f983
	v_mul_f32_e64 v23, |v17|, s2
	v_rndne_f32_e32 v24, v23
	s_mov_b32 s2, 0xbfc90fda
	v_cvt_i32_f32_e32 v23, v24
	v_fma_f32 v25, v24, s2, |v17|
	v_fmamk_f32 v25, v24, 0xb3a22168, v25
	v_fmamk_f32 v24, v24, 0xa7c234c4, v25
.LBB14_159:
	s_or_b64 exec, exec, s[0:1]
	v_mul_f32_e32 v25, v21, v21
	s_mov_b32 s2, 0x41c80000
	v_div_scale_f32 v26, s[0:1], v25, v25, s2
	v_rcp_f32_e32 v27, v26
	v_xor_b32_e32 v18, v18, v17
	s_mov_b32 s4, 0x40a00000
	v_mov_b32_e32 v34, 0xbf000004
	v_fma_f32 v28, -v26, v27, 1.0
	v_fmac_f32_e32 v27, v28, v27
	v_div_scale_f32 v28, vcc, s2, v25, s2
	v_mul_f32_e32 v29, v28, v27
	v_fma_f32 v30, -v26, v29, v28
	v_fmac_f32_e32 v29, v30, v27
	v_fma_f32 v26, -v26, v29, v28
	v_div_fmas_f32 v26, v26, v27, v29
	v_div_fixup_f32 v25, v26, v25, s2
	v_mov_b32_e32 v26, 0x3a50e985
	v_mov_b32_e32 v27, 0x3a725406
	v_fmac_f32_e32 v26, 0, v25
	v_fmac_f32_e32 v27, 0, v25
	v_fmaak_f32 v26, v25, v26, 0x3da9a586
	v_fmaak_f32 v27, v25, v27, 0x3daf5e2d
	;; [unrolled: 1-line block ×8, first 2 shown]
	v_mov_b32_e32 v28, 0xbc3a3a12
	v_fmaak_f32 v26, v25, v26, 0x40a9b425
	v_fmaak_f32 v27, v25, v27, 0x40a9cb2f
	v_fmac_f32_e32 v28, 0, v25
	v_mov_b32_e32 v29, 0x4280a2ba
	v_fma_f32 v27, v25, v27, 1.0
	v_fmaak_f32 v28, v25, v28, 0xbfa429da
	v_fmac_f32_e32 v29, 0, v25
	v_fma_f32 v26, v25, v26, 1.0
	v_fmaak_f32 v28, v25, v28, 0xc19c6e80
	v_fmaak_f32 v29, v25, v29, 0x44561b86
	v_div_scale_f32 v30, s[0:1], v27, v27, v26
	v_fmaak_f32 v28, v25, v28, 0xc2ba697b
	v_fmaak_f32 v29, v25, v29, 0x4572a66e
	v_rcp_f32_e32 v31, v30
	v_fmaak_f32 v28, v25, v28, 0xc331ae61
	v_fmaak_f32 v29, v25, v29, 0x45e243be
	;; [unrolled: 1-line block ×8, first 2 shown]
	v_fma_f32 v29, -v30, v31, 1.0
	v_fmac_f32_e32 v31, v29, v31
	v_div_scale_f32 v29, vcc, v26, v27, v26
	v_mul_f32_e32 v32, v29, v31
	v_fma_f32 v33, -v30, v32, v29
	v_fmac_f32_e32 v32, v33, v31
	v_fma_f32 v29, -v30, v32, v29
	v_div_fmas_f32 v29, v29, v31, v32
	v_div_fixup_f32 v26, v29, v27, v26
	v_mul_f32_e32 v27, v20, v20
	v_mov_b32_e32 v29, 0x3c0881c4
	v_fmamk_f32 v30, v27, 0xb94c1982, v29
	v_fmaak_f32 v30, v27, v30, 0xbe2aaa9d
	v_mul_f32_e32 v30, v27, v30
	v_fmac_f32_e32 v20, v20, v30
	v_mov_b32_e32 v30, 0xbab64f3b
	v_fmamk_f32 v32, v27, 0x37d75334, v30
	v_fmaak_f32 v32, v27, v32, 0x3d2aabf7
	v_fmaak_f32 v32, v27, v32, 0xbf000004
	v_fma_f32 v27, v27, v32, 1.0
	v_and_b32_e32 v32, 1, v19
	v_lshlrev_b32_e32 v19, 30, v19
	v_cmp_eq_u32_e32 vcc, 0, v32
	v_and_b32_e32 v19, 0x80000000, v19
	v_xor_b32_e32 v18, v18, v19
	v_cndmask_b32_e32 v20, v27, v20, vcc
	v_div_scale_f32 v19, s[0:1], v21, v21, s4
	v_xor_b32_e32 v18, v18, v20
	v_rcp_f32_e32 v20, v19
	s_movk_i32 s2, 0x1f8
	v_mov_b32_e32 v27, 0x7fc00000
	v_cmp_class_f32_e64 s[0:1], v17, s2
	v_mov_b32_e32 v31, 0xbe2aaa9d
	v_mov_b32_e32 v33, 0x3d2aabf7
	v_cndmask_b32_e64 v17, v27, v18, s[0:1]
	v_fma_f32 v18, -v19, v20, 1.0
	v_fmac_f32_e32 v20, v18, v20
	v_div_scale_f32 v18, vcc, s4, v21, s4
	v_mul_f32_e32 v32, v18, v20
	v_fma_f32 v35, -v19, v32, v18
	v_fmac_f32_e32 v32, v35, v20
	v_fma_f32 v18, -v19, v32, v18
	v_div_scale_f32 v19, s[2:3], v25, v25, v28
	v_rcp_f32_e32 v35, v19
	v_div_fmas_f32 v18, v18, v20, v32
	v_div_fixup_f32 v18, v18, v21, s4
	v_fma_f32 v20, -v19, v35, 1.0
	v_fmac_f32_e32 v35, v20, v35
	v_div_scale_f32 v20, vcc, v28, v25, v28
	v_mul_f32_e32 v32, v20, v35
	v_fma_f32 v36, -v19, v32, v20
	v_fmac_f32_e32 v32, v36, v35
	v_fma_f32 v19, -v19, v32, v20
	v_div_fmas_f32 v19, v19, v35, v32
	v_div_fixup_f32 v19, v19, v25, v28
	v_mul_f32_e32 v18, v18, v19
	v_mul_f32_e32 v19, v24, v24
	v_fmac_f32_e32 v29, 0xb94c1982, v19
	v_fmac_f32_e32 v31, v19, v29
	;; [unrolled: 1-line block ×3, first 2 shown]
	v_mul_f32_e32 v20, v19, v31
	v_fmac_f32_e32 v33, v19, v30
	v_fmac_f32_e32 v24, v24, v20
	;; [unrolled: 1-line block ×3, first 2 shown]
	v_and_b32_e32 v20, 1, v23
	v_fma_f32 v19, v19, v34, 1.0
	v_cmp_eq_u32_e32 vcc, 0, v20
	v_lshlrev_b32_e32 v20, 30, v23
	v_and_b32_e32 v20, 0x80000000, v20
	v_cndmask_b32_e64 v19, -v24, v19, vcc
	v_xor_b32_e32 v19, v20, v19
	v_cndmask_b32_e64 v19, v27, v19, s[0:1]
	s_mov_b32 s0, 0xf800000
	v_mul_f32_e32 v20, 0x4f800000, v21
	v_cmp_gt_f32_e32 vcc, s0, v21
	v_mul_f32_e32 v18, v18, v19
	v_fmac_f32_e32 v18, v26, v17
	v_cndmask_b32_e32 v20, v21, v20, vcc
	v_sqrt_f32_e32 v21, v20
	v_mul_f32_e32 v17, 0x3f4c422a, v18
	v_add_u32_e32 v18, -1, v21
	v_fma_f32 v19, -v18, v21, v20
	v_cmp_ge_f32_e64 s[0:1], 0, v19
	v_add_u32_e32 v19, 1, v21
	s_nop 0
	v_cndmask_b32_e64 v18, v21, v18, s[0:1]
	v_fma_f32 v21, -v19, v21, v20
	v_cmp_lt_f32_e64 s[0:1], 0, v21
	s_nop 1
	v_cndmask_b32_e64 v18, v18, v19, s[0:1]
	v_mul_f32_e32 v19, 0x37800000, v18
	v_cndmask_b32_e32 v18, v18, v19, vcc
	v_mov_b32_e32 v19, 0x260
	v_cmp_class_f32_e32 vcc, v20, v19
	s_nop 1
	v_cndmask_b32_e32 v18, v18, v20, vcc
	v_div_scale_f32 v19, s[0:1], v18, v18, v17
	v_rcp_f32_e32 v20, v19
	s_nop 0
	v_fma_f32 v21, -v19, v20, 1.0
	v_fmac_f32_e32 v20, v21, v20
	v_div_scale_f32 v21, vcc, v17, v18, v17
	v_mul_f32_e32 v23, v21, v20
	v_fma_f32 v24, -v19, v23, v21
	v_fmac_f32_e32 v23, v24, v20
	v_fma_f32 v19, -v19, v23, v21
	v_div_fmas_f32 v19, v19, v20, v23
	v_div_fixup_f32 v17, v19, v18, v17
.LBB14_160:
	s_or_b64 exec, exec, s[8:9]
	s_mov_b32 s0, 0x40a00000
	v_cmp_ge_f32_e32 vcc, s0, v10
                                        ; implicit-def: $vgpr18
	s_and_saveexec_b64 s[0:1], vcc
	s_xor_b64 s[2:3], exec, s[0:1]
	s_cbranch_execz .LBB14_170
; %bb.161:
	v_cmp_neq_f32_e32 vcc, 0, v10
	v_mov_b32_e32 v18, 0xff800000
	s_and_saveexec_b64 s[4:5], vcc
	s_cbranch_execz .LBB14_169
; %bb.162:
	v_cmp_ngt_f32_e32 vcc, 0, v10
	v_mov_b32_e32 v18, 0x7fc00000
	s_and_saveexec_b64 s[8:9], vcc
	s_cbranch_execz .LBB14_168
; %bb.163:
	v_mul_f32_e32 v18, v10, v10
	s_mov_b32 s0, 0x3727c5ac
	v_mul_f32_e32 v20, 0, v18
	v_cmp_ngt_f32_e32 vcc, s0, v10
                                        ; implicit-def: $vgpr19
	s_and_saveexec_b64 s[0:1], vcc
	s_xor_b64 s[0:1], exec, s[0:1]
	s_cbranch_execz .LBB14_165
; %bb.164:
	v_add_f32_e32 v19, 0x43f9c815, v20
	v_fmaak_f32 v19, v18, v19, 0x4829b65a
	v_fmaak_f32 v19, v18, v19, 0x4c38c9a1
	;; [unrolled: 1-line block ×3, first 2 shown]
	s_mov_b32 s10, 0xcf8ee29d
	v_mul_f32_e32 v21, v18, v19
	s_mov_b32 s11, 0x53f5f59c
	v_pk_add_f32 v[24:25], v[20:21], s[10:11]
	s_mov_b32 s10, 0x53e3ba8e
	s_mov_b32 s11, 0x578d3514
	v_pk_fma_f32 v[24:25], v[18:19], v[24:25], s[10:11] op_sel_hi:[0,1,1]
	s_mov_b32 s10, 0xd762b0a7
	s_mov_b32 s11, 0x5ae20a0c
	v_pk_fma_f32 v[24:25], v[18:19], v[24:25], s[10:11] op_sel_hi:[0,1,1]
	s_mov_b32 s10, 0x5a09f7c3
	s_mov_b32 s11, 0x5dbdf1a6
	v_pk_fma_f32 v[24:25], v[18:19], v[24:25], s[10:11] op_sel_hi:[0,1,1]
	s_mov_b32 s10, 0xc0b90fdc
	s_mov_b32 s11, 0xc1f3c525
	v_pk_add_f32 v[26:27], v[18:19], s[10:11] op_sel_hi:[0,1]
	v_mul_f32_e32 v19, v26, v27
	v_mul_f32_e32 v19, v19, v24
	v_div_scale_f32 v21, s[10:11], v25, v25, v19
	v_rcp_f32_e32 v23, v21
	s_nop 0
	v_fma_f32 v24, -v21, v23, 1.0
	v_fmac_f32_e32 v23, v24, v23
	v_div_scale_f32 v24, vcc, v19, v25, v19
	v_mul_f32_e32 v26, v24, v23
	v_fma_f32 v27, -v21, v26, v24
	v_fmac_f32_e32 v26, v27, v23
	v_fma_f32 v21, -v21, v26, v24
	v_div_fmas_f32 v21, v21, v23, v26
	v_div_fixup_f32 v19, v21, v25, v19
.LBB14_165:
	s_andn2_saveexec_b64 s[0:1], s[0:1]
; %bb.166:
	v_mov_b32_e32 v19, 1.0
	v_fmamk_f32 v19, v18, 0xbe800000, v19
; %bb.167:
	s_or_b64 exec, exec, s[0:1]
	v_add_f32_e32 v21, 0x4673a1bf, v20
	v_fmaak_f32 v21, v18, v21, 0xcb5fc0fa
	v_add_f32_e32 v20, 0x44822913, v20
	v_fmaak_f32 v21, v18, v21, 0x4fa1fbc8
	v_fmaak_f32 v20, v18, v20, 0x4918dbb5
	;; [unrolled: 1-line block ×12, first 2 shown]
	v_div_scale_f32 v21, s[0:1], v20, v20, v18
	v_rcp_f32_e32 v23, v21
	s_mov_b32 s0, 0x800000
	v_cmp_gt_f32_e64 s[0:1], s0, v10
	s_mov_b32 s10, 0x3f317217
	v_fma_f32 v24, -v21, v23, 1.0
	v_fmac_f32_e32 v23, v24, v23
	v_div_scale_f32 v24, vcc, v18, v20, v18
	v_mul_f32_e32 v25, v24, v23
	v_fma_f32 v26, -v21, v25, v24
	v_fmac_f32_e32 v25, v26, v23
	v_fma_f32 v21, -v21, v25, v24
	v_mov_b32_e32 v24, 0x4f800000
	v_cndmask_b32_e64 v24, 1.0, v24, s[0:1]
	v_mul_f32_e32 v24, v10, v24
	v_log_f32_e32 v24, v24
	v_div_fmas_f32 v21, v21, v23, v25
	v_div_fixup_f32 v18, v21, v20, v18
	v_mul_f32_e32 v20, 0x3f317217, v24
	v_fma_f32 v21, v24, s10, -v20
	v_fmamk_f32 v21, v24, 0x3377d1cf, v21
	s_mov_b32 s10, 0x7f800000
	v_add_f32_e32 v20, v20, v21
	v_cmp_lt_f32_e64 vcc, |v24|, s10
	v_mov_b32_e32 v21, 0x41b17218
	v_cndmask_b32_e64 v21, 0, v21, s[0:1]
	v_cndmask_b32_e32 v20, v24, v20, vcc
	v_sub_f32_e32 v20, v20, v21
	v_mul_f32_e32 v20, 0x3f22f983, v20
	v_fmac_f32_e32 v18, v20, v19
.LBB14_168:
	s_or_b64 exec, exec, s[8:9]
.LBB14_169:
	s_or_b64 exec, exec, s[4:5]
.LBB14_170:
	s_andn2_saveexec_b64 s[8:9], s[2:3]
	s_cbranch_execz .LBB14_180
; %bb.171:
	v_add_f32_e32 v18, 0xbf490fdb, v10
	v_and_b32_e32 v19, 0x7fffffff, v18
	s_brev_b32 s0, 18
	v_cmp_nlt_f32_e64 s[10:11], |v18|, s0
	v_lshrrev_b32_e32 v25, 23, v19
                                        ; implicit-def: $vgpr20
                                        ; implicit-def: $vgpr21
	s_and_saveexec_b64 s[0:1], s[10:11]
	s_xor_b64 s[12:13], exec, s[0:1]
	s_cbranch_execz .LBB14_173
; %bb.172:
	v_add_u32_e32 v20, 0xffffff88, v25
	v_not_b32_e32 v23, 63
	v_cmp_lt_u32_e32 vcc, 63, v20
	s_mov_b32 s4, 0xfe5163ab
	v_mov_b32_e32 v21, 0
	v_cndmask_b32_e32 v23, 0, v23, vcc
	v_add_u32_e32 v20, v23, v20
	v_not_b32_e32 v23, 31
	v_cmp_lt_u32_e64 s[0:1], 31, v20
	s_nop 1
	v_cndmask_b32_e64 v24, 0, v23, s[0:1]
	v_add_u32_e32 v20, v24, v20
	v_cmp_lt_u32_e64 s[2:3], 31, v20
	s_nop 1
	v_cndmask_b32_e64 v23, 0, v23, s[2:3]
	v_add_u32_e32 v23, v23, v20
	v_and_b32_e32 v20, 0x7fffff, v19
	v_or_b32_e32 v24, 0x800000, v20
	v_mad_u64_u32 v[26:27], s[4:5], v24, s4, 0
	v_mov_b32_e32 v20, v27
	s_mov_b32 s4, 0x3c439041
	v_mad_u64_u32 v[28:29], s[4:5], v24, s4, v[20:21]
	v_mov_b32_e32 v20, v29
	s_mov_b32 s4, 0xdb629599
	;; [unrolled: 3-line block ×6, first 2 shown]
	v_mad_u64_u32 v[20:21], s[4:5], v24, s4, v[20:21]
	v_cndmask_b32_e32 v27, v36, v32, vcc
	v_cndmask_b32_e32 v20, v20, v34, vcc
	;; [unrolled: 1-line block ×3, first 2 shown]
	v_cndmask_b32_e64 v24, v20, v27, s[0:1]
	v_cndmask_b32_e64 v20, v21, v20, s[0:1]
	v_cndmask_b32_e32 v21, v34, v30, vcc
	v_cndmask_b32_e64 v27, v27, v21, s[0:1]
	v_sub_u32_e32 v29, 32, v23
	v_cmp_eq_u32_e64 s[4:5], 0, v23
	v_cndmask_b32_e32 v23, v32, v28, vcc
	v_cndmask_b32_e64 v20, v20, v24, s[2:3]
	v_cndmask_b32_e64 v24, v24, v27, s[2:3]
	;; [unrolled: 1-line block ×3, first 2 shown]
	v_alignbit_b32 v31, v20, v24, v29
	v_cndmask_b32_e64 v27, v27, v21, s[2:3]
	v_cndmask_b32_e64 v20, v31, v20, s[4:5]
	v_alignbit_b32 v28, v24, v27, v29
	v_cndmask_b32_e64 v24, v28, v24, s[4:5]
	v_bfe_u32 v32, v20, 29, 1
	v_cndmask_b32_e32 v26, v30, v26, vcc
	v_alignbit_b32 v28, v20, v24, 30
	v_sub_u32_e32 v33, 0, v32
	v_cndmask_b32_e64 v23, v23, v26, s[0:1]
	v_xor_b32_e32 v34, v28, v33
	v_cndmask_b32_e64 v21, v21, v23, s[2:3]
	v_alignbit_b32 v23, v27, v21, v29
	v_ffbh_u32_e32 v26, v34
	v_cndmask_b32_e64 v23, v23, v27, s[4:5]
	v_add_u32_e32 v26, 1, v26
	v_cmp_ne_u32_e32 vcc, v28, v33
	v_alignbit_b32 v24, v24, v23, 30
	v_alignbit_b32 v21, v23, v21, 30
	v_cndmask_b32_e32 v26, 33, v26, vcc
	v_xor_b32_e32 v24, v24, v33
	v_sub_u32_e32 v27, 32, v26
	v_xor_b32_e32 v21, v21, v33
	v_alignbit_b32 v28, v34, v24, v27
	v_alignbit_b32 v21, v24, v21, v27
	;; [unrolled: 1-line block ×3, first 2 shown]
	v_ffbh_u32_e32 v24, v23
	v_min_u32_e32 v24, 32, v24
	v_lshrrev_b32_e32 v31, 29, v20
	v_sub_u32_e32 v27, 31, v24
	v_alignbit_b32 v21, v23, v21, v27
	v_lshlrev_b32_e32 v23, 31, v31
	v_or_b32_e32 v27, 0x33800000, v23
	v_add_lshl_u32 v24, v24, v26, 23
	v_lshrrev_b32_e32 v21, 9, v21
	v_sub_u32_e32 v24, v27, v24
	v_or_b32_e32 v21, v24, v21
	v_alignbit_b32 v24, v26, v28, 9
	v_or_b32_e32 v23, v24, v23
	v_xor_b32_e32 v23, 1.0, v23
	s_mov_b32 s0, 0x3fc90fda
	v_mul_f32_e32 v24, 0x3fc90fda, v23
	v_fma_f32 v26, v23, s0, -v24
	v_fmamk_f32 v23, v23, 0x33a22168, v26
	v_fmac_f32_e32 v23, 0x3fc90fda, v21
	v_lshrrev_b32_e32 v20, 30, v20
	v_add_f32_e32 v21, v24, v23
	v_add_u32_e32 v20, v32, v20
	s_andn2_saveexec_b64 s[0:1], s[12:13]
	s_branch .LBB14_174
.LBB14_173:
	s_andn2_saveexec_b64 s[0:1], s[12:13]
.LBB14_174:
	s_mov_b32 s2, 0x3f22f983
	v_mul_f32_e64 v20, |v18|, s2
	v_rndne_f32_e32 v21, v20
	s_mov_b32 s2, 0xbfc90fda
	v_cvt_i32_f32_e32 v20, v21
	v_fma_f32 v23, v21, s2, |v18|
	v_fmamk_f32 v23, v21, 0xb3a22168, v23
	v_fmamk_f32 v21, v21, 0xa7c234c4, v23
; %bb.175:
	s_or_b64 exec, exec, s[0:1]
                                        ; implicit-def: $vgpr23
                                        ; implicit-def: $vgpr24
	s_and_saveexec_b64 s[0:1], s[10:11]
	s_xor_b64 s[10:11], exec, s[0:1]
	s_cbranch_execz .LBB14_177
; %bb.176:
	v_add_u32_e32 v23, 0xffffff88, v25
	v_not_b32_e32 v24, 63
	v_cmp_lt_u32_e32 vcc, 63, v23
	s_mov_b32 s4, 0xfe5163ab
	v_mov_b32_e32 v25, 0
	v_cndmask_b32_e32 v24, 0, v24, vcc
	v_add_u32_e32 v23, v24, v23
	v_not_b32_e32 v24, 31
	v_cmp_lt_u32_e64 s[0:1], 31, v23
	s_nop 1
	v_cndmask_b32_e64 v26, 0, v24, s[0:1]
	v_add_u32_e32 v23, v26, v23
	v_cmp_lt_u32_e64 s[2:3], 31, v23
	s_nop 1
	v_cndmask_b32_e64 v24, 0, v24, s[2:3]
	v_add_u32_e32 v23, v24, v23
	v_and_b32_e32 v24, 0x7fffff, v19
	v_or_b32_e32 v38, 0x800000, v24
	v_mad_u64_u32 v[26:27], s[4:5], v38, s4, 0
	v_mov_b32_e32 v24, v27
	s_mov_b32 s4, 0x3c439041
	v_mad_u64_u32 v[28:29], s[4:5], v38, s4, v[24:25]
	v_mov_b32_e32 v24, v29
	s_mov_b32 s4, 0xdb629599
	;; [unrolled: 3-line block ×6, first 2 shown]
	v_mad_u64_u32 v[24:25], s[4:5], v38, s4, v[24:25]
	v_cndmask_b32_e32 v27, v36, v32, vcc
	v_cndmask_b32_e32 v24, v24, v34, vcc
	;; [unrolled: 1-line block ×3, first 2 shown]
	v_cndmask_b32_e64 v29, v24, v27, s[0:1]
	v_cndmask_b32_e64 v24, v25, v24, s[0:1]
	v_cndmask_b32_e32 v25, v34, v30, vcc
	v_cndmask_b32_e64 v27, v27, v25, s[0:1]
	v_cndmask_b32_e64 v24, v24, v29, s[2:3]
	;; [unrolled: 1-line block ×3, first 2 shown]
	v_sub_u32_e32 v31, 32, v23
	v_alignbit_b32 v33, v24, v29, v31
	v_cmp_eq_u32_e64 s[4:5], 0, v23
	v_cndmask_b32_e32 v26, v30, v26, vcc
	s_nop 0
	v_cndmask_b32_e64 v23, v33, v24, s[4:5]
	v_cndmask_b32_e32 v24, v32, v28, vcc
	v_cndmask_b32_e64 v25, v25, v24, s[0:1]
	v_cndmask_b32_e64 v27, v27, v25, s[2:3]
	v_alignbit_b32 v28, v29, v27, v31
	v_cndmask_b32_e64 v28, v28, v29, s[4:5]
	v_bfe_u32 v33, v23, 29, 1
	v_cndmask_b32_e64 v24, v24, v26, s[0:1]
	v_alignbit_b32 v29, v23, v28, 30
	v_sub_u32_e32 v34, 0, v33
	v_cndmask_b32_e64 v24, v25, v24, s[2:3]
	v_xor_b32_e32 v35, v29, v34
	v_alignbit_b32 v25, v27, v24, v31
	v_cndmask_b32_e64 v25, v25, v27, s[4:5]
	v_ffbh_u32_e32 v27, v35
	v_add_u32_e32 v27, 1, v27
	v_cmp_ne_u32_e32 vcc, v29, v34
	v_alignbit_b32 v26, v28, v25, 30
	v_alignbit_b32 v24, v25, v24, 30
	v_cndmask_b32_e32 v27, 33, v27, vcc
	v_xor_b32_e32 v26, v26, v34
	v_sub_u32_e32 v28, 32, v27
	v_xor_b32_e32 v24, v24, v34
	v_alignbit_b32 v29, v35, v26, v28
	v_alignbit_b32 v24, v26, v24, v28
	v_alignbit_b32 v25, v29, v24, 9
	v_ffbh_u32_e32 v26, v25
	v_min_u32_e32 v26, 32, v26
	v_lshrrev_b32_e32 v32, 29, v23
	v_sub_u32_e32 v28, 31, v26
	v_alignbit_b32 v24, v25, v24, v28
	v_lshlrev_b32_e32 v25, 31, v32
	v_or_b32_e32 v28, 0x33800000, v25
	v_add_lshl_u32 v26, v26, v27, 23
	v_lshrrev_b32_e32 v24, 9, v24
	v_sub_u32_e32 v26, v28, v26
	v_or_b32_e32 v24, v26, v24
	v_alignbit_b32 v26, v27, v29, 9
	v_or_b32_e32 v25, v26, v25
	v_xor_b32_e32 v25, 1.0, v25
	s_mov_b32 s0, 0x3fc90fda
	v_mul_f32_e32 v26, 0x3fc90fda, v25
	v_fma_f32 v27, v25, s0, -v26
	v_fmamk_f32 v25, v25, 0x33a22168, v27
	v_fmac_f32_e32 v25, 0x3fc90fda, v24
	v_lshrrev_b32_e32 v23, 30, v23
	v_add_f32_e32 v24, v26, v25
	v_add_u32_e32 v23, v33, v23
	s_andn2_saveexec_b64 s[0:1], s[10:11]
	s_cbranch_execnz .LBB14_178
	s_branch .LBB14_179
.LBB14_177:
	s_andn2_saveexec_b64 s[0:1], s[10:11]
.LBB14_178:
	s_mov_b32 s2, 0x3f22f983
	v_mul_f32_e64 v23, |v18|, s2
	v_rndne_f32_e32 v24, v23
	s_mov_b32 s2, 0xbfc90fda
	v_cvt_i32_f32_e32 v23, v24
	v_fma_f32 v25, v24, s2, |v18|
	v_fmamk_f32 v25, v24, 0xb3a22168, v25
	v_fmamk_f32 v24, v24, 0xa7c234c4, v25
.LBB14_179:
	s_or_b64 exec, exec, s[0:1]
	v_mul_f32_e32 v25, v10, v10
	s_mov_b32 s2, 0x41c80000
	v_div_scale_f32 v26, s[0:1], v25, v25, s2
	v_rcp_f32_e32 v27, v26
	v_xor_b32_e32 v19, v19, v18
	s_mov_b32 s4, 0x40a00000
	v_mov_b32_e32 v34, 0xbf000004
	v_fma_f32 v28, -v26, v27, 1.0
	v_fmac_f32_e32 v27, v28, v27
	v_div_scale_f32 v28, vcc, s2, v25, s2
	v_mul_f32_e32 v29, v28, v27
	v_fma_f32 v30, -v26, v29, v28
	v_fmac_f32_e32 v29, v30, v27
	v_fma_f32 v26, -v26, v29, v28
	v_div_fmas_f32 v26, v26, v27, v29
	v_div_fixup_f32 v25, v26, v25, s2
	v_mov_b32_e32 v26, 0x3a50e985
	v_mov_b32_e32 v27, 0x3a725406
	v_fmac_f32_e32 v26, 0, v25
	v_fmac_f32_e32 v27, 0, v25
	v_fmaak_f32 v26, v25, v26, 0x3da9a586
	v_fmaak_f32 v27, v25, v27, 0x3daf5e2d
	;; [unrolled: 1-line block ×8, first 2 shown]
	v_mov_b32_e32 v28, 0xbc3a3a12
	v_fmaak_f32 v26, v25, v26, 0x40a9b425
	v_fmaak_f32 v27, v25, v27, 0x40a9cb2f
	v_fmac_f32_e32 v28, 0, v25
	v_mov_b32_e32 v29, 0x4280a2ba
	v_fma_f32 v27, v25, v27, 1.0
	v_fmaak_f32 v28, v25, v28, 0xbfa429da
	v_fmac_f32_e32 v29, 0, v25
	v_fma_f32 v26, v25, v26, 1.0
	v_fmaak_f32 v28, v25, v28, 0xc19c6e80
	v_fmaak_f32 v29, v25, v29, 0x44561b86
	v_div_scale_f32 v30, s[0:1], v27, v27, v26
	v_fmaak_f32 v28, v25, v28, 0xc2ba697b
	v_fmaak_f32 v29, v25, v29, 0x4572a66e
	v_rcp_f32_e32 v31, v30
	v_fmaak_f32 v28, v25, v28, 0xc331ae61
	v_fmaak_f32 v29, v25, v29, 0x45e243be
	;; [unrolled: 1-line block ×8, first 2 shown]
	v_fma_f32 v29, -v30, v31, 1.0
	v_fmac_f32_e32 v31, v29, v31
	v_div_scale_f32 v29, vcc, v26, v27, v26
	v_mul_f32_e32 v32, v29, v31
	v_fma_f32 v33, -v30, v32, v29
	v_fmac_f32_e32 v32, v33, v31
	v_fma_f32 v29, -v30, v32, v29
	v_div_fmas_f32 v29, v29, v31, v32
	v_div_fixup_f32 v26, v29, v27, v26
	v_mul_f32_e32 v27, v21, v21
	v_mov_b32_e32 v29, 0x3c0881c4
	v_fmamk_f32 v30, v27, 0xb94c1982, v29
	v_fmaak_f32 v30, v27, v30, 0xbe2aaa9d
	v_mul_f32_e32 v30, v27, v30
	v_fmac_f32_e32 v21, v21, v30
	v_mov_b32_e32 v30, 0xbab64f3b
	v_fmamk_f32 v32, v27, 0x37d75334, v30
	v_fmaak_f32 v32, v27, v32, 0x3d2aabf7
	v_fmaak_f32 v32, v27, v32, 0xbf000004
	v_fma_f32 v27, v27, v32, 1.0
	v_and_b32_e32 v32, 1, v20
	v_lshlrev_b32_e32 v20, 30, v20
	v_cmp_eq_u32_e32 vcc, 0, v32
	v_and_b32_e32 v20, 0x80000000, v20
	v_xor_b32_e32 v19, v19, v20
	v_cndmask_b32_e32 v21, v27, v21, vcc
	v_div_scale_f32 v20, s[0:1], v10, v10, s4
	v_xor_b32_e32 v19, v19, v21
	v_rcp_f32_e32 v21, v20
	s_movk_i32 s2, 0x1f8
	v_mov_b32_e32 v27, 0x7fc00000
	v_cmp_class_f32_e64 s[0:1], v18, s2
	v_mov_b32_e32 v31, 0xbe2aaa9d
	v_mov_b32_e32 v33, 0x3d2aabf7
	v_cndmask_b32_e64 v18, v27, v19, s[0:1]
	v_fma_f32 v19, -v20, v21, 1.0
	v_fmac_f32_e32 v21, v19, v21
	v_div_scale_f32 v19, vcc, s4, v10, s4
	v_mul_f32_e32 v32, v19, v21
	v_fma_f32 v35, -v20, v32, v19
	v_fmac_f32_e32 v32, v35, v21
	v_fma_f32 v19, -v20, v32, v19
	v_div_scale_f32 v20, s[2:3], v25, v25, v28
	v_rcp_f32_e32 v35, v20
	v_div_fmas_f32 v19, v19, v21, v32
	v_div_fixup_f32 v19, v19, v10, s4
	v_fma_f32 v21, -v20, v35, 1.0
	v_fmac_f32_e32 v35, v21, v35
	v_div_scale_f32 v21, vcc, v28, v25, v28
	v_mul_f32_e32 v32, v21, v35
	v_fma_f32 v36, -v20, v32, v21
	v_fmac_f32_e32 v32, v36, v35
	v_fma_f32 v20, -v20, v32, v21
	v_div_fmas_f32 v20, v20, v35, v32
	v_div_fixup_f32 v20, v20, v25, v28
	v_mul_f32_e32 v19, v19, v20
	v_mul_f32_e32 v20, v24, v24
	v_fmac_f32_e32 v29, 0xb94c1982, v20
	v_fmac_f32_e32 v31, v20, v29
	;; [unrolled: 1-line block ×3, first 2 shown]
	v_mul_f32_e32 v21, v20, v31
	v_fmac_f32_e32 v33, v20, v30
	v_fmac_f32_e32 v24, v24, v21
	v_fmac_f32_e32 v34, v20, v33
	v_and_b32_e32 v21, 1, v23
	v_fma_f32 v20, v20, v34, 1.0
	v_cmp_eq_u32_e32 vcc, 0, v21
	v_lshlrev_b32_e32 v21, 30, v23
	v_and_b32_e32 v21, 0x80000000, v21
	v_cndmask_b32_e64 v20, -v24, v20, vcc
	v_xor_b32_e32 v20, v21, v20
	v_cndmask_b32_e64 v20, v27, v20, s[0:1]
	s_mov_b32 s0, 0xf800000
	v_mul_f32_e32 v21, 0x4f800000, v10
	v_cmp_gt_f32_e32 vcc, s0, v10
	v_mul_f32_e32 v19, v19, v20
	v_fmac_f32_e32 v19, v26, v18
	v_cndmask_b32_e32 v10, v10, v21, vcc
	v_sqrt_f32_e32 v21, v10
	v_mul_f32_e32 v18, 0x3f4c422a, v19
	v_add_u32_e32 v19, -1, v21
	v_fma_f32 v20, -v19, v21, v10
	v_cmp_ge_f32_e64 s[0:1], 0, v20
	v_add_u32_e32 v20, 1, v21
	s_nop 0
	v_cndmask_b32_e64 v19, v21, v19, s[0:1]
	v_fma_f32 v21, -v20, v21, v10
	v_cmp_lt_f32_e64 s[0:1], 0, v21
	s_nop 1
	v_cndmask_b32_e64 v19, v19, v20, s[0:1]
	v_mul_f32_e32 v20, 0x37800000, v19
	v_cndmask_b32_e32 v19, v19, v20, vcc
	v_mov_b32_e32 v20, 0x260
	v_cmp_class_f32_e32 vcc, v10, v20
	s_nop 1
	v_cndmask_b32_e32 v10, v19, v10, vcc
	v_div_scale_f32 v19, s[0:1], v10, v10, v18
	v_rcp_f32_e32 v20, v19
	s_nop 0
	v_fma_f32 v21, -v19, v20, 1.0
	v_fmac_f32_e32 v20, v21, v20
	v_div_scale_f32 v21, vcc, v18, v10, v18
	v_mul_f32_e32 v23, v21, v20
	v_fma_f32 v24, -v19, v23, v21
	v_fmac_f32_e32 v23, v24, v20
	v_fma_f32 v19, -v19, v23, v21
	v_div_fmas_f32 v19, v19, v20, v23
	v_div_fixup_f32 v18, v19, v10, v18
.LBB14_180:
	s_or_b64 exec, exec, s[8:9]
	s_mov_b32 s0, 0x40a00000
	v_cmp_ge_f32_e32 vcc, s0, v11
	s_and_saveexec_b64 s[0:1], vcc
	s_xor_b64 s[2:3], exec, s[0:1]
	s_cbranch_execz .LBB14_190
; %bb.181:
	v_cmp_neq_f32_e32 vcc, 0, v11
	v_mov_b32_e32 v19, 0xff800000
	s_and_saveexec_b64 s[4:5], vcc
	s_cbranch_execz .LBB14_189
; %bb.182:
	v_cmp_ngt_f32_e32 vcc, 0, v11
	v_mov_b32_e32 v19, 0x7fc00000
	s_and_saveexec_b64 s[8:9], vcc
	s_cbranch_execz .LBB14_188
; %bb.183:
	v_mul_f32_e32 v10, v11, v11
	s_mov_b32 s0, 0x3727c5ac
	v_mul_f32_e32 v20, 0, v10
	v_cmp_ngt_f32_e32 vcc, s0, v11
                                        ; implicit-def: $vgpr21
	s_and_saveexec_b64 s[0:1], vcc
	s_xor_b64 s[0:1], exec, s[0:1]
	s_cbranch_execz .LBB14_185
; %bb.184:
	v_add_f32_e32 v19, 0x43f9c815, v20
	v_fmaak_f32 v19, v10, v19, 0x4829b65a
	v_fmaak_f32 v19, v10, v19, 0x4c38c9a1
	;; [unrolled: 1-line block ×3, first 2 shown]
	s_mov_b32 s10, 0xcf8ee29d
	v_mul_f32_e32 v21, v10, v19
	s_mov_b32 s11, 0x53f5f59c
	v_pk_add_f32 v[24:25], v[20:21], s[10:11]
	s_mov_b32 s10, 0x53e3ba8e
	s_mov_b32 s11, 0x578d3514
	v_pk_fma_f32 v[24:25], v[10:11], v[24:25], s[10:11] op_sel_hi:[0,1,1]
	s_mov_b32 s10, 0xd762b0a7
	s_mov_b32 s11, 0x5ae20a0c
	v_pk_fma_f32 v[24:25], v[10:11], v[24:25], s[10:11] op_sel_hi:[0,1,1]
	;; [unrolled: 3-line block ×3, first 2 shown]
	s_mov_b32 s10, 0xc0b90fdc
	s_mov_b32 s11, 0xc1f3c525
	v_pk_add_f32 v[26:27], v[10:11], s[10:11] op_sel_hi:[0,1]
	v_mul_f32_e32 v19, v26, v27
	v_mul_f32_e32 v19, v19, v24
	v_div_scale_f32 v21, s[10:11], v25, v25, v19
	v_rcp_f32_e32 v23, v21
	s_nop 0
	v_fma_f32 v24, -v21, v23, 1.0
	v_fmac_f32_e32 v23, v24, v23
	v_div_scale_f32 v24, vcc, v19, v25, v19
	v_mul_f32_e32 v26, v24, v23
	v_fma_f32 v27, -v21, v26, v24
	v_fmac_f32_e32 v26, v27, v23
	v_fma_f32 v21, -v21, v26, v24
	v_div_fmas_f32 v21, v21, v23, v26
	v_div_fixup_f32 v21, v21, v25, v19
.LBB14_185:
	s_andn2_saveexec_b64 s[0:1], s[0:1]
; %bb.186:
	v_mov_b32_e32 v19, 1.0
	v_fmamk_f32 v21, v10, 0xbe800000, v19
; %bb.187:
	s_or_b64 exec, exec, s[0:1]
	v_add_f32_e32 v19, 0x4673a1bf, v20
	v_fmaak_f32 v19, v10, v19, 0xcb5fc0fa
	v_add_f32_e32 v20, 0x44822913, v20
	v_fmaak_f32 v19, v10, v19, 0x4fa1fbc8
	v_fmaak_f32 v20, v10, v20, 0x4918dbb5
	;; [unrolled: 1-line block ×12, first 2 shown]
	v_div_scale_f32 v19, s[0:1], v20, v20, v10
	v_rcp_f32_e32 v23, v19
	s_mov_b32 s0, 0x800000
	v_cmp_gt_f32_e64 s[0:1], s0, v11
	s_mov_b32 s10, 0x3f317217
	v_fma_f32 v24, -v19, v23, 1.0
	v_fmac_f32_e32 v23, v24, v23
	v_div_scale_f32 v24, vcc, v10, v20, v10
	v_mul_f32_e32 v25, v24, v23
	v_fma_f32 v26, -v19, v25, v24
	v_fmac_f32_e32 v25, v26, v23
	v_fma_f32 v19, -v19, v25, v24
	v_mov_b32_e32 v24, 0x4f800000
	v_cndmask_b32_e64 v24, 1.0, v24, s[0:1]
	v_mul_f32_e32 v24, v11, v24
	v_log_f32_e32 v24, v24
	v_div_fmas_f32 v19, v19, v23, v25
	v_div_fixup_f32 v19, v19, v20, v10
	v_mul_f32_e32 v10, 0x3f317217, v24
	v_fma_f32 v20, v24, s10, -v10
	v_fmamk_f32 v20, v24, 0x3377d1cf, v20
	s_mov_b32 s10, 0x7f800000
	v_add_f32_e32 v10, v10, v20
	v_cmp_lt_f32_e64 vcc, |v24|, s10
	v_mov_b32_e32 v20, 0x41b17218
	v_cndmask_b32_e64 v20, 0, v20, s[0:1]
	v_cndmask_b32_e32 v10, v24, v10, vcc
	v_sub_f32_e32 v10, v10, v20
	v_mul_f32_e32 v10, 0x3f22f983, v10
	v_fmac_f32_e32 v19, v10, v21
.LBB14_188:
	s_or_b64 exec, exec, s[8:9]
.LBB14_189:
	s_or_b64 exec, exec, s[4:5]
.LBB14_190:
	s_andn2_saveexec_b64 s[8:9], s[2:3]
	s_cbranch_execz .LBB14_200
; %bb.191:
	v_add_f32_e32 v10, 0xbf490fdb, v11
	v_and_b32_e32 v19, 0x7fffffff, v10
	s_brev_b32 s0, 18
	v_cmp_nlt_f32_e64 s[10:11], |v10|, s0
	v_lshrrev_b32_e32 v25, 23, v19
                                        ; implicit-def: $vgpr20
                                        ; implicit-def: $vgpr21
	s_and_saveexec_b64 s[0:1], s[10:11]
	s_xor_b64 s[12:13], exec, s[0:1]
	s_cbranch_execz .LBB14_193
; %bb.192:
	v_add_u32_e32 v20, 0xffffff88, v25
	v_not_b32_e32 v23, 63
	v_cmp_lt_u32_e32 vcc, 63, v20
	s_mov_b32 s4, 0xfe5163ab
	v_mov_b32_e32 v21, 0
	v_cndmask_b32_e32 v23, 0, v23, vcc
	v_add_u32_e32 v20, v23, v20
	v_not_b32_e32 v23, 31
	v_cmp_lt_u32_e64 s[0:1], 31, v20
	s_nop 1
	v_cndmask_b32_e64 v24, 0, v23, s[0:1]
	v_add_u32_e32 v20, v24, v20
	v_cmp_lt_u32_e64 s[2:3], 31, v20
	s_nop 1
	v_cndmask_b32_e64 v23, 0, v23, s[2:3]
	v_add_u32_e32 v23, v23, v20
	v_and_b32_e32 v20, 0x7fffff, v19
	v_or_b32_e32 v24, 0x800000, v20
	v_mad_u64_u32 v[26:27], s[4:5], v24, s4, 0
	v_mov_b32_e32 v20, v27
	s_mov_b32 s4, 0x3c439041
	v_mad_u64_u32 v[28:29], s[4:5], v24, s4, v[20:21]
	v_mov_b32_e32 v20, v29
	s_mov_b32 s4, 0xdb629599
	;; [unrolled: 3-line block ×6, first 2 shown]
	v_mad_u64_u32 v[20:21], s[4:5], v24, s4, v[20:21]
	v_cndmask_b32_e32 v27, v36, v32, vcc
	v_cndmask_b32_e32 v20, v20, v34, vcc
	;; [unrolled: 1-line block ×3, first 2 shown]
	v_cndmask_b32_e64 v24, v20, v27, s[0:1]
	v_cndmask_b32_e64 v20, v21, v20, s[0:1]
	v_cndmask_b32_e32 v21, v34, v30, vcc
	v_cndmask_b32_e64 v27, v27, v21, s[0:1]
	v_sub_u32_e32 v29, 32, v23
	v_cmp_eq_u32_e64 s[4:5], 0, v23
	v_cndmask_b32_e32 v23, v32, v28, vcc
	v_cndmask_b32_e64 v20, v20, v24, s[2:3]
	v_cndmask_b32_e64 v24, v24, v27, s[2:3]
	;; [unrolled: 1-line block ×3, first 2 shown]
	v_alignbit_b32 v31, v20, v24, v29
	v_cndmask_b32_e64 v27, v27, v21, s[2:3]
	v_cndmask_b32_e64 v20, v31, v20, s[4:5]
	v_alignbit_b32 v28, v24, v27, v29
	v_cndmask_b32_e64 v24, v28, v24, s[4:5]
	v_bfe_u32 v32, v20, 29, 1
	v_cndmask_b32_e32 v26, v30, v26, vcc
	v_alignbit_b32 v28, v20, v24, 30
	v_sub_u32_e32 v33, 0, v32
	v_cndmask_b32_e64 v23, v23, v26, s[0:1]
	v_xor_b32_e32 v34, v28, v33
	v_cndmask_b32_e64 v21, v21, v23, s[2:3]
	v_alignbit_b32 v23, v27, v21, v29
	v_ffbh_u32_e32 v26, v34
	v_cndmask_b32_e64 v23, v23, v27, s[4:5]
	v_add_u32_e32 v26, 1, v26
	v_cmp_ne_u32_e32 vcc, v28, v33
	v_alignbit_b32 v24, v24, v23, 30
	v_alignbit_b32 v21, v23, v21, 30
	v_cndmask_b32_e32 v26, 33, v26, vcc
	v_xor_b32_e32 v24, v24, v33
	v_sub_u32_e32 v27, 32, v26
	v_xor_b32_e32 v21, v21, v33
	v_alignbit_b32 v28, v34, v24, v27
	v_alignbit_b32 v21, v24, v21, v27
	;; [unrolled: 1-line block ×3, first 2 shown]
	v_ffbh_u32_e32 v24, v23
	v_min_u32_e32 v24, 32, v24
	v_lshrrev_b32_e32 v31, 29, v20
	v_sub_u32_e32 v27, 31, v24
	v_alignbit_b32 v21, v23, v21, v27
	v_lshlrev_b32_e32 v23, 31, v31
	v_or_b32_e32 v27, 0x33800000, v23
	v_add_lshl_u32 v24, v24, v26, 23
	v_lshrrev_b32_e32 v21, 9, v21
	v_sub_u32_e32 v24, v27, v24
	v_or_b32_e32 v21, v24, v21
	v_alignbit_b32 v24, v26, v28, 9
	v_or_b32_e32 v23, v24, v23
	v_xor_b32_e32 v23, 1.0, v23
	s_mov_b32 s0, 0x3fc90fda
	v_mul_f32_e32 v24, 0x3fc90fda, v23
	v_fma_f32 v26, v23, s0, -v24
	v_fmamk_f32 v23, v23, 0x33a22168, v26
	v_fmac_f32_e32 v23, 0x3fc90fda, v21
	v_lshrrev_b32_e32 v20, 30, v20
	v_add_f32_e32 v21, v24, v23
	v_add_u32_e32 v20, v32, v20
	s_andn2_saveexec_b64 s[0:1], s[12:13]
	s_branch .LBB14_194
.LBB14_193:
	s_andn2_saveexec_b64 s[0:1], s[12:13]
.LBB14_194:
	s_mov_b32 s2, 0x3f22f983
	v_mul_f32_e64 v20, |v10|, s2
	v_rndne_f32_e32 v21, v20
	s_mov_b32 s2, 0xbfc90fda
	v_cvt_i32_f32_e32 v20, v21
	v_fma_f32 v23, v21, s2, |v10|
	v_fmamk_f32 v23, v21, 0xb3a22168, v23
	v_fmamk_f32 v21, v21, 0xa7c234c4, v23
; %bb.195:
	s_or_b64 exec, exec, s[0:1]
                                        ; implicit-def: $vgpr23
                                        ; implicit-def: $vgpr24
	s_and_saveexec_b64 s[0:1], s[10:11]
	s_xor_b64 s[10:11], exec, s[0:1]
	s_cbranch_execz .LBB14_197
; %bb.196:
	v_add_u32_e32 v23, 0xffffff88, v25
	v_not_b32_e32 v24, 63
	v_cmp_lt_u32_e32 vcc, 63, v23
	s_mov_b32 s4, 0xfe5163ab
	v_mov_b32_e32 v25, 0
	v_cndmask_b32_e32 v24, 0, v24, vcc
	v_add_u32_e32 v23, v24, v23
	v_not_b32_e32 v24, 31
	v_cmp_lt_u32_e64 s[0:1], 31, v23
	s_nop 1
	v_cndmask_b32_e64 v26, 0, v24, s[0:1]
	v_add_u32_e32 v23, v26, v23
	v_cmp_lt_u32_e64 s[2:3], 31, v23
	s_nop 1
	v_cndmask_b32_e64 v24, 0, v24, s[2:3]
	v_add_u32_e32 v23, v24, v23
	v_and_b32_e32 v24, 0x7fffff, v19
	v_or_b32_e32 v38, 0x800000, v24
	v_mad_u64_u32 v[26:27], s[4:5], v38, s4, 0
	v_mov_b32_e32 v24, v27
	s_mov_b32 s4, 0x3c439041
	v_mad_u64_u32 v[28:29], s[4:5], v38, s4, v[24:25]
	v_mov_b32_e32 v24, v29
	s_mov_b32 s4, 0xdb629599
	;; [unrolled: 3-line block ×6, first 2 shown]
	v_mad_u64_u32 v[24:25], s[4:5], v38, s4, v[24:25]
	v_cndmask_b32_e32 v27, v36, v32, vcc
	v_cndmask_b32_e32 v24, v24, v34, vcc
	;; [unrolled: 1-line block ×3, first 2 shown]
	v_cndmask_b32_e64 v29, v24, v27, s[0:1]
	v_cndmask_b32_e64 v24, v25, v24, s[0:1]
	v_cndmask_b32_e32 v25, v34, v30, vcc
	v_cndmask_b32_e64 v27, v27, v25, s[0:1]
	v_cndmask_b32_e64 v24, v24, v29, s[2:3]
	;; [unrolled: 1-line block ×3, first 2 shown]
	v_sub_u32_e32 v31, 32, v23
	v_alignbit_b32 v33, v24, v29, v31
	v_cmp_eq_u32_e64 s[4:5], 0, v23
	v_cndmask_b32_e32 v26, v30, v26, vcc
	s_nop 0
	v_cndmask_b32_e64 v23, v33, v24, s[4:5]
	v_cndmask_b32_e32 v24, v32, v28, vcc
	v_cndmask_b32_e64 v25, v25, v24, s[0:1]
	v_cndmask_b32_e64 v27, v27, v25, s[2:3]
	v_alignbit_b32 v28, v29, v27, v31
	v_cndmask_b32_e64 v28, v28, v29, s[4:5]
	v_bfe_u32 v33, v23, 29, 1
	v_cndmask_b32_e64 v24, v24, v26, s[0:1]
	v_alignbit_b32 v29, v23, v28, 30
	v_sub_u32_e32 v34, 0, v33
	v_cndmask_b32_e64 v24, v25, v24, s[2:3]
	v_xor_b32_e32 v35, v29, v34
	v_alignbit_b32 v25, v27, v24, v31
	v_cndmask_b32_e64 v25, v25, v27, s[4:5]
	v_ffbh_u32_e32 v27, v35
	v_add_u32_e32 v27, 1, v27
	v_cmp_ne_u32_e32 vcc, v29, v34
	v_alignbit_b32 v26, v28, v25, 30
	v_alignbit_b32 v24, v25, v24, 30
	v_cndmask_b32_e32 v27, 33, v27, vcc
	v_xor_b32_e32 v26, v26, v34
	v_sub_u32_e32 v28, 32, v27
	v_xor_b32_e32 v24, v24, v34
	v_alignbit_b32 v29, v35, v26, v28
	v_alignbit_b32 v24, v26, v24, v28
	;; [unrolled: 1-line block ×3, first 2 shown]
	v_ffbh_u32_e32 v26, v25
	v_min_u32_e32 v26, 32, v26
	v_lshrrev_b32_e32 v32, 29, v23
	v_sub_u32_e32 v28, 31, v26
	v_alignbit_b32 v24, v25, v24, v28
	v_lshlrev_b32_e32 v25, 31, v32
	v_or_b32_e32 v28, 0x33800000, v25
	v_add_lshl_u32 v26, v26, v27, 23
	v_lshrrev_b32_e32 v24, 9, v24
	v_sub_u32_e32 v26, v28, v26
	v_or_b32_e32 v24, v26, v24
	v_alignbit_b32 v26, v27, v29, 9
	v_or_b32_e32 v25, v26, v25
	v_xor_b32_e32 v25, 1.0, v25
	s_mov_b32 s0, 0x3fc90fda
	v_mul_f32_e32 v26, 0x3fc90fda, v25
	v_fma_f32 v27, v25, s0, -v26
	v_fmamk_f32 v25, v25, 0x33a22168, v27
	v_fmac_f32_e32 v25, 0x3fc90fda, v24
	v_lshrrev_b32_e32 v23, 30, v23
	v_add_f32_e32 v24, v26, v25
	v_add_u32_e32 v23, v33, v23
	s_andn2_saveexec_b64 s[0:1], s[10:11]
	s_cbranch_execnz .LBB14_198
	s_branch .LBB14_199
.LBB14_197:
	s_andn2_saveexec_b64 s[0:1], s[10:11]
.LBB14_198:
	s_mov_b32 s2, 0x3f22f983
	v_mul_f32_e64 v23, |v10|, s2
	v_rndne_f32_e32 v24, v23
	s_mov_b32 s2, 0xbfc90fda
	v_cvt_i32_f32_e32 v23, v24
	v_fma_f32 v25, v24, s2, |v10|
	v_fmamk_f32 v25, v24, 0xb3a22168, v25
	v_fmamk_f32 v24, v24, 0xa7c234c4, v25
.LBB14_199:
	s_or_b64 exec, exec, s[0:1]
	v_mul_f32_e32 v25, v11, v11
	s_mov_b32 s2, 0x41c80000
	v_div_scale_f32 v26, s[0:1], v25, v25, s2
	v_rcp_f32_e32 v27, v26
	v_xor_b32_e32 v19, v19, v10
	s_mov_b32 s4, 0x40a00000
	v_mov_b32_e32 v34, 0xbf000004
	v_fma_f32 v28, -v26, v27, 1.0
	v_fmac_f32_e32 v27, v28, v27
	v_div_scale_f32 v28, vcc, s2, v25, s2
	v_mul_f32_e32 v29, v28, v27
	v_fma_f32 v30, -v26, v29, v28
	v_fmac_f32_e32 v29, v30, v27
	v_fma_f32 v26, -v26, v29, v28
	v_div_fmas_f32 v26, v26, v27, v29
	v_div_fixup_f32 v25, v26, v25, s2
	v_mov_b32_e32 v26, 0x3a50e985
	v_mov_b32_e32 v27, 0x3a725406
	v_fmac_f32_e32 v26, 0, v25
	v_fmac_f32_e32 v27, 0, v25
	v_fmaak_f32 v26, v25, v26, 0x3da9a586
	v_fmaak_f32 v27, v25, v27, 0x3daf5e2d
	;; [unrolled: 1-line block ×8, first 2 shown]
	v_mov_b32_e32 v28, 0xbc3a3a12
	v_fmaak_f32 v26, v25, v26, 0x40a9b425
	v_fmaak_f32 v27, v25, v27, 0x40a9cb2f
	v_fmac_f32_e32 v28, 0, v25
	v_mov_b32_e32 v29, 0x4280a2ba
	v_fma_f32 v27, v25, v27, 1.0
	v_fmaak_f32 v28, v25, v28, 0xbfa429da
	v_fmac_f32_e32 v29, 0, v25
	v_fma_f32 v26, v25, v26, 1.0
	v_fmaak_f32 v28, v25, v28, 0xc19c6e80
	v_fmaak_f32 v29, v25, v29, 0x44561b86
	v_div_scale_f32 v30, s[0:1], v27, v27, v26
	v_fmaak_f32 v28, v25, v28, 0xc2ba697b
	v_fmaak_f32 v29, v25, v29, 0x4572a66e
	v_rcp_f32_e32 v31, v30
	v_fmaak_f32 v28, v25, v28, 0xc331ae61
	v_fmaak_f32 v29, v25, v29, 0x45e243be
	;; [unrolled: 1-line block ×8, first 2 shown]
	v_fma_f32 v29, -v30, v31, 1.0
	v_fmac_f32_e32 v31, v29, v31
	v_div_scale_f32 v29, vcc, v26, v27, v26
	v_mul_f32_e32 v32, v29, v31
	v_fma_f32 v33, -v30, v32, v29
	v_fmac_f32_e32 v32, v33, v31
	v_fma_f32 v29, -v30, v32, v29
	v_div_fmas_f32 v29, v29, v31, v32
	v_div_fixup_f32 v26, v29, v27, v26
	v_mul_f32_e32 v27, v21, v21
	v_mov_b32_e32 v29, 0x3c0881c4
	v_fmamk_f32 v30, v27, 0xb94c1982, v29
	v_fmaak_f32 v30, v27, v30, 0xbe2aaa9d
	v_mul_f32_e32 v30, v27, v30
	v_fmac_f32_e32 v21, v21, v30
	v_mov_b32_e32 v30, 0xbab64f3b
	v_fmamk_f32 v32, v27, 0x37d75334, v30
	v_fmaak_f32 v32, v27, v32, 0x3d2aabf7
	v_fmaak_f32 v32, v27, v32, 0xbf000004
	v_fma_f32 v27, v27, v32, 1.0
	v_and_b32_e32 v32, 1, v20
	v_lshlrev_b32_e32 v20, 30, v20
	v_cmp_eq_u32_e32 vcc, 0, v32
	v_and_b32_e32 v20, 0x80000000, v20
	v_xor_b32_e32 v19, v19, v20
	v_cndmask_b32_e32 v21, v27, v21, vcc
	v_div_scale_f32 v20, s[0:1], v11, v11, s4
	v_xor_b32_e32 v19, v19, v21
	v_rcp_f32_e32 v21, v20
	s_movk_i32 s2, 0x1f8
	v_mov_b32_e32 v27, 0x7fc00000
	v_cmp_class_f32_e64 s[0:1], v10, s2
	v_mov_b32_e32 v31, 0xbe2aaa9d
	v_mov_b32_e32 v33, 0x3d2aabf7
	v_cndmask_b32_e64 v10, v27, v19, s[0:1]
	v_fma_f32 v19, -v20, v21, 1.0
	v_fmac_f32_e32 v21, v19, v21
	v_div_scale_f32 v19, vcc, s4, v11, s4
	v_mul_f32_e32 v32, v19, v21
	v_fma_f32 v35, -v20, v32, v19
	v_fmac_f32_e32 v32, v35, v21
	v_fma_f32 v19, -v20, v32, v19
	v_div_scale_f32 v20, s[2:3], v25, v25, v28
	v_rcp_f32_e32 v35, v20
	v_div_fmas_f32 v19, v19, v21, v32
	v_div_fixup_f32 v19, v19, v11, s4
	v_fma_f32 v21, -v20, v35, 1.0
	v_fmac_f32_e32 v35, v21, v35
	v_div_scale_f32 v21, vcc, v28, v25, v28
	v_mul_f32_e32 v32, v21, v35
	v_fma_f32 v36, -v20, v32, v21
	v_fmac_f32_e32 v32, v36, v35
	v_fma_f32 v20, -v20, v32, v21
	v_div_fmas_f32 v20, v20, v35, v32
	v_div_fixup_f32 v20, v20, v25, v28
	v_mul_f32_e32 v19, v19, v20
	v_mul_f32_e32 v20, v24, v24
	v_fmac_f32_e32 v29, 0xb94c1982, v20
	v_fmac_f32_e32 v31, v20, v29
	;; [unrolled: 1-line block ×3, first 2 shown]
	v_mul_f32_e32 v21, v20, v31
	v_fmac_f32_e32 v33, v20, v30
	v_fmac_f32_e32 v24, v24, v21
	v_fmac_f32_e32 v34, v20, v33
	v_and_b32_e32 v21, 1, v23
	v_fma_f32 v20, v20, v34, 1.0
	v_cmp_eq_u32_e32 vcc, 0, v21
	v_lshlrev_b32_e32 v21, 30, v23
	v_and_b32_e32 v21, 0x80000000, v21
	v_cndmask_b32_e64 v20, -v24, v20, vcc
	v_xor_b32_e32 v20, v21, v20
	v_cndmask_b32_e64 v20, v27, v20, s[0:1]
	s_mov_b32 s0, 0xf800000
	v_mul_f32_e32 v21, 0x4f800000, v11
	v_cmp_gt_f32_e32 vcc, s0, v11
	v_mul_f32_e32 v19, v19, v20
	v_fmac_f32_e32 v19, v26, v10
	v_cndmask_b32_e32 v11, v11, v21, vcc
	v_sqrt_f32_e32 v21, v11
	v_mul_f32_e32 v10, 0x3f4c422a, v19
	v_add_u32_e32 v19, -1, v21
	v_fma_f32 v20, -v19, v21, v11
	v_cmp_ge_f32_e64 s[0:1], 0, v20
	v_add_u32_e32 v20, 1, v21
	s_nop 0
	v_cndmask_b32_e64 v19, v21, v19, s[0:1]
	v_fma_f32 v21, -v20, v21, v11
	v_cmp_lt_f32_e64 s[0:1], 0, v21
	s_nop 1
	v_cndmask_b32_e64 v19, v19, v20, s[0:1]
	v_mul_f32_e32 v20, 0x37800000, v19
	v_cndmask_b32_e32 v19, v19, v20, vcc
	v_mov_b32_e32 v20, 0x260
	v_cmp_class_f32_e32 vcc, v11, v20
	s_nop 1
	v_cndmask_b32_e32 v11, v19, v11, vcc
	v_div_scale_f32 v19, s[0:1], v11, v11, v10
	v_rcp_f32_e32 v20, v19
	s_nop 0
	v_fma_f32 v21, -v19, v20, 1.0
	v_fmac_f32_e32 v20, v21, v20
	v_div_scale_f32 v21, vcc, v10, v11, v10
	v_mul_f32_e32 v23, v21, v20
	v_fma_f32 v24, -v19, v23, v21
	v_fmac_f32_e32 v23, v24, v20
	v_fma_f32 v19, -v19, v23, v21
	v_div_fmas_f32 v19, v19, v20, v23
	v_div_fixup_f32 v19, v19, v11, v10
.LBB14_200:
	s_or_b64 exec, exec, s[8:9]
	s_mov_b32 s0, 0x40a00000
	v_cmp_ge_f32_e32 vcc, s0, v12
	s_and_saveexec_b64 s[0:1], vcc
	s_xor_b64 s[2:3], exec, s[0:1]
	s_cbranch_execz .LBB14_210
; %bb.201:
	v_cmp_neq_f32_e32 vcc, 0, v12
	v_mov_b32_e32 v20, 0xff800000
	s_and_saveexec_b64 s[4:5], vcc
	s_cbranch_execz .LBB14_209
; %bb.202:
	v_cmp_ngt_f32_e32 vcc, 0, v12
	v_mov_b32_e32 v20, 0x7fc00000
	s_and_saveexec_b64 s[8:9], vcc
	s_cbranch_execz .LBB14_208
; %bb.203:
	v_mul_f32_e32 v10, v12, v12
	s_mov_b32 s0, 0x3727c5ac
	v_mul_f32_e32 v20, 0, v10
	v_cmp_ngt_f32_e32 vcc, s0, v12
                                        ; implicit-def: $vgpr11
	s_and_saveexec_b64 s[0:1], vcc
	s_xor_b64 s[0:1], exec, s[0:1]
	s_cbranch_execz .LBB14_205
; %bb.204:
	v_add_f32_e32 v11, 0x43f9c815, v20
	v_fmaak_f32 v11, v10, v11, 0x4829b65a
	v_fmaak_f32 v11, v10, v11, 0x4c38c9a1
	;; [unrolled: 1-line block ×3, first 2 shown]
	s_mov_b32 s10, 0xcf8ee29d
	v_mul_f32_e32 v21, v10, v11
	s_mov_b32 s11, 0x53f5f59c
	v_pk_add_f32 v[24:25], v[20:21], s[10:11]
	s_mov_b32 s10, 0x53e3ba8e
	s_mov_b32 s11, 0x578d3514
	v_pk_fma_f32 v[24:25], v[10:11], v[24:25], s[10:11] op_sel_hi:[0,1,1]
	s_mov_b32 s10, 0xd762b0a7
	s_mov_b32 s11, 0x5ae20a0c
	v_pk_fma_f32 v[24:25], v[10:11], v[24:25], s[10:11] op_sel_hi:[0,1,1]
	;; [unrolled: 3-line block ×3, first 2 shown]
	s_mov_b32 s10, 0xc0b90fdc
	s_mov_b32 s11, 0xc1f3c525
	v_pk_add_f32 v[26:27], v[10:11], s[10:11] op_sel_hi:[0,1]
	v_mul_f32_e32 v11, v26, v27
	v_mul_f32_e32 v11, v11, v24
	v_div_scale_f32 v21, s[10:11], v25, v25, v11
	v_rcp_f32_e32 v23, v21
	s_nop 0
	v_fma_f32 v24, -v21, v23, 1.0
	v_fmac_f32_e32 v23, v24, v23
	v_div_scale_f32 v24, vcc, v11, v25, v11
	v_mul_f32_e32 v26, v24, v23
	v_fma_f32 v27, -v21, v26, v24
	v_fmac_f32_e32 v26, v27, v23
	v_fma_f32 v21, -v21, v26, v24
	v_div_fmas_f32 v21, v21, v23, v26
	v_div_fixup_f32 v11, v21, v25, v11
.LBB14_205:
	s_andn2_saveexec_b64 s[0:1], s[0:1]
; %bb.206:
	v_mov_b32_e32 v11, 1.0
	v_fmamk_f32 v11, v10, 0xbe800000, v11
; %bb.207:
	s_or_b64 exec, exec, s[0:1]
	v_add_f32_e32 v21, 0x4673a1bf, v20
	v_fmaak_f32 v21, v10, v21, 0xcb5fc0fa
	v_add_f32_e32 v20, 0x44822913, v20
	v_fmaak_f32 v21, v10, v21, 0x4fa1fbc8
	v_fmaak_f32 v20, v10, v20, 0x4918dbb5
	;; [unrolled: 1-line block ×12, first 2 shown]
	v_div_scale_f32 v21, s[0:1], v20, v20, v10
	v_rcp_f32_e32 v23, v21
	s_mov_b32 s0, 0x800000
	v_cmp_gt_f32_e64 s[0:1], s0, v12
	s_mov_b32 s10, 0x3f317217
	v_fma_f32 v24, -v21, v23, 1.0
	v_fmac_f32_e32 v23, v24, v23
	v_div_scale_f32 v24, vcc, v10, v20, v10
	v_mul_f32_e32 v25, v24, v23
	v_fma_f32 v26, -v21, v25, v24
	v_fmac_f32_e32 v25, v26, v23
	v_fma_f32 v21, -v21, v25, v24
	v_mov_b32_e32 v24, 0x4f800000
	v_cndmask_b32_e64 v24, 1.0, v24, s[0:1]
	v_mul_f32_e32 v24, v12, v24
	v_log_f32_e32 v24, v24
	v_div_fmas_f32 v21, v21, v23, v25
	v_div_fixup_f32 v20, v21, v20, v10
	v_mul_f32_e32 v10, 0x3f317217, v24
	v_fma_f32 v21, v24, s10, -v10
	v_fmamk_f32 v21, v24, 0x3377d1cf, v21
	s_mov_b32 s10, 0x7f800000
	v_add_f32_e32 v10, v10, v21
	v_cmp_lt_f32_e64 vcc, |v24|, s10
	v_mov_b32_e32 v21, 0x41b17218
	v_cndmask_b32_e64 v21, 0, v21, s[0:1]
	v_cndmask_b32_e32 v10, v24, v10, vcc
	v_sub_f32_e32 v10, v10, v21
	v_mul_f32_e32 v10, 0x3f22f983, v10
	v_fmac_f32_e32 v20, v10, v11
.LBB14_208:
	s_or_b64 exec, exec, s[8:9]
.LBB14_209:
	s_or_b64 exec, exec, s[4:5]
.LBB14_210:
	s_andn2_saveexec_b64 s[8:9], s[2:3]
	s_cbranch_execz .LBB14_220
; %bb.211:
	v_add_f32_e32 v10, 0xbf490fdb, v12
	v_and_b32_e32 v11, 0x7fffffff, v10
	s_brev_b32 s0, 18
	v_cmp_nlt_f32_e64 s[10:11], |v10|, s0
	v_lshrrev_b32_e32 v25, 23, v11
                                        ; implicit-def: $vgpr20
                                        ; implicit-def: $vgpr21
	s_and_saveexec_b64 s[0:1], s[10:11]
	s_xor_b64 s[12:13], exec, s[0:1]
	s_cbranch_execz .LBB14_213
; %bb.212:
	v_add_u32_e32 v20, 0xffffff88, v25
	v_not_b32_e32 v23, 63
	v_cmp_lt_u32_e32 vcc, 63, v20
	s_mov_b32 s4, 0xfe5163ab
	v_mov_b32_e32 v21, 0
	v_cndmask_b32_e32 v23, 0, v23, vcc
	v_add_u32_e32 v20, v23, v20
	v_not_b32_e32 v23, 31
	v_cmp_lt_u32_e64 s[0:1], 31, v20
	s_nop 1
	v_cndmask_b32_e64 v24, 0, v23, s[0:1]
	v_add_u32_e32 v20, v24, v20
	v_cmp_lt_u32_e64 s[2:3], 31, v20
	s_nop 1
	v_cndmask_b32_e64 v23, 0, v23, s[2:3]
	v_add_u32_e32 v23, v23, v20
	v_and_b32_e32 v20, 0x7fffff, v11
	v_or_b32_e32 v24, 0x800000, v20
	v_mad_u64_u32 v[26:27], s[4:5], v24, s4, 0
	v_mov_b32_e32 v20, v27
	s_mov_b32 s4, 0x3c439041
	v_mad_u64_u32 v[28:29], s[4:5], v24, s4, v[20:21]
	v_mov_b32_e32 v20, v29
	s_mov_b32 s4, 0xdb629599
	;; [unrolled: 3-line block ×6, first 2 shown]
	v_mad_u64_u32 v[20:21], s[4:5], v24, s4, v[20:21]
	v_cndmask_b32_e32 v27, v36, v32, vcc
	v_cndmask_b32_e32 v20, v20, v34, vcc
	v_cndmask_b32_e32 v21, v21, v36, vcc
	v_cndmask_b32_e64 v24, v20, v27, s[0:1]
	v_cndmask_b32_e64 v20, v21, v20, s[0:1]
	v_cndmask_b32_e32 v21, v34, v30, vcc
	v_cndmask_b32_e64 v27, v27, v21, s[0:1]
	v_sub_u32_e32 v29, 32, v23
	v_cmp_eq_u32_e64 s[4:5], 0, v23
	v_cndmask_b32_e32 v23, v32, v28, vcc
	v_cndmask_b32_e64 v20, v20, v24, s[2:3]
	v_cndmask_b32_e64 v24, v24, v27, s[2:3]
	;; [unrolled: 1-line block ×3, first 2 shown]
	v_alignbit_b32 v31, v20, v24, v29
	v_cndmask_b32_e64 v27, v27, v21, s[2:3]
	v_cndmask_b32_e64 v20, v31, v20, s[4:5]
	v_alignbit_b32 v28, v24, v27, v29
	v_cndmask_b32_e64 v24, v28, v24, s[4:5]
	v_bfe_u32 v32, v20, 29, 1
	v_cndmask_b32_e32 v26, v30, v26, vcc
	v_alignbit_b32 v28, v20, v24, 30
	v_sub_u32_e32 v33, 0, v32
	v_cndmask_b32_e64 v23, v23, v26, s[0:1]
	v_xor_b32_e32 v34, v28, v33
	v_cndmask_b32_e64 v21, v21, v23, s[2:3]
	v_alignbit_b32 v23, v27, v21, v29
	v_ffbh_u32_e32 v26, v34
	v_cndmask_b32_e64 v23, v23, v27, s[4:5]
	v_add_u32_e32 v26, 1, v26
	v_cmp_ne_u32_e32 vcc, v28, v33
	v_alignbit_b32 v24, v24, v23, 30
	v_alignbit_b32 v21, v23, v21, 30
	v_cndmask_b32_e32 v26, 33, v26, vcc
	v_xor_b32_e32 v24, v24, v33
	v_sub_u32_e32 v27, 32, v26
	v_xor_b32_e32 v21, v21, v33
	v_alignbit_b32 v28, v34, v24, v27
	v_alignbit_b32 v21, v24, v21, v27
	;; [unrolled: 1-line block ×3, first 2 shown]
	v_ffbh_u32_e32 v24, v23
	v_min_u32_e32 v24, 32, v24
	v_lshrrev_b32_e32 v31, 29, v20
	v_sub_u32_e32 v27, 31, v24
	v_alignbit_b32 v21, v23, v21, v27
	v_lshlrev_b32_e32 v23, 31, v31
	v_or_b32_e32 v27, 0x33800000, v23
	v_add_lshl_u32 v24, v24, v26, 23
	v_lshrrev_b32_e32 v21, 9, v21
	v_sub_u32_e32 v24, v27, v24
	v_or_b32_e32 v21, v24, v21
	v_alignbit_b32 v24, v26, v28, 9
	v_or_b32_e32 v23, v24, v23
	v_xor_b32_e32 v23, 1.0, v23
	s_mov_b32 s0, 0x3fc90fda
	v_mul_f32_e32 v24, 0x3fc90fda, v23
	v_fma_f32 v26, v23, s0, -v24
	v_fmamk_f32 v23, v23, 0x33a22168, v26
	v_fmac_f32_e32 v23, 0x3fc90fda, v21
	v_lshrrev_b32_e32 v20, 30, v20
	v_add_f32_e32 v21, v24, v23
	v_add_u32_e32 v20, v32, v20
	s_andn2_saveexec_b64 s[0:1], s[12:13]
	s_branch .LBB14_214
.LBB14_213:
	s_andn2_saveexec_b64 s[0:1], s[12:13]
.LBB14_214:
	s_mov_b32 s2, 0x3f22f983
	v_mul_f32_e64 v20, |v10|, s2
	v_rndne_f32_e32 v21, v20
	s_mov_b32 s2, 0xbfc90fda
	v_cvt_i32_f32_e32 v20, v21
	v_fma_f32 v23, v21, s2, |v10|
	v_fmamk_f32 v23, v21, 0xb3a22168, v23
	v_fmamk_f32 v21, v21, 0xa7c234c4, v23
; %bb.215:
	s_or_b64 exec, exec, s[0:1]
                                        ; implicit-def: $vgpr23
                                        ; implicit-def: $vgpr24
	s_and_saveexec_b64 s[0:1], s[10:11]
	s_xor_b64 s[10:11], exec, s[0:1]
	s_cbranch_execz .LBB14_217
; %bb.216:
	v_add_u32_e32 v23, 0xffffff88, v25
	v_not_b32_e32 v24, 63
	v_cmp_lt_u32_e32 vcc, 63, v23
	s_mov_b32 s4, 0xfe5163ab
	v_mov_b32_e32 v25, 0
	v_cndmask_b32_e32 v24, 0, v24, vcc
	v_add_u32_e32 v23, v24, v23
	v_not_b32_e32 v24, 31
	v_cmp_lt_u32_e64 s[0:1], 31, v23
	s_nop 1
	v_cndmask_b32_e64 v26, 0, v24, s[0:1]
	v_add_u32_e32 v23, v26, v23
	v_cmp_lt_u32_e64 s[2:3], 31, v23
	s_nop 1
	v_cndmask_b32_e64 v24, 0, v24, s[2:3]
	v_add_u32_e32 v23, v24, v23
	v_and_b32_e32 v24, 0x7fffff, v11
	v_or_b32_e32 v38, 0x800000, v24
	v_mad_u64_u32 v[26:27], s[4:5], v38, s4, 0
	v_mov_b32_e32 v24, v27
	s_mov_b32 s4, 0x3c439041
	v_mad_u64_u32 v[28:29], s[4:5], v38, s4, v[24:25]
	v_mov_b32_e32 v24, v29
	s_mov_b32 s4, 0xdb629599
	;; [unrolled: 3-line block ×6, first 2 shown]
	v_mad_u64_u32 v[24:25], s[4:5], v38, s4, v[24:25]
	v_cndmask_b32_e32 v27, v36, v32, vcc
	v_cndmask_b32_e32 v24, v24, v34, vcc
	;; [unrolled: 1-line block ×3, first 2 shown]
	v_cndmask_b32_e64 v29, v24, v27, s[0:1]
	v_cndmask_b32_e64 v24, v25, v24, s[0:1]
	v_cndmask_b32_e32 v25, v34, v30, vcc
	v_cndmask_b32_e64 v27, v27, v25, s[0:1]
	v_cndmask_b32_e64 v24, v24, v29, s[2:3]
	;; [unrolled: 1-line block ×3, first 2 shown]
	v_sub_u32_e32 v31, 32, v23
	v_alignbit_b32 v33, v24, v29, v31
	v_cmp_eq_u32_e64 s[4:5], 0, v23
	v_cndmask_b32_e32 v26, v30, v26, vcc
	s_nop 0
	v_cndmask_b32_e64 v23, v33, v24, s[4:5]
	v_cndmask_b32_e32 v24, v32, v28, vcc
	v_cndmask_b32_e64 v25, v25, v24, s[0:1]
	v_cndmask_b32_e64 v27, v27, v25, s[2:3]
	v_alignbit_b32 v28, v29, v27, v31
	v_cndmask_b32_e64 v28, v28, v29, s[4:5]
	v_bfe_u32 v33, v23, 29, 1
	v_cndmask_b32_e64 v24, v24, v26, s[0:1]
	v_alignbit_b32 v29, v23, v28, 30
	v_sub_u32_e32 v34, 0, v33
	v_cndmask_b32_e64 v24, v25, v24, s[2:3]
	v_xor_b32_e32 v35, v29, v34
	v_alignbit_b32 v25, v27, v24, v31
	v_cndmask_b32_e64 v25, v25, v27, s[4:5]
	v_ffbh_u32_e32 v27, v35
	v_add_u32_e32 v27, 1, v27
	v_cmp_ne_u32_e32 vcc, v29, v34
	v_alignbit_b32 v26, v28, v25, 30
	v_alignbit_b32 v24, v25, v24, 30
	v_cndmask_b32_e32 v27, 33, v27, vcc
	v_xor_b32_e32 v26, v26, v34
	v_sub_u32_e32 v28, 32, v27
	v_xor_b32_e32 v24, v24, v34
	v_alignbit_b32 v29, v35, v26, v28
	v_alignbit_b32 v24, v26, v24, v28
	;; [unrolled: 1-line block ×3, first 2 shown]
	v_ffbh_u32_e32 v26, v25
	v_min_u32_e32 v26, 32, v26
	v_lshrrev_b32_e32 v32, 29, v23
	v_sub_u32_e32 v28, 31, v26
	v_alignbit_b32 v24, v25, v24, v28
	v_lshlrev_b32_e32 v25, 31, v32
	v_or_b32_e32 v28, 0x33800000, v25
	v_add_lshl_u32 v26, v26, v27, 23
	v_lshrrev_b32_e32 v24, 9, v24
	v_sub_u32_e32 v26, v28, v26
	v_or_b32_e32 v24, v26, v24
	v_alignbit_b32 v26, v27, v29, 9
	v_or_b32_e32 v25, v26, v25
	v_xor_b32_e32 v25, 1.0, v25
	s_mov_b32 s0, 0x3fc90fda
	v_mul_f32_e32 v26, 0x3fc90fda, v25
	v_fma_f32 v27, v25, s0, -v26
	v_fmamk_f32 v25, v25, 0x33a22168, v27
	v_fmac_f32_e32 v25, 0x3fc90fda, v24
	v_lshrrev_b32_e32 v23, 30, v23
	v_add_f32_e32 v24, v26, v25
	v_add_u32_e32 v23, v33, v23
	s_andn2_saveexec_b64 s[0:1], s[10:11]
	s_cbranch_execnz .LBB14_218
	s_branch .LBB14_219
.LBB14_217:
	s_andn2_saveexec_b64 s[0:1], s[10:11]
.LBB14_218:
	s_mov_b32 s2, 0x3f22f983
	v_mul_f32_e64 v23, |v10|, s2
	v_rndne_f32_e32 v24, v23
	s_mov_b32 s2, 0xbfc90fda
	v_cvt_i32_f32_e32 v23, v24
	v_fma_f32 v25, v24, s2, |v10|
	v_fmamk_f32 v25, v24, 0xb3a22168, v25
	v_fmamk_f32 v24, v24, 0xa7c234c4, v25
.LBB14_219:
	s_or_b64 exec, exec, s[0:1]
	v_mul_f32_e32 v25, v12, v12
	s_mov_b32 s2, 0x41c80000
	v_div_scale_f32 v26, s[0:1], v25, v25, s2
	v_rcp_f32_e32 v27, v26
	v_xor_b32_e32 v11, v11, v10
	s_mov_b32 s4, 0x40a00000
	v_mov_b32_e32 v34, 0xbf000004
	v_fma_f32 v28, -v26, v27, 1.0
	v_fmac_f32_e32 v27, v28, v27
	v_div_scale_f32 v28, vcc, s2, v25, s2
	v_mul_f32_e32 v29, v28, v27
	v_fma_f32 v30, -v26, v29, v28
	v_fmac_f32_e32 v29, v30, v27
	v_fma_f32 v26, -v26, v29, v28
	v_div_fmas_f32 v26, v26, v27, v29
	v_div_fixup_f32 v25, v26, v25, s2
	v_mov_b32_e32 v26, 0x3a50e985
	v_mov_b32_e32 v27, 0x3a725406
	v_fmac_f32_e32 v26, 0, v25
	v_fmac_f32_e32 v27, 0, v25
	v_fmaak_f32 v26, v25, v26, 0x3da9a586
	v_fmaak_f32 v27, v25, v27, 0x3daf5e2d
	;; [unrolled: 1-line block ×8, first 2 shown]
	v_mov_b32_e32 v28, 0xbc3a3a12
	v_fmaak_f32 v26, v25, v26, 0x40a9b425
	v_fmaak_f32 v27, v25, v27, 0x40a9cb2f
	v_fmac_f32_e32 v28, 0, v25
	v_mov_b32_e32 v29, 0x4280a2ba
	v_fma_f32 v27, v25, v27, 1.0
	v_fmaak_f32 v28, v25, v28, 0xbfa429da
	v_fmac_f32_e32 v29, 0, v25
	v_fma_f32 v26, v25, v26, 1.0
	v_fmaak_f32 v28, v25, v28, 0xc19c6e80
	v_fmaak_f32 v29, v25, v29, 0x44561b86
	v_div_scale_f32 v30, s[0:1], v27, v27, v26
	v_fmaak_f32 v28, v25, v28, 0xc2ba697b
	v_fmaak_f32 v29, v25, v29, 0x4572a66e
	v_rcp_f32_e32 v31, v30
	v_fmaak_f32 v28, v25, v28, 0xc331ae61
	v_fmaak_f32 v29, v25, v29, 0x45e243be
	;; [unrolled: 1-line block ×8, first 2 shown]
	v_fma_f32 v29, -v30, v31, 1.0
	v_fmac_f32_e32 v31, v29, v31
	v_div_scale_f32 v29, vcc, v26, v27, v26
	v_mul_f32_e32 v32, v29, v31
	v_fma_f32 v33, -v30, v32, v29
	v_fmac_f32_e32 v32, v33, v31
	v_fma_f32 v29, -v30, v32, v29
	v_div_fmas_f32 v29, v29, v31, v32
	v_div_fixup_f32 v26, v29, v27, v26
	v_mul_f32_e32 v27, v21, v21
	v_mov_b32_e32 v29, 0x3c0881c4
	v_fmamk_f32 v30, v27, 0xb94c1982, v29
	v_fmaak_f32 v30, v27, v30, 0xbe2aaa9d
	v_mul_f32_e32 v30, v27, v30
	v_fmac_f32_e32 v21, v21, v30
	v_mov_b32_e32 v30, 0xbab64f3b
	v_fmamk_f32 v32, v27, 0x37d75334, v30
	v_fmaak_f32 v32, v27, v32, 0x3d2aabf7
	v_fmaak_f32 v32, v27, v32, 0xbf000004
	v_fma_f32 v27, v27, v32, 1.0
	v_and_b32_e32 v32, 1, v20
	v_lshlrev_b32_e32 v20, 30, v20
	v_cmp_eq_u32_e32 vcc, 0, v32
	v_and_b32_e32 v20, 0x80000000, v20
	v_xor_b32_e32 v11, v11, v20
	v_cndmask_b32_e32 v21, v27, v21, vcc
	v_div_scale_f32 v20, s[0:1], v12, v12, s4
	v_xor_b32_e32 v11, v11, v21
	v_rcp_f32_e32 v21, v20
	s_movk_i32 s2, 0x1f8
	v_mov_b32_e32 v27, 0x7fc00000
	v_cmp_class_f32_e64 s[0:1], v10, s2
	v_mov_b32_e32 v31, 0xbe2aaa9d
	v_mov_b32_e32 v33, 0x3d2aabf7
	v_cndmask_b32_e64 v10, v27, v11, s[0:1]
	v_fma_f32 v11, -v20, v21, 1.0
	v_fmac_f32_e32 v21, v11, v21
	v_div_scale_f32 v11, vcc, s4, v12, s4
	v_mul_f32_e32 v32, v11, v21
	v_fma_f32 v35, -v20, v32, v11
	v_fmac_f32_e32 v32, v35, v21
	v_fma_f32 v11, -v20, v32, v11
	v_div_scale_f32 v20, s[2:3], v25, v25, v28
	v_rcp_f32_e32 v35, v20
	v_div_fmas_f32 v11, v11, v21, v32
	v_div_fixup_f32 v11, v11, v12, s4
	v_fma_f32 v21, -v20, v35, 1.0
	v_fmac_f32_e32 v35, v21, v35
	v_div_scale_f32 v21, vcc, v28, v25, v28
	v_mul_f32_e32 v32, v21, v35
	v_fma_f32 v36, -v20, v32, v21
	v_fmac_f32_e32 v32, v36, v35
	v_fma_f32 v20, -v20, v32, v21
	v_div_fmas_f32 v20, v20, v35, v32
	v_div_fixup_f32 v20, v20, v25, v28
	v_mul_f32_e32 v11, v11, v20
	v_mul_f32_e32 v20, v24, v24
	v_fmac_f32_e32 v29, 0xb94c1982, v20
	v_fmac_f32_e32 v31, v20, v29
	;; [unrolled: 1-line block ×3, first 2 shown]
	v_mul_f32_e32 v21, v20, v31
	v_fmac_f32_e32 v33, v20, v30
	v_fmac_f32_e32 v24, v24, v21
	;; [unrolled: 1-line block ×3, first 2 shown]
	v_and_b32_e32 v21, 1, v23
	v_fma_f32 v20, v20, v34, 1.0
	v_cmp_eq_u32_e32 vcc, 0, v21
	v_lshlrev_b32_e32 v21, 30, v23
	v_and_b32_e32 v21, 0x80000000, v21
	v_cndmask_b32_e64 v20, -v24, v20, vcc
	v_xor_b32_e32 v20, v21, v20
	v_cndmask_b32_e64 v20, v27, v20, s[0:1]
	s_mov_b32 s0, 0xf800000
	v_mul_f32_e32 v21, 0x4f800000, v12
	v_cmp_gt_f32_e32 vcc, s0, v12
	v_mul_f32_e32 v11, v11, v20
	v_fmac_f32_e32 v11, v26, v10
	v_cndmask_b32_e32 v12, v12, v21, vcc
	v_sqrt_f32_e32 v21, v12
	v_mul_f32_e32 v10, 0x3f4c422a, v11
	v_add_u32_e32 v11, -1, v21
	v_fma_f32 v20, -v11, v21, v12
	v_cmp_ge_f32_e64 s[0:1], 0, v20
	v_add_u32_e32 v20, 1, v21
	s_nop 0
	v_cndmask_b32_e64 v11, v21, v11, s[0:1]
	v_fma_f32 v21, -v20, v21, v12
	v_cmp_lt_f32_e64 s[0:1], 0, v21
	s_nop 1
	v_cndmask_b32_e64 v11, v11, v20, s[0:1]
	v_mul_f32_e32 v20, 0x37800000, v11
	v_cndmask_b32_e32 v11, v11, v20, vcc
	v_mov_b32_e32 v20, 0x260
	v_cmp_class_f32_e32 vcc, v12, v20
	s_nop 1
	v_cndmask_b32_e32 v11, v11, v12, vcc
	v_div_scale_f32 v12, s[0:1], v11, v11, v10
	v_rcp_f32_e32 v20, v12
	s_nop 0
	v_fma_f32 v21, -v12, v20, 1.0
	v_fmac_f32_e32 v20, v21, v20
	v_div_scale_f32 v21, vcc, v10, v11, v10
	v_mul_f32_e32 v23, v21, v20
	v_fma_f32 v24, -v12, v23, v21
	v_fmac_f32_e32 v23, v24, v20
	v_fma_f32 v12, -v12, v23, v21
	v_div_fmas_f32 v12, v12, v20, v23
	v_div_fixup_f32 v20, v12, v11, v10
.LBB14_220:
	s_or_b64 exec, exec, s[8:9]
	s_mov_b32 s0, 0x40a00000
	v_cmp_ge_f32_e32 vcc, s0, v13
	s_and_saveexec_b64 s[0:1], vcc
	s_xor_b64 s[2:3], exec, s[0:1]
	s_cbranch_execz .LBB14_230
; %bb.221:
	v_cmp_neq_f32_e32 vcc, 0, v13
	v_mov_b32_e32 v21, 0xff800000
	s_and_saveexec_b64 s[4:5], vcc
	s_cbranch_execz .LBB14_229
; %bb.222:
	v_cmp_ngt_f32_e32 vcc, 0, v13
	v_mov_b32_e32 v21, 0x7fc00000
	s_and_saveexec_b64 s[8:9], vcc
	s_cbranch_execz .LBB14_228
; %bb.223:
	v_mul_f32_e32 v10, v13, v13
	s_mov_b32 s0, 0x3727c5ac
	v_mul_f32_e32 v24, 0, v10
	v_cmp_ngt_f32_e32 vcc, s0, v13
                                        ; implicit-def: $vgpr11
	s_and_saveexec_b64 s[0:1], vcc
	s_xor_b64 s[0:1], exec, s[0:1]
	s_cbranch_execz .LBB14_225
; %bb.224:
	v_add_f32_e32 v11, 0x43f9c815, v24
	v_fmaak_f32 v11, v10, v11, 0x4829b65a
	v_fmaak_f32 v11, v10, v11, 0x4c38c9a1
	;; [unrolled: 1-line block ×3, first 2 shown]
	s_mov_b32 s10, 0xcf8ee29d
	v_mul_f32_e32 v25, v10, v11
	s_mov_b32 s11, 0x53f5f59c
	v_pk_add_f32 v[26:27], v[24:25], s[10:11]
	s_mov_b32 s10, 0x53e3ba8e
	s_mov_b32 s11, 0x578d3514
	v_pk_fma_f32 v[26:27], v[10:11], v[26:27], s[10:11] op_sel_hi:[0,1,1]
	s_mov_b32 s10, 0xd762b0a7
	s_mov_b32 s11, 0x5ae20a0c
	v_pk_fma_f32 v[26:27], v[10:11], v[26:27], s[10:11] op_sel_hi:[0,1,1]
	;; [unrolled: 3-line block ×3, first 2 shown]
	s_mov_b32 s10, 0xc0b90fdc
	s_mov_b32 s11, 0xc1f3c525
	v_pk_add_f32 v[28:29], v[10:11], s[10:11] op_sel_hi:[0,1]
	v_mul_f32_e32 v11, v28, v29
	v_mul_f32_e32 v11, v11, v26
	v_div_scale_f32 v12, s[10:11], v27, v27, v11
	v_rcp_f32_e32 v21, v12
	s_nop 0
	v_fma_f32 v23, -v12, v21, 1.0
	v_fmac_f32_e32 v21, v23, v21
	v_div_scale_f32 v23, vcc, v11, v27, v11
	v_mul_f32_e32 v25, v23, v21
	v_fma_f32 v26, -v12, v25, v23
	v_fmac_f32_e32 v25, v26, v21
	v_fma_f32 v12, -v12, v25, v23
	v_div_fmas_f32 v12, v12, v21, v25
	v_div_fixup_f32 v11, v12, v27, v11
.LBB14_225:
	s_andn2_saveexec_b64 s[0:1], s[0:1]
; %bb.226:
	v_mov_b32_e32 v11, 1.0
	v_fmamk_f32 v11, v10, 0xbe800000, v11
; %bb.227:
	s_or_b64 exec, exec, s[0:1]
	v_add_f32_e32 v12, 0x4673a1bf, v24
	v_fmaak_f32 v12, v10, v12, 0xcb5fc0fa
	v_add_f32_e32 v21, 0x44822913, v24
	v_fmaak_f32 v12, v10, v12, 0x4fa1fbc8
	v_fmaak_f32 v21, v10, v21, 0x4918dbb5
	;; [unrolled: 1-line block ×12, first 2 shown]
	v_div_scale_f32 v12, s[0:1], v21, v21, v10
	v_rcp_f32_e32 v23, v12
	s_mov_b32 s0, 0x800000
	v_cmp_gt_f32_e64 s[0:1], s0, v13
	s_mov_b32 s10, 0x3f317217
	v_fma_f32 v24, -v12, v23, 1.0
	v_fmac_f32_e32 v23, v24, v23
	v_div_scale_f32 v24, vcc, v10, v21, v10
	v_mul_f32_e32 v25, v24, v23
	v_fma_f32 v26, -v12, v25, v24
	v_fmac_f32_e32 v25, v26, v23
	v_fma_f32 v12, -v12, v25, v24
	v_mov_b32_e32 v24, 0x4f800000
	v_cndmask_b32_e64 v24, 1.0, v24, s[0:1]
	v_mul_f32_e32 v13, v13, v24
	v_log_f32_e32 v13, v13
	v_div_fmas_f32 v12, v12, v23, v25
	v_div_fixup_f32 v21, v12, v21, v10
	v_mul_f32_e32 v10, 0x3f317217, v13
	v_fma_f32 v12, v13, s10, -v10
	v_fmamk_f32 v12, v13, 0x3377d1cf, v12
	s_mov_b32 s10, 0x7f800000
	v_add_f32_e32 v10, v10, v12
	v_cmp_lt_f32_e64 vcc, |v13|, s10
	v_mov_b32_e32 v12, 0x41b17218
	v_cndmask_b32_e64 v12, 0, v12, s[0:1]
	v_cndmask_b32_e32 v10, v13, v10, vcc
	v_sub_f32_e32 v10, v10, v12
	v_mul_f32_e32 v10, 0x3f22f983, v10
	v_fmac_f32_e32 v21, v10, v11
.LBB14_228:
	s_or_b64 exec, exec, s[8:9]
.LBB14_229:
	s_or_b64 exec, exec, s[4:5]
                                        ; implicit-def: $vgpr10_vgpr11_vgpr12_vgpr13
.LBB14_230:
	s_andn2_saveexec_b64 s[8:9], s[2:3]
	s_cbranch_execz .LBB14_240
; %bb.231:
	v_add_f32_e32 v10, 0xbf490fdb, v13
	v_and_b32_e32 v11, 0x7fffffff, v10
	s_brev_b32 s0, 18
	v_cmp_nlt_f32_e64 s[10:11], |v10|, s0
	v_lshrrev_b32_e32 v25, 23, v11
                                        ; implicit-def: $vgpr12
                                        ; implicit-def: $vgpr21
	s_and_saveexec_b64 s[0:1], s[10:11]
	s_xor_b64 s[12:13], exec, s[0:1]
	s_cbranch_execz .LBB14_233
; %bb.232:
	v_add_u32_e32 v12, 0xffffff88, v25
	v_not_b32_e32 v21, 63
	v_cmp_lt_u32_e32 vcc, 63, v12
	s_mov_b32 s4, 0xfe5163ab
	v_mov_b32_e32 v27, 0
	v_cndmask_b32_e32 v21, 0, v21, vcc
	v_add_u32_e32 v12, v21, v12
	v_not_b32_e32 v21, 31
	v_cmp_lt_u32_e64 s[0:1], 31, v12
	s_nop 1
	v_cndmask_b32_e64 v23, 0, v21, s[0:1]
	v_add_u32_e32 v12, v23, v12
	v_cmp_lt_u32_e64 s[2:3], 31, v12
	s_nop 1
	v_cndmask_b32_e64 v21, 0, v21, s[2:3]
	v_add_u32_e32 v12, v21, v12
	v_and_b32_e32 v21, 0x7fffff, v11
	v_or_b32_e32 v21, 0x800000, v21
	v_mad_u64_u32 v[28:29], s[4:5], v21, s4, 0
	v_mov_b32_e32 v26, v29
	s_mov_b32 s4, 0x3c439041
	v_mad_u64_u32 v[30:31], s[4:5], v21, s4, v[26:27]
	v_mov_b32_e32 v26, v31
	s_mov_b32 s4, 0xdb629599
	;; [unrolled: 3-line block ×6, first 2 shown]
	v_mad_u64_u32 v[26:27], s[4:5], v21, s4, v[26:27]
	v_cndmask_b32_e32 v23, v38, v34, vcc
	v_cndmask_b32_e32 v21, v26, v36, vcc
	;; [unrolled: 1-line block ×3, first 2 shown]
	v_cndmask_b32_e64 v24, v21, v23, s[0:1]
	v_cndmask_b32_e64 v21, v26, v21, s[0:1]
	v_cndmask_b32_e32 v26, v36, v32, vcc
	v_cndmask_b32_e64 v23, v23, v26, s[0:1]
	v_cndmask_b32_e64 v21, v21, v24, s[2:3]
	;; [unrolled: 1-line block ×3, first 2 shown]
	v_sub_u32_e32 v27, 32, v12
	v_alignbit_b32 v29, v21, v24, v27
	v_cmp_eq_u32_e64 s[4:5], 0, v12
	v_cndmask_b32_e32 v28, v32, v28, vcc
	s_nop 0
	v_cndmask_b32_e64 v12, v29, v21, s[4:5]
	v_cndmask_b32_e32 v21, v34, v30, vcc
	v_cndmask_b32_e64 v26, v26, v21, s[0:1]
	v_cndmask_b32_e64 v23, v23, v26, s[2:3]
	v_alignbit_b32 v29, v24, v23, v27
	v_cndmask_b32_e64 v24, v29, v24, s[4:5]
	v_bfe_u32 v31, v12, 29, 1
	v_cndmask_b32_e64 v21, v21, v28, s[0:1]
	v_alignbit_b32 v29, v12, v24, 30
	v_sub_u32_e32 v33, 0, v31
	v_cndmask_b32_e64 v21, v26, v21, s[2:3]
	v_xor_b32_e32 v34, v29, v33
	v_alignbit_b32 v26, v23, v21, v27
	v_cndmask_b32_e64 v23, v26, v23, s[4:5]
	v_ffbh_u32_e32 v26, v34
	v_add_u32_e32 v26, 1, v26
	v_cmp_ne_u32_e32 vcc, v29, v33
	v_alignbit_b32 v24, v24, v23, 30
	v_alignbit_b32 v21, v23, v21, 30
	v_cndmask_b32_e32 v26, 33, v26, vcc
	v_xor_b32_e32 v24, v24, v33
	v_sub_u32_e32 v27, 32, v26
	v_xor_b32_e32 v21, v21, v33
	v_alignbit_b32 v28, v34, v24, v27
	v_alignbit_b32 v21, v24, v21, v27
	;; [unrolled: 1-line block ×3, first 2 shown]
	v_ffbh_u32_e32 v24, v23
	v_min_u32_e32 v24, 32, v24
	v_lshrrev_b32_e32 v30, 29, v12
	v_sub_u32_e32 v27, 31, v24
	v_alignbit_b32 v21, v23, v21, v27
	v_lshlrev_b32_e32 v23, 31, v30
	v_or_b32_e32 v27, 0x33800000, v23
	v_add_lshl_u32 v24, v24, v26, 23
	v_lshrrev_b32_e32 v21, 9, v21
	v_sub_u32_e32 v24, v27, v24
	v_or_b32_e32 v21, v24, v21
	v_alignbit_b32 v24, v26, v28, 9
	v_or_b32_e32 v23, v24, v23
	v_xor_b32_e32 v23, 1.0, v23
	s_mov_b32 s0, 0x3fc90fda
	v_mul_f32_e32 v24, 0x3fc90fda, v23
	v_fma_f32 v26, v23, s0, -v24
	v_fmamk_f32 v23, v23, 0x33a22168, v26
	v_fmac_f32_e32 v23, 0x3fc90fda, v21
	v_lshrrev_b32_e32 v12, 30, v12
	v_add_f32_e32 v21, v24, v23
	v_add_u32_e32 v12, v31, v12
	s_andn2_saveexec_b64 s[0:1], s[12:13]
	s_branch .LBB14_234
.LBB14_233:
	s_andn2_saveexec_b64 s[0:1], s[12:13]
.LBB14_234:
	s_mov_b32 s2, 0x3f22f983
	v_mul_f32_e64 v12, |v10|, s2
	v_rndne_f32_e32 v21, v12
	s_mov_b32 s2, 0xbfc90fda
	v_cvt_i32_f32_e32 v12, v21
	v_fma_f32 v23, v21, s2, |v10|
	v_fmamk_f32 v23, v21, 0xb3a22168, v23
	v_fmamk_f32 v21, v21, 0xa7c234c4, v23
; %bb.235:
	s_or_b64 exec, exec, s[0:1]
                                        ; implicit-def: $vgpr23
                                        ; implicit-def: $vgpr24
	s_and_saveexec_b64 s[0:1], s[10:11]
	s_xor_b64 s[10:11], exec, s[0:1]
	s_cbranch_execz .LBB14_237
; %bb.236:
	v_add_u32_e32 v23, 0xffffff88, v25
	v_not_b32_e32 v24, 63
	v_cmp_lt_u32_e32 vcc, 63, v23
	s_mov_b32 s4, 0xfe5163ab
	v_mov_b32_e32 v25, 0
	v_cndmask_b32_e32 v24, 0, v24, vcc
	v_add_u32_e32 v23, v24, v23
	v_not_b32_e32 v24, 31
	v_cmp_lt_u32_e64 s[0:1], 31, v23
	s_nop 1
	v_cndmask_b32_e64 v26, 0, v24, s[0:1]
	v_add_u32_e32 v23, v26, v23
	v_cmp_lt_u32_e64 s[2:3], 31, v23
	s_nop 1
	v_cndmask_b32_e64 v24, 0, v24, s[2:3]
	v_add_u32_e32 v23, v24, v23
	v_and_b32_e32 v24, 0x7fffff, v11
	v_or_b32_e32 v38, 0x800000, v24
	v_mad_u64_u32 v[26:27], s[4:5], v38, s4, 0
	v_mov_b32_e32 v24, v27
	s_mov_b32 s4, 0x3c439041
	v_mad_u64_u32 v[28:29], s[4:5], v38, s4, v[24:25]
	v_mov_b32_e32 v24, v29
	s_mov_b32 s4, 0xdb629599
	v_mad_u64_u32 v[30:31], s[4:5], v38, s4, v[24:25]
	v_mov_b32_e32 v24, v31
	s_mov_b32 s4, 0xf534ddc0
	v_mad_u64_u32 v[32:33], s[4:5], v38, s4, v[24:25]
	v_mov_b32_e32 v24, v33
	s_mov_b32 s4, 0xfc2757d1
	v_mad_u64_u32 v[34:35], s[4:5], v38, s4, v[24:25]
	v_mov_b32_e32 v24, v35
	s_mov_b32 s4, 0x4e441529
	v_mad_u64_u32 v[36:37], s[4:5], v38, s4, v[24:25]
	v_mov_b32_e32 v24, v37
	s_mov_b32 s4, 0xa2f9836e
	v_mad_u64_u32 v[24:25], s[4:5], v38, s4, v[24:25]
	v_cndmask_b32_e32 v27, v36, v32, vcc
	v_cndmask_b32_e32 v24, v24, v34, vcc
	;; [unrolled: 1-line block ×3, first 2 shown]
	v_cndmask_b32_e64 v29, v24, v27, s[0:1]
	v_cndmask_b32_e64 v24, v25, v24, s[0:1]
	v_cndmask_b32_e32 v25, v34, v30, vcc
	v_cndmask_b32_e64 v27, v27, v25, s[0:1]
	v_cndmask_b32_e64 v24, v24, v29, s[2:3]
	;; [unrolled: 1-line block ×3, first 2 shown]
	v_sub_u32_e32 v31, 32, v23
	v_alignbit_b32 v33, v24, v29, v31
	v_cmp_eq_u32_e64 s[4:5], 0, v23
	v_cndmask_b32_e32 v26, v30, v26, vcc
	s_nop 0
	v_cndmask_b32_e64 v23, v33, v24, s[4:5]
	v_cndmask_b32_e32 v24, v32, v28, vcc
	v_cndmask_b32_e64 v25, v25, v24, s[0:1]
	v_cndmask_b32_e64 v27, v27, v25, s[2:3]
	v_alignbit_b32 v28, v29, v27, v31
	v_cndmask_b32_e64 v28, v28, v29, s[4:5]
	v_bfe_u32 v33, v23, 29, 1
	v_cndmask_b32_e64 v24, v24, v26, s[0:1]
	v_alignbit_b32 v29, v23, v28, 30
	v_sub_u32_e32 v34, 0, v33
	v_cndmask_b32_e64 v24, v25, v24, s[2:3]
	v_xor_b32_e32 v35, v29, v34
	v_alignbit_b32 v25, v27, v24, v31
	v_cndmask_b32_e64 v25, v25, v27, s[4:5]
	v_ffbh_u32_e32 v27, v35
	v_add_u32_e32 v27, 1, v27
	v_cmp_ne_u32_e32 vcc, v29, v34
	v_alignbit_b32 v26, v28, v25, 30
	v_alignbit_b32 v24, v25, v24, 30
	v_cndmask_b32_e32 v27, 33, v27, vcc
	v_xor_b32_e32 v26, v26, v34
	v_sub_u32_e32 v28, 32, v27
	v_xor_b32_e32 v24, v24, v34
	v_alignbit_b32 v29, v35, v26, v28
	v_alignbit_b32 v24, v26, v24, v28
	;; [unrolled: 1-line block ×3, first 2 shown]
	v_ffbh_u32_e32 v26, v25
	v_min_u32_e32 v26, 32, v26
	v_lshrrev_b32_e32 v32, 29, v23
	v_sub_u32_e32 v28, 31, v26
	v_alignbit_b32 v24, v25, v24, v28
	v_lshlrev_b32_e32 v25, 31, v32
	v_or_b32_e32 v28, 0x33800000, v25
	v_add_lshl_u32 v26, v26, v27, 23
	v_lshrrev_b32_e32 v24, 9, v24
	v_sub_u32_e32 v26, v28, v26
	v_or_b32_e32 v24, v26, v24
	v_alignbit_b32 v26, v27, v29, 9
	v_or_b32_e32 v25, v26, v25
	v_xor_b32_e32 v25, 1.0, v25
	s_mov_b32 s0, 0x3fc90fda
	v_mul_f32_e32 v26, 0x3fc90fda, v25
	v_fma_f32 v27, v25, s0, -v26
	v_fmamk_f32 v25, v25, 0x33a22168, v27
	v_fmac_f32_e32 v25, 0x3fc90fda, v24
	v_lshrrev_b32_e32 v23, 30, v23
	v_add_f32_e32 v24, v26, v25
	v_add_u32_e32 v23, v33, v23
	s_andn2_saveexec_b64 s[0:1], s[10:11]
	s_cbranch_execnz .LBB14_238
	s_branch .LBB14_239
.LBB14_237:
	s_andn2_saveexec_b64 s[0:1], s[10:11]
.LBB14_238:
	s_mov_b32 s2, 0x3f22f983
	v_mul_f32_e64 v23, |v10|, s2
	v_rndne_f32_e32 v24, v23
	s_mov_b32 s2, 0xbfc90fda
	v_cvt_i32_f32_e32 v23, v24
	v_fma_f32 v25, v24, s2, |v10|
	v_fmamk_f32 v25, v24, 0xb3a22168, v25
	v_fmamk_f32 v24, v24, 0xa7c234c4, v25
.LBB14_239:
	s_or_b64 exec, exec, s[0:1]
	v_mul_f32_e32 v25, v13, v13
	s_mov_b32 s2, 0x41c80000
	v_div_scale_f32 v26, s[0:1], v25, v25, s2
	v_rcp_f32_e32 v27, v26
	v_xor_b32_e32 v11, v11, v10
	s_mov_b32 s4, 0x40a00000
	v_mov_b32_e32 v34, 0xbf000004
	v_fma_f32 v28, -v26, v27, 1.0
	v_fmac_f32_e32 v27, v28, v27
	v_div_scale_f32 v28, vcc, s2, v25, s2
	v_mul_f32_e32 v29, v28, v27
	v_fma_f32 v30, -v26, v29, v28
	v_fmac_f32_e32 v29, v30, v27
	v_fma_f32 v26, -v26, v29, v28
	v_div_fmas_f32 v26, v26, v27, v29
	v_div_fixup_f32 v25, v26, v25, s2
	v_mov_b32_e32 v26, 0x3a50e985
	v_mov_b32_e32 v27, 0x3a725406
	v_fmac_f32_e32 v26, 0, v25
	v_fmac_f32_e32 v27, 0, v25
	v_fmaak_f32 v26, v25, v26, 0x3da9a586
	v_fmaak_f32 v27, v25, v27, 0x3daf5e2d
	;; [unrolled: 1-line block ×8, first 2 shown]
	v_mov_b32_e32 v28, 0xbc3a3a12
	v_fmaak_f32 v26, v25, v26, 0x40a9b425
	v_fmaak_f32 v27, v25, v27, 0x40a9cb2f
	v_fmac_f32_e32 v28, 0, v25
	v_mov_b32_e32 v29, 0x4280a2ba
	v_fma_f32 v27, v25, v27, 1.0
	v_fmaak_f32 v28, v25, v28, 0xbfa429da
	v_fmac_f32_e32 v29, 0, v25
	v_fma_f32 v26, v25, v26, 1.0
	v_fmaak_f32 v28, v25, v28, 0xc19c6e80
	v_fmaak_f32 v29, v25, v29, 0x44561b86
	v_div_scale_f32 v30, s[0:1], v27, v27, v26
	v_fmaak_f32 v28, v25, v28, 0xc2ba697b
	v_fmaak_f32 v29, v25, v29, 0x4572a66e
	v_rcp_f32_e32 v31, v30
	v_fmaak_f32 v28, v25, v28, 0xc331ae61
	v_fmaak_f32 v29, v25, v29, 0x45e243be
	;; [unrolled: 1-line block ×8, first 2 shown]
	v_fma_f32 v29, -v30, v31, 1.0
	v_fmac_f32_e32 v31, v29, v31
	v_div_scale_f32 v29, vcc, v26, v27, v26
	v_mul_f32_e32 v32, v29, v31
	v_fma_f32 v33, -v30, v32, v29
	v_fmac_f32_e32 v32, v33, v31
	v_fma_f32 v29, -v30, v32, v29
	v_div_fmas_f32 v29, v29, v31, v32
	v_div_fixup_f32 v26, v29, v27, v26
	v_mul_f32_e32 v27, v21, v21
	v_mov_b32_e32 v29, 0x3c0881c4
	v_fmamk_f32 v30, v27, 0xb94c1982, v29
	v_fmaak_f32 v30, v27, v30, 0xbe2aaa9d
	v_mul_f32_e32 v30, v27, v30
	v_fmac_f32_e32 v21, v21, v30
	v_mov_b32_e32 v30, 0xbab64f3b
	v_fmamk_f32 v32, v27, 0x37d75334, v30
	v_fmaak_f32 v32, v27, v32, 0x3d2aabf7
	v_fmaak_f32 v32, v27, v32, 0xbf000004
	v_fma_f32 v27, v27, v32, 1.0
	v_and_b32_e32 v32, 1, v12
	v_lshlrev_b32_e32 v12, 30, v12
	v_cmp_eq_u32_e32 vcc, 0, v32
	v_and_b32_e32 v12, 0x80000000, v12
	v_xor_b32_e32 v11, v11, v12
	v_cndmask_b32_e32 v21, v27, v21, vcc
	v_div_scale_f32 v12, s[0:1], v13, v13, s4
	v_xor_b32_e32 v11, v11, v21
	v_rcp_f32_e32 v21, v12
	s_movk_i32 s2, 0x1f8
	v_mov_b32_e32 v27, 0x7fc00000
	v_cmp_class_f32_e64 s[0:1], v10, s2
	v_mov_b32_e32 v31, 0xbe2aaa9d
	v_mov_b32_e32 v33, 0x3d2aabf7
	v_cndmask_b32_e64 v10, v27, v11, s[0:1]
	v_fma_f32 v11, -v12, v21, 1.0
	v_fmac_f32_e32 v21, v11, v21
	v_div_scale_f32 v11, vcc, s4, v13, s4
	v_mul_f32_e32 v32, v11, v21
	v_fma_f32 v35, -v12, v32, v11
	v_fmac_f32_e32 v32, v35, v21
	v_fma_f32 v11, -v12, v32, v11
	v_div_scale_f32 v12, s[2:3], v25, v25, v28
	v_rcp_f32_e32 v35, v12
	v_div_fmas_f32 v11, v11, v21, v32
	v_div_fixup_f32 v11, v11, v13, s4
	v_fma_f32 v21, -v12, v35, 1.0
	v_fmac_f32_e32 v35, v21, v35
	v_div_scale_f32 v21, vcc, v28, v25, v28
	v_mul_f32_e32 v32, v21, v35
	v_fma_f32 v36, -v12, v32, v21
	v_fmac_f32_e32 v32, v36, v35
	v_fma_f32 v12, -v12, v32, v21
	v_div_fmas_f32 v12, v12, v35, v32
	v_div_fixup_f32 v12, v12, v25, v28
	v_mul_f32_e32 v11, v11, v12
	v_mul_f32_e32 v12, v24, v24
	v_fmac_f32_e32 v29, 0xb94c1982, v12
	v_fmac_f32_e32 v31, v12, v29
	;; [unrolled: 1-line block ×3, first 2 shown]
	v_mul_f32_e32 v21, v12, v31
	v_fmac_f32_e32 v33, v12, v30
	v_fmac_f32_e32 v24, v24, v21
	;; [unrolled: 1-line block ×3, first 2 shown]
	v_and_b32_e32 v21, 1, v23
	v_fma_f32 v12, v12, v34, 1.0
	v_cmp_eq_u32_e32 vcc, 0, v21
	v_lshlrev_b32_e32 v21, 30, v23
	v_and_b32_e32 v21, 0x80000000, v21
	v_cndmask_b32_e64 v12, -v24, v12, vcc
	v_xor_b32_e32 v12, v21, v12
	v_cndmask_b32_e64 v12, v27, v12, s[0:1]
	s_mov_b32 s0, 0xf800000
	v_mul_f32_e32 v21, 0x4f800000, v13
	v_cmp_gt_f32_e32 vcc, s0, v13
	v_mul_f32_e32 v11, v11, v12
	v_fmac_f32_e32 v11, v26, v10
	v_cndmask_b32_e32 v13, v13, v21, vcc
	v_sqrt_f32_e32 v21, v13
	v_mul_f32_e32 v10, 0x3f4c422a, v11
	v_add_u32_e32 v11, -1, v21
	v_fma_f32 v12, -v11, v21, v13
	v_cmp_ge_f32_e64 s[0:1], 0, v12
	v_add_u32_e32 v12, 1, v21
	s_nop 0
	v_cndmask_b32_e64 v11, v21, v11, s[0:1]
	v_fma_f32 v21, -v12, v21, v13
	v_cmp_lt_f32_e64 s[0:1], 0, v21
	s_nop 1
	v_cndmask_b32_e64 v11, v11, v12, s[0:1]
	v_mul_f32_e32 v12, 0x37800000, v11
	v_cndmask_b32_e32 v11, v11, v12, vcc
	v_mov_b32_e32 v12, 0x260
	v_cmp_class_f32_e32 vcc, v13, v12
	s_nop 1
	v_cndmask_b32_e32 v11, v11, v13, vcc
	v_div_scale_f32 v12, s[0:1], v11, v11, v10
	v_rcp_f32_e32 v13, v12
	s_nop 0
	v_fma_f32 v21, -v12, v13, 1.0
	v_fmac_f32_e32 v13, v21, v13
	v_div_scale_f32 v21, vcc, v10, v11, v10
	v_mul_f32_e32 v23, v21, v13
	v_fma_f32 v24, -v12, v23, v21
	v_fmac_f32_e32 v23, v24, v13
	v_fma_f32 v12, -v12, v23, v21
	v_div_fmas_f32 v12, v12, v13, v23
	v_div_fixup_f32 v21, v12, v11, v10
.LBB14_240:
	s_or_b64 exec, exec, s[8:9]
	s_mov_b32 s0, 0x40a00000
	v_cmp_ge_f32_e32 vcc, s0, v2
                                        ; implicit-def: $vgpr10
	s_and_saveexec_b64 s[0:1], vcc
	s_xor_b64 s[2:3], exec, s[0:1]
	s_cbranch_execz .LBB14_250
; %bb.241:
	v_cmp_neq_f32_e32 vcc, 0, v2
	v_mov_b32_e32 v10, 0xff800000
	s_and_saveexec_b64 s[4:5], vcc
	s_cbranch_execz .LBB14_249
; %bb.242:
	v_cmp_ngt_f32_e32 vcc, 0, v2
	v_mov_b32_e32 v10, 0x7fc00000
	s_and_saveexec_b64 s[8:9], vcc
	s_cbranch_execz .LBB14_248
; %bb.243:
	v_mul_f32_e32 v10, v2, v2
	s_mov_b32 s0, 0x3727c5ac
	v_mul_f32_e32 v12, 0, v10
	v_cmp_ngt_f32_e32 vcc, s0, v2
                                        ; implicit-def: $vgpr11
	s_and_saveexec_b64 s[0:1], vcc
	s_xor_b64 s[0:1], exec, s[0:1]
	s_cbranch_execz .LBB14_245
; %bb.244:
	v_add_f32_e32 v11, 0x43f9c815, v12
	v_fmaak_f32 v11, v10, v11, 0x4829b65a
	v_fmaak_f32 v11, v10, v11, 0x4c38c9a1
	;; [unrolled: 1-line block ×3, first 2 shown]
	s_mov_b32 s10, 0xcf8ee29d
	v_mul_f32_e32 v13, v10, v11
	s_mov_b32 s11, 0x53f5f59c
	v_pk_add_f32 v[24:25], v[12:13], s[10:11]
	s_mov_b32 s10, 0x53e3ba8e
	s_mov_b32 s11, 0x578d3514
	v_pk_fma_f32 v[24:25], v[10:11], v[24:25], s[10:11] op_sel_hi:[0,1,1]
	s_mov_b32 s10, 0xd762b0a7
	s_mov_b32 s11, 0x5ae20a0c
	v_pk_fma_f32 v[24:25], v[10:11], v[24:25], s[10:11] op_sel_hi:[0,1,1]
	;; [unrolled: 3-line block ×3, first 2 shown]
	s_mov_b32 s10, 0xc0b90fdc
	s_mov_b32 s11, 0xc1f3c525
	v_pk_add_f32 v[26:27], v[10:11], s[10:11] op_sel_hi:[0,1]
	v_mul_f32_e32 v11, v26, v27
	v_mul_f32_e32 v11, v11, v24
	v_div_scale_f32 v13, s[10:11], v25, v25, v11
	v_rcp_f32_e32 v23, v13
	s_nop 0
	v_fma_f32 v24, -v13, v23, 1.0
	v_fmac_f32_e32 v23, v24, v23
	v_div_scale_f32 v24, vcc, v11, v25, v11
	v_mul_f32_e32 v26, v24, v23
	v_fma_f32 v27, -v13, v26, v24
	v_fmac_f32_e32 v26, v27, v23
	v_fma_f32 v13, -v13, v26, v24
	v_div_fmas_f32 v13, v13, v23, v26
	v_div_fixup_f32 v11, v13, v25, v11
.LBB14_245:
	s_andn2_saveexec_b64 s[0:1], s[0:1]
; %bb.246:
	v_mov_b32_e32 v11, 1.0
	v_fmamk_f32 v11, v10, 0xbe800000, v11
; %bb.247:
	s_or_b64 exec, exec, s[0:1]
	v_add_f32_e32 v13, 0x4673a1bf, v12
	v_fmaak_f32 v13, v10, v13, 0xcb5fc0fa
	v_add_f32_e32 v12, 0x44822913, v12
	v_fmaak_f32 v13, v10, v13, 0x4fa1fbc8
	v_fmaak_f32 v12, v10, v12, 0x4918dbb5
	v_fmaak_f32 v13, v10, v13, 0xd364abdf
	v_fmaak_f32 v12, v10, v12, 0x4d803b1b
	v_fmaak_f32 v13, v10, v13, 0x569f5392
	v_fmaak_f32 v12, v10, v12, 0x51a0eed9
	v_fmaak_f32 v13, v10, v13, 0xd945090f
	v_fmaak_f32 v12, v10, v12, 0x5593afe6
	v_fmaak_f32 v13, v10, v13, 0x5b1d4a5b
	v_fmaak_f32 v12, v10, v12, 0x59344887
	v_fmaak_f32 v12, v10, v12, 0x5c5e92fe
	v_fmaak_f32 v10, v10, v13, 0xda836a5b
	v_div_scale_f32 v13, s[0:1], v12, v12, v10
	v_rcp_f32_e32 v23, v13
	s_mov_b32 s0, 0x800000
	v_cmp_gt_f32_e64 s[0:1], s0, v2
	s_mov_b32 s10, 0x3f317217
	v_fma_f32 v24, -v13, v23, 1.0
	v_fmac_f32_e32 v23, v24, v23
	v_div_scale_f32 v24, vcc, v10, v12, v10
	v_mul_f32_e32 v25, v24, v23
	v_fma_f32 v26, -v13, v25, v24
	v_fmac_f32_e32 v25, v26, v23
	v_fma_f32 v13, -v13, v25, v24
	v_mov_b32_e32 v24, 0x4f800000
	v_cndmask_b32_e64 v24, 1.0, v24, s[0:1]
	v_mul_f32_e32 v24, v2, v24
	v_log_f32_e32 v24, v24
	v_div_fmas_f32 v13, v13, v23, v25
	v_div_fixup_f32 v10, v13, v12, v10
	v_mul_f32_e32 v12, 0x3f317217, v24
	v_fma_f32 v13, v24, s10, -v12
	v_fmamk_f32 v13, v24, 0x3377d1cf, v13
	s_mov_b32 s10, 0x7f800000
	v_add_f32_e32 v12, v12, v13
	v_cmp_lt_f32_e64 vcc, |v24|, s10
	v_mov_b32_e32 v13, 0x41b17218
	v_cndmask_b32_e64 v13, 0, v13, s[0:1]
	v_cndmask_b32_e32 v12, v24, v12, vcc
	v_sub_f32_e32 v12, v12, v13
	v_mul_f32_e32 v12, 0x3f22f983, v12
	v_fmac_f32_e32 v10, v12, v11
.LBB14_248:
	s_or_b64 exec, exec, s[8:9]
.LBB14_249:
	s_or_b64 exec, exec, s[4:5]
.LBB14_250:
	s_andn2_saveexec_b64 s[8:9], s[2:3]
	s_cbranch_execz .LBB14_260
; %bb.251:
	v_add_f32_e32 v10, 0xbf490fdb, v2
	v_and_b32_e32 v11, 0x7fffffff, v10
	s_brev_b32 s0, 18
	v_cmp_nlt_f32_e64 s[10:11], |v10|, s0
	v_lshrrev_b32_e32 v25, 23, v11
                                        ; implicit-def: $vgpr12
                                        ; implicit-def: $vgpr13
	s_and_saveexec_b64 s[0:1], s[10:11]
	s_xor_b64 s[12:13], exec, s[0:1]
	s_cbranch_execz .LBB14_253
; %bb.252:
	v_add_u32_e32 v12, 0xffffff88, v25
	v_not_b32_e32 v23, 63
	v_cmp_lt_u32_e32 vcc, 63, v12
	s_mov_b32 s4, 0xfe5163ab
	v_mov_b32_e32 v13, 0
	v_cndmask_b32_e32 v23, 0, v23, vcc
	v_add_u32_e32 v12, v23, v12
	v_not_b32_e32 v23, 31
	v_cmp_lt_u32_e64 s[0:1], 31, v12
	s_nop 1
	v_cndmask_b32_e64 v24, 0, v23, s[0:1]
	v_add_u32_e32 v12, v24, v12
	v_cmp_lt_u32_e64 s[2:3], 31, v12
	s_nop 1
	v_cndmask_b32_e64 v23, 0, v23, s[2:3]
	v_add_u32_e32 v23, v23, v12
	v_and_b32_e32 v12, 0x7fffff, v11
	v_or_b32_e32 v24, 0x800000, v12
	v_mad_u64_u32 v[26:27], s[4:5], v24, s4, 0
	v_mov_b32_e32 v12, v27
	s_mov_b32 s4, 0x3c439041
	v_mad_u64_u32 v[28:29], s[4:5], v24, s4, v[12:13]
	v_mov_b32_e32 v12, v29
	s_mov_b32 s4, 0xdb629599
	;; [unrolled: 3-line block ×6, first 2 shown]
	v_mad_u64_u32 v[12:13], s[4:5], v24, s4, v[12:13]
	v_cndmask_b32_e32 v27, v36, v32, vcc
	v_cndmask_b32_e32 v12, v12, v34, vcc
	;; [unrolled: 1-line block ×3, first 2 shown]
	v_cndmask_b32_e64 v24, v12, v27, s[0:1]
	v_cndmask_b32_e64 v12, v13, v12, s[0:1]
	v_cndmask_b32_e32 v13, v34, v30, vcc
	v_cndmask_b32_e64 v27, v27, v13, s[0:1]
	v_sub_u32_e32 v29, 32, v23
	v_cmp_eq_u32_e64 s[4:5], 0, v23
	v_cndmask_b32_e32 v23, v32, v28, vcc
	v_cndmask_b32_e64 v12, v12, v24, s[2:3]
	v_cndmask_b32_e64 v24, v24, v27, s[2:3]
	;; [unrolled: 1-line block ×3, first 2 shown]
	v_alignbit_b32 v31, v12, v24, v29
	v_cndmask_b32_e64 v27, v27, v13, s[2:3]
	v_cndmask_b32_e64 v12, v31, v12, s[4:5]
	v_alignbit_b32 v28, v24, v27, v29
	v_cndmask_b32_e64 v24, v28, v24, s[4:5]
	v_bfe_u32 v32, v12, 29, 1
	v_cndmask_b32_e32 v26, v30, v26, vcc
	v_alignbit_b32 v28, v12, v24, 30
	v_sub_u32_e32 v33, 0, v32
	v_cndmask_b32_e64 v23, v23, v26, s[0:1]
	v_xor_b32_e32 v34, v28, v33
	v_cndmask_b32_e64 v13, v13, v23, s[2:3]
	v_alignbit_b32 v23, v27, v13, v29
	v_ffbh_u32_e32 v26, v34
	v_cndmask_b32_e64 v23, v23, v27, s[4:5]
	v_add_u32_e32 v26, 1, v26
	v_cmp_ne_u32_e32 vcc, v28, v33
	v_alignbit_b32 v24, v24, v23, 30
	v_alignbit_b32 v13, v23, v13, 30
	v_cndmask_b32_e32 v26, 33, v26, vcc
	v_xor_b32_e32 v24, v24, v33
	v_sub_u32_e32 v27, 32, v26
	v_xor_b32_e32 v13, v13, v33
	v_alignbit_b32 v28, v34, v24, v27
	v_alignbit_b32 v13, v24, v13, v27
	;; [unrolled: 1-line block ×3, first 2 shown]
	v_ffbh_u32_e32 v24, v23
	v_min_u32_e32 v24, 32, v24
	v_lshrrev_b32_e32 v31, 29, v12
	v_sub_u32_e32 v27, 31, v24
	v_alignbit_b32 v13, v23, v13, v27
	v_lshlrev_b32_e32 v23, 31, v31
	v_or_b32_e32 v27, 0x33800000, v23
	v_add_lshl_u32 v24, v24, v26, 23
	v_lshrrev_b32_e32 v13, 9, v13
	v_sub_u32_e32 v24, v27, v24
	v_or_b32_e32 v13, v24, v13
	v_alignbit_b32 v24, v26, v28, 9
	v_or_b32_e32 v23, v24, v23
	v_xor_b32_e32 v23, 1.0, v23
	s_mov_b32 s0, 0x3fc90fda
	v_mul_f32_e32 v24, 0x3fc90fda, v23
	v_fma_f32 v26, v23, s0, -v24
	v_fmamk_f32 v23, v23, 0x33a22168, v26
	v_fmac_f32_e32 v23, 0x3fc90fda, v13
	v_lshrrev_b32_e32 v12, 30, v12
	v_add_f32_e32 v13, v24, v23
	v_add_u32_e32 v12, v32, v12
	s_andn2_saveexec_b64 s[0:1], s[12:13]
	s_branch .LBB14_254
.LBB14_253:
	s_andn2_saveexec_b64 s[0:1], s[12:13]
.LBB14_254:
	s_mov_b32 s2, 0x3f22f983
	v_mul_f32_e64 v12, |v10|, s2
	v_rndne_f32_e32 v13, v12
	s_mov_b32 s2, 0xbfc90fda
	v_cvt_i32_f32_e32 v12, v13
	v_fma_f32 v23, v13, s2, |v10|
	v_fmamk_f32 v23, v13, 0xb3a22168, v23
	v_fmamk_f32 v13, v13, 0xa7c234c4, v23
; %bb.255:
	s_or_b64 exec, exec, s[0:1]
                                        ; implicit-def: $vgpr23
                                        ; implicit-def: $vgpr24
	s_and_saveexec_b64 s[0:1], s[10:11]
	s_xor_b64 s[10:11], exec, s[0:1]
	s_cbranch_execz .LBB14_257
; %bb.256:
	v_add_u32_e32 v23, 0xffffff88, v25
	v_not_b32_e32 v24, 63
	v_cmp_lt_u32_e32 vcc, 63, v23
	s_mov_b32 s4, 0xfe5163ab
	v_mov_b32_e32 v25, 0
	v_cndmask_b32_e32 v24, 0, v24, vcc
	v_add_u32_e32 v23, v24, v23
	v_not_b32_e32 v24, 31
	v_cmp_lt_u32_e64 s[0:1], 31, v23
	s_nop 1
	v_cndmask_b32_e64 v26, 0, v24, s[0:1]
	v_add_u32_e32 v23, v26, v23
	v_cmp_lt_u32_e64 s[2:3], 31, v23
	s_nop 1
	v_cndmask_b32_e64 v24, 0, v24, s[2:3]
	v_add_u32_e32 v23, v24, v23
	v_and_b32_e32 v24, 0x7fffff, v11
	v_or_b32_e32 v38, 0x800000, v24
	v_mad_u64_u32 v[26:27], s[4:5], v38, s4, 0
	v_mov_b32_e32 v24, v27
	s_mov_b32 s4, 0x3c439041
	v_mad_u64_u32 v[28:29], s[4:5], v38, s4, v[24:25]
	v_mov_b32_e32 v24, v29
	s_mov_b32 s4, 0xdb629599
	;; [unrolled: 3-line block ×6, first 2 shown]
	v_mad_u64_u32 v[24:25], s[4:5], v38, s4, v[24:25]
	v_cndmask_b32_e32 v27, v36, v32, vcc
	v_cndmask_b32_e32 v24, v24, v34, vcc
	;; [unrolled: 1-line block ×3, first 2 shown]
	v_cndmask_b32_e64 v29, v24, v27, s[0:1]
	v_cndmask_b32_e64 v24, v25, v24, s[0:1]
	v_cndmask_b32_e32 v25, v34, v30, vcc
	v_cndmask_b32_e64 v27, v27, v25, s[0:1]
	v_cndmask_b32_e64 v24, v24, v29, s[2:3]
	v_cndmask_b32_e64 v29, v29, v27, s[2:3]
	v_sub_u32_e32 v31, 32, v23
	v_alignbit_b32 v33, v24, v29, v31
	v_cmp_eq_u32_e64 s[4:5], 0, v23
	v_cndmask_b32_e32 v26, v30, v26, vcc
	s_nop 0
	v_cndmask_b32_e64 v23, v33, v24, s[4:5]
	v_cndmask_b32_e32 v24, v32, v28, vcc
	v_cndmask_b32_e64 v25, v25, v24, s[0:1]
	v_cndmask_b32_e64 v27, v27, v25, s[2:3]
	v_alignbit_b32 v28, v29, v27, v31
	v_cndmask_b32_e64 v28, v28, v29, s[4:5]
	v_bfe_u32 v33, v23, 29, 1
	v_cndmask_b32_e64 v24, v24, v26, s[0:1]
	v_alignbit_b32 v29, v23, v28, 30
	v_sub_u32_e32 v34, 0, v33
	v_cndmask_b32_e64 v24, v25, v24, s[2:3]
	v_xor_b32_e32 v35, v29, v34
	v_alignbit_b32 v25, v27, v24, v31
	v_cndmask_b32_e64 v25, v25, v27, s[4:5]
	v_ffbh_u32_e32 v27, v35
	v_add_u32_e32 v27, 1, v27
	v_cmp_ne_u32_e32 vcc, v29, v34
	v_alignbit_b32 v26, v28, v25, 30
	v_alignbit_b32 v24, v25, v24, 30
	v_cndmask_b32_e32 v27, 33, v27, vcc
	v_xor_b32_e32 v26, v26, v34
	v_sub_u32_e32 v28, 32, v27
	v_xor_b32_e32 v24, v24, v34
	v_alignbit_b32 v29, v35, v26, v28
	v_alignbit_b32 v24, v26, v24, v28
	;; [unrolled: 1-line block ×3, first 2 shown]
	v_ffbh_u32_e32 v26, v25
	v_min_u32_e32 v26, 32, v26
	v_lshrrev_b32_e32 v32, 29, v23
	v_sub_u32_e32 v28, 31, v26
	v_alignbit_b32 v24, v25, v24, v28
	v_lshlrev_b32_e32 v25, 31, v32
	v_or_b32_e32 v28, 0x33800000, v25
	v_add_lshl_u32 v26, v26, v27, 23
	v_lshrrev_b32_e32 v24, 9, v24
	v_sub_u32_e32 v26, v28, v26
	v_or_b32_e32 v24, v26, v24
	v_alignbit_b32 v26, v27, v29, 9
	v_or_b32_e32 v25, v26, v25
	v_xor_b32_e32 v25, 1.0, v25
	s_mov_b32 s0, 0x3fc90fda
	v_mul_f32_e32 v26, 0x3fc90fda, v25
	v_fma_f32 v27, v25, s0, -v26
	v_fmamk_f32 v25, v25, 0x33a22168, v27
	v_fmac_f32_e32 v25, 0x3fc90fda, v24
	v_lshrrev_b32_e32 v23, 30, v23
	v_add_f32_e32 v24, v26, v25
	v_add_u32_e32 v23, v33, v23
	s_andn2_saveexec_b64 s[0:1], s[10:11]
	s_cbranch_execnz .LBB14_258
	s_branch .LBB14_259
.LBB14_257:
	s_andn2_saveexec_b64 s[0:1], s[10:11]
.LBB14_258:
	s_mov_b32 s2, 0x3f22f983
	v_mul_f32_e64 v23, |v10|, s2
	v_rndne_f32_e32 v24, v23
	s_mov_b32 s2, 0xbfc90fda
	v_cvt_i32_f32_e32 v23, v24
	v_fma_f32 v25, v24, s2, |v10|
	v_fmamk_f32 v25, v24, 0xb3a22168, v25
	v_fmamk_f32 v24, v24, 0xa7c234c4, v25
.LBB14_259:
	s_or_b64 exec, exec, s[0:1]
	v_mul_f32_e32 v25, v2, v2
	s_mov_b32 s2, 0x41c80000
	v_div_scale_f32 v26, s[0:1], v25, v25, s2
	v_rcp_f32_e32 v27, v26
	v_xor_b32_e32 v11, v11, v10
	s_mov_b32 s4, 0x40a00000
	v_mov_b32_e32 v34, 0xbf000004
	v_fma_f32 v28, -v26, v27, 1.0
	v_fmac_f32_e32 v27, v28, v27
	v_div_scale_f32 v28, vcc, s2, v25, s2
	v_mul_f32_e32 v29, v28, v27
	v_fma_f32 v30, -v26, v29, v28
	v_fmac_f32_e32 v29, v30, v27
	v_fma_f32 v26, -v26, v29, v28
	v_div_fmas_f32 v26, v26, v27, v29
	v_div_fixup_f32 v25, v26, v25, s2
	v_mov_b32_e32 v26, 0x3a50e985
	v_mov_b32_e32 v27, 0x3a725406
	v_fmac_f32_e32 v26, 0, v25
	v_fmac_f32_e32 v27, 0, v25
	v_fmaak_f32 v26, v25, v26, 0x3da9a586
	v_fmaak_f32 v27, v25, v27, 0x3daf5e2d
	;; [unrolled: 1-line block ×8, first 2 shown]
	v_mov_b32_e32 v28, 0xbc3a3a12
	v_fmaak_f32 v26, v25, v26, 0x40a9b425
	v_fmaak_f32 v27, v25, v27, 0x40a9cb2f
	v_fmac_f32_e32 v28, 0, v25
	v_mov_b32_e32 v29, 0x4280a2ba
	v_fma_f32 v27, v25, v27, 1.0
	v_fmaak_f32 v28, v25, v28, 0xbfa429da
	v_fmac_f32_e32 v29, 0, v25
	v_fma_f32 v26, v25, v26, 1.0
	v_fmaak_f32 v28, v25, v28, 0xc19c6e80
	v_fmaak_f32 v29, v25, v29, 0x44561b86
	v_div_scale_f32 v30, s[0:1], v27, v27, v26
	v_fmaak_f32 v28, v25, v28, 0xc2ba697b
	v_fmaak_f32 v29, v25, v29, 0x4572a66e
	v_rcp_f32_e32 v31, v30
	v_fmaak_f32 v28, v25, v28, 0xc331ae61
	v_fmaak_f32 v29, v25, v29, 0x45e243be
	;; [unrolled: 1-line block ×8, first 2 shown]
	v_fma_f32 v29, -v30, v31, 1.0
	v_fmac_f32_e32 v31, v29, v31
	v_div_scale_f32 v29, vcc, v26, v27, v26
	v_mul_f32_e32 v32, v29, v31
	v_fma_f32 v33, -v30, v32, v29
	v_fmac_f32_e32 v32, v33, v31
	v_fma_f32 v29, -v30, v32, v29
	v_div_fmas_f32 v29, v29, v31, v32
	v_div_fixup_f32 v26, v29, v27, v26
	v_mul_f32_e32 v27, v13, v13
	v_mov_b32_e32 v29, 0x3c0881c4
	v_fmamk_f32 v30, v27, 0xb94c1982, v29
	v_fmaak_f32 v30, v27, v30, 0xbe2aaa9d
	v_mul_f32_e32 v30, v27, v30
	v_fmac_f32_e32 v13, v13, v30
	v_mov_b32_e32 v30, 0xbab64f3b
	v_fmamk_f32 v32, v27, 0x37d75334, v30
	v_fmaak_f32 v32, v27, v32, 0x3d2aabf7
	v_fmaak_f32 v32, v27, v32, 0xbf000004
	v_fma_f32 v27, v27, v32, 1.0
	v_and_b32_e32 v32, 1, v12
	v_lshlrev_b32_e32 v12, 30, v12
	v_cmp_eq_u32_e32 vcc, 0, v32
	v_and_b32_e32 v12, 0x80000000, v12
	v_xor_b32_e32 v11, v11, v12
	v_cndmask_b32_e32 v13, v27, v13, vcc
	v_div_scale_f32 v12, s[0:1], v2, v2, s4
	v_xor_b32_e32 v11, v11, v13
	v_rcp_f32_e32 v13, v12
	s_movk_i32 s2, 0x1f8
	v_mov_b32_e32 v27, 0x7fc00000
	v_cmp_class_f32_e64 s[0:1], v10, s2
	v_mov_b32_e32 v31, 0xbe2aaa9d
	v_mov_b32_e32 v33, 0x3d2aabf7
	v_cndmask_b32_e64 v10, v27, v11, s[0:1]
	v_fma_f32 v11, -v12, v13, 1.0
	v_fmac_f32_e32 v13, v11, v13
	v_div_scale_f32 v11, vcc, s4, v2, s4
	v_mul_f32_e32 v32, v11, v13
	v_fma_f32 v35, -v12, v32, v11
	v_fmac_f32_e32 v32, v35, v13
	v_fma_f32 v11, -v12, v32, v11
	v_div_scale_f32 v12, s[2:3], v25, v25, v28
	v_rcp_f32_e32 v35, v12
	v_div_fmas_f32 v11, v11, v13, v32
	v_div_fixup_f32 v11, v11, v2, s4
	v_fma_f32 v13, -v12, v35, 1.0
	v_fmac_f32_e32 v35, v13, v35
	v_div_scale_f32 v13, vcc, v28, v25, v28
	v_mul_f32_e32 v32, v13, v35
	v_fma_f32 v36, -v12, v32, v13
	v_fmac_f32_e32 v32, v36, v35
	v_fma_f32 v12, -v12, v32, v13
	v_div_fmas_f32 v12, v12, v35, v32
	v_div_fixup_f32 v12, v12, v25, v28
	v_mul_f32_e32 v11, v11, v12
	v_mul_f32_e32 v12, v24, v24
	v_fmac_f32_e32 v29, 0xb94c1982, v12
	v_fmac_f32_e32 v31, v12, v29
	v_fmac_f32_e32 v30, 0x37d75334, v12
	v_mul_f32_e32 v13, v12, v31
	v_fmac_f32_e32 v33, v12, v30
	v_fmac_f32_e32 v24, v24, v13
	v_fmac_f32_e32 v34, v12, v33
	v_and_b32_e32 v13, 1, v23
	v_fma_f32 v12, v12, v34, 1.0
	v_cmp_eq_u32_e32 vcc, 0, v13
	v_lshlrev_b32_e32 v13, 30, v23
	v_and_b32_e32 v13, 0x80000000, v13
	v_cndmask_b32_e64 v12, -v24, v12, vcc
	v_xor_b32_e32 v12, v13, v12
	v_cndmask_b32_e64 v12, v27, v12, s[0:1]
	s_mov_b32 s0, 0xf800000
	v_mul_f32_e32 v13, 0x4f800000, v2
	v_cmp_gt_f32_e32 vcc, s0, v2
	v_mul_f32_e32 v11, v11, v12
	v_fmac_f32_e32 v11, v26, v10
	v_cndmask_b32_e32 v2, v2, v13, vcc
	v_sqrt_f32_e32 v13, v2
	v_mul_f32_e32 v10, 0x3f4c422a, v11
	v_add_u32_e32 v11, -1, v13
	v_fma_f32 v12, -v11, v13, v2
	v_cmp_ge_f32_e64 s[0:1], 0, v12
	v_add_u32_e32 v12, 1, v13
	s_nop 0
	v_cndmask_b32_e64 v11, v13, v11, s[0:1]
	v_fma_f32 v13, -v12, v13, v2
	v_cmp_lt_f32_e64 s[0:1], 0, v13
	s_nop 1
	v_cndmask_b32_e64 v11, v11, v12, s[0:1]
	v_mul_f32_e32 v12, 0x37800000, v11
	v_cndmask_b32_e32 v11, v11, v12, vcc
	v_mov_b32_e32 v12, 0x260
	v_cmp_class_f32_e32 vcc, v2, v12
	s_nop 1
	v_cndmask_b32_e32 v2, v11, v2, vcc
	v_div_scale_f32 v11, s[0:1], v2, v2, v10
	v_rcp_f32_e32 v12, v11
	s_nop 0
	v_fma_f32 v13, -v11, v12, 1.0
	v_fmac_f32_e32 v12, v13, v12
	v_div_scale_f32 v13, vcc, v10, v2, v10
	v_mul_f32_e32 v23, v13, v12
	v_fma_f32 v24, -v11, v23, v13
	v_fmac_f32_e32 v23, v24, v12
	v_fma_f32 v11, -v11, v23, v13
	v_div_fmas_f32 v11, v11, v12, v23
	v_div_fixup_f32 v10, v11, v2, v10
.LBB14_260:
	s_or_b64 exec, exec, s[8:9]
	s_mov_b32 s0, 0x40a00000
	v_cmp_ge_f32_e32 vcc, s0, v3
	s_and_saveexec_b64 s[0:1], vcc
	s_xor_b64 s[2:3], exec, s[0:1]
	s_cbranch_execz .LBB14_270
; %bb.261:
	v_cmp_neq_f32_e32 vcc, 0, v3
	v_mov_b32_e32 v11, 0xff800000
	s_and_saveexec_b64 s[4:5], vcc
	s_cbranch_execz .LBB14_269
; %bb.262:
	v_cmp_ngt_f32_e32 vcc, 0, v3
	v_mov_b32_e32 v11, 0x7fc00000
	s_and_saveexec_b64 s[8:9], vcc
	s_cbranch_execz .LBB14_268
; %bb.263:
	v_mul_f32_e32 v2, v3, v3
	s_mov_b32 s0, 0x3727c5ac
	v_mul_f32_e32 v12, 0, v2
	v_cmp_ngt_f32_e32 vcc, s0, v3
                                        ; implicit-def: $vgpr13
	s_and_saveexec_b64 s[0:1], vcc
	s_xor_b64 s[0:1], exec, s[0:1]
	s_cbranch_execz .LBB14_265
; %bb.264:
	v_add_f32_e32 v11, 0x43f9c815, v12
	v_fmaak_f32 v11, v2, v11, 0x4829b65a
	v_fmaak_f32 v11, v2, v11, 0x4c38c9a1
	;; [unrolled: 1-line block ×3, first 2 shown]
	s_mov_b32 s10, 0xcf8ee29d
	v_mul_f32_e32 v13, v2, v11
	s_mov_b32 s11, 0x53f5f59c
	v_pk_add_f32 v[24:25], v[12:13], s[10:11]
	s_mov_b32 s10, 0x53e3ba8e
	s_mov_b32 s11, 0x578d3514
	v_pk_fma_f32 v[24:25], v[2:3], v[24:25], s[10:11] op_sel_hi:[0,1,1]
	s_mov_b32 s10, 0xd762b0a7
	s_mov_b32 s11, 0x5ae20a0c
	v_pk_fma_f32 v[24:25], v[2:3], v[24:25], s[10:11] op_sel_hi:[0,1,1]
	;; [unrolled: 3-line block ×3, first 2 shown]
	s_mov_b32 s10, 0xc0b90fdc
	s_mov_b32 s11, 0xc1f3c525
	v_pk_add_f32 v[26:27], v[2:3], s[10:11] op_sel_hi:[0,1]
	v_mul_f32_e32 v11, v26, v27
	v_mul_f32_e32 v11, v11, v24
	v_div_scale_f32 v13, s[10:11], v25, v25, v11
	v_rcp_f32_e32 v23, v13
	s_nop 0
	v_fma_f32 v24, -v13, v23, 1.0
	v_fmac_f32_e32 v23, v24, v23
	v_div_scale_f32 v24, vcc, v11, v25, v11
	v_mul_f32_e32 v26, v24, v23
	v_fma_f32 v27, -v13, v26, v24
	v_fmac_f32_e32 v26, v27, v23
	v_fma_f32 v13, -v13, v26, v24
	v_div_fmas_f32 v13, v13, v23, v26
	v_div_fixup_f32 v13, v13, v25, v11
.LBB14_265:
	s_andn2_saveexec_b64 s[0:1], s[0:1]
; %bb.266:
	v_mov_b32_e32 v11, 1.0
	v_fmamk_f32 v13, v2, 0xbe800000, v11
; %bb.267:
	s_or_b64 exec, exec, s[0:1]
	v_add_f32_e32 v11, 0x4673a1bf, v12
	v_fmaak_f32 v11, v2, v11, 0xcb5fc0fa
	v_add_f32_e32 v12, 0x44822913, v12
	v_fmaak_f32 v11, v2, v11, 0x4fa1fbc8
	v_fmaak_f32 v12, v2, v12, 0x4918dbb5
	;; [unrolled: 1-line block ×12, first 2 shown]
	v_div_scale_f32 v11, s[0:1], v12, v12, v2
	v_rcp_f32_e32 v23, v11
	s_mov_b32 s0, 0x800000
	v_cmp_gt_f32_e64 s[0:1], s0, v3
	s_mov_b32 s10, 0x3f317217
	v_fma_f32 v24, -v11, v23, 1.0
	v_fmac_f32_e32 v23, v24, v23
	v_div_scale_f32 v24, vcc, v2, v12, v2
	v_mul_f32_e32 v25, v24, v23
	v_fma_f32 v26, -v11, v25, v24
	v_fmac_f32_e32 v25, v26, v23
	v_fma_f32 v11, -v11, v25, v24
	v_mov_b32_e32 v24, 0x4f800000
	v_cndmask_b32_e64 v24, 1.0, v24, s[0:1]
	v_mul_f32_e32 v24, v3, v24
	v_log_f32_e32 v24, v24
	v_div_fmas_f32 v11, v11, v23, v25
	v_div_fixup_f32 v11, v11, v12, v2
	v_mul_f32_e32 v2, 0x3f317217, v24
	v_fma_f32 v12, v24, s10, -v2
	v_fmamk_f32 v12, v24, 0x3377d1cf, v12
	s_mov_b32 s10, 0x7f800000
	v_add_f32_e32 v2, v2, v12
	v_cmp_lt_f32_e64 vcc, |v24|, s10
	v_mov_b32_e32 v12, 0x41b17218
	v_cndmask_b32_e64 v12, 0, v12, s[0:1]
	v_cndmask_b32_e32 v2, v24, v2, vcc
	v_sub_f32_e32 v2, v2, v12
	v_mul_f32_e32 v2, 0x3f22f983, v2
	v_fmac_f32_e32 v11, v2, v13
.LBB14_268:
	s_or_b64 exec, exec, s[8:9]
.LBB14_269:
	s_or_b64 exec, exec, s[4:5]
.LBB14_270:
	s_andn2_saveexec_b64 s[8:9], s[2:3]
	s_cbranch_execz .LBB14_280
; %bb.271:
	v_add_f32_e32 v2, 0xbf490fdb, v3
	v_and_b32_e32 v11, 0x7fffffff, v2
	s_brev_b32 s0, 18
	v_cmp_nlt_f32_e64 s[10:11], |v2|, s0
	v_lshrrev_b32_e32 v25, 23, v11
                                        ; implicit-def: $vgpr12
                                        ; implicit-def: $vgpr13
	s_and_saveexec_b64 s[0:1], s[10:11]
	s_xor_b64 s[12:13], exec, s[0:1]
	s_cbranch_execz .LBB14_273
; %bb.272:
	v_add_u32_e32 v12, 0xffffff88, v25
	v_not_b32_e32 v23, 63
	v_cmp_lt_u32_e32 vcc, 63, v12
	s_mov_b32 s4, 0xfe5163ab
	v_mov_b32_e32 v13, 0
	v_cndmask_b32_e32 v23, 0, v23, vcc
	v_add_u32_e32 v12, v23, v12
	v_not_b32_e32 v23, 31
	v_cmp_lt_u32_e64 s[0:1], 31, v12
	s_nop 1
	v_cndmask_b32_e64 v24, 0, v23, s[0:1]
	v_add_u32_e32 v12, v24, v12
	v_cmp_lt_u32_e64 s[2:3], 31, v12
	s_nop 1
	v_cndmask_b32_e64 v23, 0, v23, s[2:3]
	v_add_u32_e32 v23, v23, v12
	v_and_b32_e32 v12, 0x7fffff, v11
	v_or_b32_e32 v24, 0x800000, v12
	v_mad_u64_u32 v[26:27], s[4:5], v24, s4, 0
	v_mov_b32_e32 v12, v27
	s_mov_b32 s4, 0x3c439041
	v_mad_u64_u32 v[28:29], s[4:5], v24, s4, v[12:13]
	v_mov_b32_e32 v12, v29
	s_mov_b32 s4, 0xdb629599
	;; [unrolled: 3-line block ×6, first 2 shown]
	v_mad_u64_u32 v[12:13], s[4:5], v24, s4, v[12:13]
	v_cndmask_b32_e32 v27, v36, v32, vcc
	v_cndmask_b32_e32 v12, v12, v34, vcc
	v_cndmask_b32_e32 v13, v13, v36, vcc
	v_cndmask_b32_e64 v24, v12, v27, s[0:1]
	v_cndmask_b32_e64 v12, v13, v12, s[0:1]
	v_cndmask_b32_e32 v13, v34, v30, vcc
	v_cndmask_b32_e64 v27, v27, v13, s[0:1]
	v_sub_u32_e32 v29, 32, v23
	v_cmp_eq_u32_e64 s[4:5], 0, v23
	v_cndmask_b32_e32 v23, v32, v28, vcc
	v_cndmask_b32_e64 v12, v12, v24, s[2:3]
	v_cndmask_b32_e64 v24, v24, v27, s[2:3]
	;; [unrolled: 1-line block ×3, first 2 shown]
	v_alignbit_b32 v31, v12, v24, v29
	v_cndmask_b32_e64 v27, v27, v13, s[2:3]
	v_cndmask_b32_e64 v12, v31, v12, s[4:5]
	v_alignbit_b32 v28, v24, v27, v29
	v_cndmask_b32_e64 v24, v28, v24, s[4:5]
	v_bfe_u32 v32, v12, 29, 1
	v_cndmask_b32_e32 v26, v30, v26, vcc
	v_alignbit_b32 v28, v12, v24, 30
	v_sub_u32_e32 v33, 0, v32
	v_cndmask_b32_e64 v23, v23, v26, s[0:1]
	v_xor_b32_e32 v34, v28, v33
	v_cndmask_b32_e64 v13, v13, v23, s[2:3]
	v_alignbit_b32 v23, v27, v13, v29
	v_ffbh_u32_e32 v26, v34
	v_cndmask_b32_e64 v23, v23, v27, s[4:5]
	v_add_u32_e32 v26, 1, v26
	v_cmp_ne_u32_e32 vcc, v28, v33
	v_alignbit_b32 v24, v24, v23, 30
	v_alignbit_b32 v13, v23, v13, 30
	v_cndmask_b32_e32 v26, 33, v26, vcc
	v_xor_b32_e32 v24, v24, v33
	v_sub_u32_e32 v27, 32, v26
	v_xor_b32_e32 v13, v13, v33
	v_alignbit_b32 v28, v34, v24, v27
	v_alignbit_b32 v13, v24, v13, v27
	;; [unrolled: 1-line block ×3, first 2 shown]
	v_ffbh_u32_e32 v24, v23
	v_min_u32_e32 v24, 32, v24
	v_lshrrev_b32_e32 v31, 29, v12
	v_sub_u32_e32 v27, 31, v24
	v_alignbit_b32 v13, v23, v13, v27
	v_lshlrev_b32_e32 v23, 31, v31
	v_or_b32_e32 v27, 0x33800000, v23
	v_add_lshl_u32 v24, v24, v26, 23
	v_lshrrev_b32_e32 v13, 9, v13
	v_sub_u32_e32 v24, v27, v24
	v_or_b32_e32 v13, v24, v13
	v_alignbit_b32 v24, v26, v28, 9
	v_or_b32_e32 v23, v24, v23
	v_xor_b32_e32 v23, 1.0, v23
	s_mov_b32 s0, 0x3fc90fda
	v_mul_f32_e32 v24, 0x3fc90fda, v23
	v_fma_f32 v26, v23, s0, -v24
	v_fmamk_f32 v23, v23, 0x33a22168, v26
	v_fmac_f32_e32 v23, 0x3fc90fda, v13
	v_lshrrev_b32_e32 v12, 30, v12
	v_add_f32_e32 v13, v24, v23
	v_add_u32_e32 v12, v32, v12
	s_andn2_saveexec_b64 s[0:1], s[12:13]
	s_branch .LBB14_274
.LBB14_273:
	s_andn2_saveexec_b64 s[0:1], s[12:13]
.LBB14_274:
	s_mov_b32 s2, 0x3f22f983
	v_mul_f32_e64 v12, |v2|, s2
	v_rndne_f32_e32 v13, v12
	s_mov_b32 s2, 0xbfc90fda
	v_cvt_i32_f32_e32 v12, v13
	v_fma_f32 v23, v13, s2, |v2|
	v_fmamk_f32 v23, v13, 0xb3a22168, v23
	v_fmamk_f32 v13, v13, 0xa7c234c4, v23
; %bb.275:
	s_or_b64 exec, exec, s[0:1]
                                        ; implicit-def: $vgpr23
                                        ; implicit-def: $vgpr24
	s_and_saveexec_b64 s[0:1], s[10:11]
	s_xor_b64 s[10:11], exec, s[0:1]
	s_cbranch_execz .LBB14_277
; %bb.276:
	v_add_u32_e32 v23, 0xffffff88, v25
	v_not_b32_e32 v24, 63
	v_cmp_lt_u32_e32 vcc, 63, v23
	s_mov_b32 s4, 0xfe5163ab
	v_mov_b32_e32 v25, 0
	v_cndmask_b32_e32 v24, 0, v24, vcc
	v_add_u32_e32 v23, v24, v23
	v_not_b32_e32 v24, 31
	v_cmp_lt_u32_e64 s[0:1], 31, v23
	s_nop 1
	v_cndmask_b32_e64 v26, 0, v24, s[0:1]
	v_add_u32_e32 v23, v26, v23
	v_cmp_lt_u32_e64 s[2:3], 31, v23
	s_nop 1
	v_cndmask_b32_e64 v24, 0, v24, s[2:3]
	v_add_u32_e32 v23, v24, v23
	v_and_b32_e32 v24, 0x7fffff, v11
	v_or_b32_e32 v38, 0x800000, v24
	v_mad_u64_u32 v[26:27], s[4:5], v38, s4, 0
	v_mov_b32_e32 v24, v27
	s_mov_b32 s4, 0x3c439041
	v_mad_u64_u32 v[28:29], s[4:5], v38, s4, v[24:25]
	v_mov_b32_e32 v24, v29
	s_mov_b32 s4, 0xdb629599
	;; [unrolled: 3-line block ×6, first 2 shown]
	v_mad_u64_u32 v[24:25], s[4:5], v38, s4, v[24:25]
	v_cndmask_b32_e32 v27, v36, v32, vcc
	v_cndmask_b32_e32 v24, v24, v34, vcc
	;; [unrolled: 1-line block ×3, first 2 shown]
	v_cndmask_b32_e64 v29, v24, v27, s[0:1]
	v_cndmask_b32_e64 v24, v25, v24, s[0:1]
	v_cndmask_b32_e32 v25, v34, v30, vcc
	v_cndmask_b32_e64 v27, v27, v25, s[0:1]
	v_cndmask_b32_e64 v24, v24, v29, s[2:3]
	;; [unrolled: 1-line block ×3, first 2 shown]
	v_sub_u32_e32 v31, 32, v23
	v_alignbit_b32 v33, v24, v29, v31
	v_cmp_eq_u32_e64 s[4:5], 0, v23
	v_cndmask_b32_e32 v26, v30, v26, vcc
	s_nop 0
	v_cndmask_b32_e64 v23, v33, v24, s[4:5]
	v_cndmask_b32_e32 v24, v32, v28, vcc
	v_cndmask_b32_e64 v25, v25, v24, s[0:1]
	v_cndmask_b32_e64 v27, v27, v25, s[2:3]
	v_alignbit_b32 v28, v29, v27, v31
	v_cndmask_b32_e64 v28, v28, v29, s[4:5]
	v_bfe_u32 v33, v23, 29, 1
	v_cndmask_b32_e64 v24, v24, v26, s[0:1]
	v_alignbit_b32 v29, v23, v28, 30
	v_sub_u32_e32 v34, 0, v33
	v_cndmask_b32_e64 v24, v25, v24, s[2:3]
	v_xor_b32_e32 v35, v29, v34
	v_alignbit_b32 v25, v27, v24, v31
	v_cndmask_b32_e64 v25, v25, v27, s[4:5]
	v_ffbh_u32_e32 v27, v35
	v_add_u32_e32 v27, 1, v27
	v_cmp_ne_u32_e32 vcc, v29, v34
	v_alignbit_b32 v26, v28, v25, 30
	v_alignbit_b32 v24, v25, v24, 30
	v_cndmask_b32_e32 v27, 33, v27, vcc
	v_xor_b32_e32 v26, v26, v34
	v_sub_u32_e32 v28, 32, v27
	v_xor_b32_e32 v24, v24, v34
	v_alignbit_b32 v29, v35, v26, v28
	v_alignbit_b32 v24, v26, v24, v28
	;; [unrolled: 1-line block ×3, first 2 shown]
	v_ffbh_u32_e32 v26, v25
	v_min_u32_e32 v26, 32, v26
	v_lshrrev_b32_e32 v32, 29, v23
	v_sub_u32_e32 v28, 31, v26
	v_alignbit_b32 v24, v25, v24, v28
	v_lshlrev_b32_e32 v25, 31, v32
	v_or_b32_e32 v28, 0x33800000, v25
	v_add_lshl_u32 v26, v26, v27, 23
	v_lshrrev_b32_e32 v24, 9, v24
	v_sub_u32_e32 v26, v28, v26
	v_or_b32_e32 v24, v26, v24
	v_alignbit_b32 v26, v27, v29, 9
	v_or_b32_e32 v25, v26, v25
	v_xor_b32_e32 v25, 1.0, v25
	s_mov_b32 s0, 0x3fc90fda
	v_mul_f32_e32 v26, 0x3fc90fda, v25
	v_fma_f32 v27, v25, s0, -v26
	v_fmamk_f32 v25, v25, 0x33a22168, v27
	v_fmac_f32_e32 v25, 0x3fc90fda, v24
	v_lshrrev_b32_e32 v23, 30, v23
	v_add_f32_e32 v24, v26, v25
	v_add_u32_e32 v23, v33, v23
	s_andn2_saveexec_b64 s[0:1], s[10:11]
	s_cbranch_execnz .LBB14_278
	s_branch .LBB14_279
.LBB14_277:
	s_andn2_saveexec_b64 s[0:1], s[10:11]
.LBB14_278:
	s_mov_b32 s2, 0x3f22f983
	v_mul_f32_e64 v23, |v2|, s2
	v_rndne_f32_e32 v24, v23
	s_mov_b32 s2, 0xbfc90fda
	v_cvt_i32_f32_e32 v23, v24
	v_fma_f32 v25, v24, s2, |v2|
	v_fmamk_f32 v25, v24, 0xb3a22168, v25
	v_fmamk_f32 v24, v24, 0xa7c234c4, v25
.LBB14_279:
	s_or_b64 exec, exec, s[0:1]
	v_mul_f32_e32 v25, v3, v3
	s_mov_b32 s2, 0x41c80000
	v_div_scale_f32 v26, s[0:1], v25, v25, s2
	v_rcp_f32_e32 v27, v26
	v_xor_b32_e32 v11, v11, v2
	s_mov_b32 s4, 0x40a00000
	v_mov_b32_e32 v34, 0xbf000004
	v_fma_f32 v28, -v26, v27, 1.0
	v_fmac_f32_e32 v27, v28, v27
	v_div_scale_f32 v28, vcc, s2, v25, s2
	v_mul_f32_e32 v29, v28, v27
	v_fma_f32 v30, -v26, v29, v28
	v_fmac_f32_e32 v29, v30, v27
	v_fma_f32 v26, -v26, v29, v28
	v_div_fmas_f32 v26, v26, v27, v29
	v_div_fixup_f32 v25, v26, v25, s2
	v_mov_b32_e32 v26, 0x3a50e985
	v_mov_b32_e32 v27, 0x3a725406
	v_fmac_f32_e32 v26, 0, v25
	v_fmac_f32_e32 v27, 0, v25
	v_fmaak_f32 v26, v25, v26, 0x3da9a586
	v_fmaak_f32 v27, v25, v27, 0x3daf5e2d
	;; [unrolled: 1-line block ×8, first 2 shown]
	v_mov_b32_e32 v28, 0xbc3a3a12
	v_fmaak_f32 v26, v25, v26, 0x40a9b425
	v_fmaak_f32 v27, v25, v27, 0x40a9cb2f
	v_fmac_f32_e32 v28, 0, v25
	v_mov_b32_e32 v29, 0x4280a2ba
	v_fma_f32 v27, v25, v27, 1.0
	v_fmaak_f32 v28, v25, v28, 0xbfa429da
	v_fmac_f32_e32 v29, 0, v25
	v_fma_f32 v26, v25, v26, 1.0
	v_fmaak_f32 v28, v25, v28, 0xc19c6e80
	v_fmaak_f32 v29, v25, v29, 0x44561b86
	v_div_scale_f32 v30, s[0:1], v27, v27, v26
	v_fmaak_f32 v28, v25, v28, 0xc2ba697b
	v_fmaak_f32 v29, v25, v29, 0x4572a66e
	v_rcp_f32_e32 v31, v30
	v_fmaak_f32 v28, v25, v28, 0xc331ae61
	v_fmaak_f32 v29, v25, v29, 0x45e243be
	;; [unrolled: 1-line block ×8, first 2 shown]
	v_fma_f32 v29, -v30, v31, 1.0
	v_fmac_f32_e32 v31, v29, v31
	v_div_scale_f32 v29, vcc, v26, v27, v26
	v_mul_f32_e32 v32, v29, v31
	v_fma_f32 v33, -v30, v32, v29
	v_fmac_f32_e32 v32, v33, v31
	v_fma_f32 v29, -v30, v32, v29
	v_div_fmas_f32 v29, v29, v31, v32
	v_div_fixup_f32 v26, v29, v27, v26
	v_mul_f32_e32 v27, v13, v13
	v_mov_b32_e32 v29, 0x3c0881c4
	v_fmamk_f32 v30, v27, 0xb94c1982, v29
	v_fmaak_f32 v30, v27, v30, 0xbe2aaa9d
	v_mul_f32_e32 v30, v27, v30
	v_fmac_f32_e32 v13, v13, v30
	v_mov_b32_e32 v30, 0xbab64f3b
	v_fmamk_f32 v32, v27, 0x37d75334, v30
	v_fmaak_f32 v32, v27, v32, 0x3d2aabf7
	v_fmaak_f32 v32, v27, v32, 0xbf000004
	v_fma_f32 v27, v27, v32, 1.0
	v_and_b32_e32 v32, 1, v12
	v_lshlrev_b32_e32 v12, 30, v12
	v_cmp_eq_u32_e32 vcc, 0, v32
	v_and_b32_e32 v12, 0x80000000, v12
	v_xor_b32_e32 v11, v11, v12
	v_cndmask_b32_e32 v13, v27, v13, vcc
	v_div_scale_f32 v12, s[0:1], v3, v3, s4
	v_xor_b32_e32 v11, v11, v13
	v_rcp_f32_e32 v13, v12
	s_movk_i32 s2, 0x1f8
	v_mov_b32_e32 v27, 0x7fc00000
	v_cmp_class_f32_e64 s[0:1], v2, s2
	v_mov_b32_e32 v31, 0xbe2aaa9d
	v_mov_b32_e32 v33, 0x3d2aabf7
	v_cndmask_b32_e64 v2, v27, v11, s[0:1]
	v_fma_f32 v11, -v12, v13, 1.0
	v_fmac_f32_e32 v13, v11, v13
	v_div_scale_f32 v11, vcc, s4, v3, s4
	v_mul_f32_e32 v32, v11, v13
	v_fma_f32 v35, -v12, v32, v11
	v_fmac_f32_e32 v32, v35, v13
	v_fma_f32 v11, -v12, v32, v11
	v_div_scale_f32 v12, s[2:3], v25, v25, v28
	v_rcp_f32_e32 v35, v12
	v_div_fmas_f32 v11, v11, v13, v32
	v_div_fixup_f32 v11, v11, v3, s4
	v_fma_f32 v13, -v12, v35, 1.0
	v_fmac_f32_e32 v35, v13, v35
	v_div_scale_f32 v13, vcc, v28, v25, v28
	v_mul_f32_e32 v32, v13, v35
	v_fma_f32 v36, -v12, v32, v13
	v_fmac_f32_e32 v32, v36, v35
	v_fma_f32 v12, -v12, v32, v13
	v_div_fmas_f32 v12, v12, v35, v32
	v_div_fixup_f32 v12, v12, v25, v28
	v_mul_f32_e32 v11, v11, v12
	v_mul_f32_e32 v12, v24, v24
	v_fmac_f32_e32 v29, 0xb94c1982, v12
	v_fmac_f32_e32 v31, v12, v29
	;; [unrolled: 1-line block ×3, first 2 shown]
	v_mul_f32_e32 v13, v12, v31
	v_fmac_f32_e32 v33, v12, v30
	v_fmac_f32_e32 v24, v24, v13
	;; [unrolled: 1-line block ×3, first 2 shown]
	v_and_b32_e32 v13, 1, v23
	v_fma_f32 v12, v12, v34, 1.0
	v_cmp_eq_u32_e32 vcc, 0, v13
	v_lshlrev_b32_e32 v13, 30, v23
	v_and_b32_e32 v13, 0x80000000, v13
	v_cndmask_b32_e64 v12, -v24, v12, vcc
	v_xor_b32_e32 v12, v13, v12
	v_cndmask_b32_e64 v12, v27, v12, s[0:1]
	s_mov_b32 s0, 0xf800000
	v_mul_f32_e32 v13, 0x4f800000, v3
	v_cmp_gt_f32_e32 vcc, s0, v3
	v_mul_f32_e32 v11, v11, v12
	v_fmac_f32_e32 v11, v26, v2
	v_cndmask_b32_e32 v3, v3, v13, vcc
	v_sqrt_f32_e32 v13, v3
	v_mul_f32_e32 v2, 0x3f4c422a, v11
	v_add_u32_e32 v11, -1, v13
	v_fma_f32 v12, -v11, v13, v3
	v_cmp_ge_f32_e64 s[0:1], 0, v12
	v_add_u32_e32 v12, 1, v13
	s_nop 0
	v_cndmask_b32_e64 v11, v13, v11, s[0:1]
	v_fma_f32 v13, -v12, v13, v3
	v_cmp_lt_f32_e64 s[0:1], 0, v13
	s_nop 1
	v_cndmask_b32_e64 v11, v11, v12, s[0:1]
	v_mul_f32_e32 v12, 0x37800000, v11
	v_cndmask_b32_e32 v11, v11, v12, vcc
	v_mov_b32_e32 v12, 0x260
	v_cmp_class_f32_e32 vcc, v3, v12
	s_nop 1
	v_cndmask_b32_e32 v3, v11, v3, vcc
	v_div_scale_f32 v11, s[0:1], v3, v3, v2
	v_rcp_f32_e32 v12, v11
	s_nop 0
	v_fma_f32 v13, -v11, v12, 1.0
	v_fmac_f32_e32 v12, v13, v12
	v_div_scale_f32 v13, vcc, v2, v3, v2
	v_mul_f32_e32 v23, v13, v12
	v_fma_f32 v24, -v11, v23, v13
	v_fmac_f32_e32 v23, v24, v12
	v_fma_f32 v11, -v11, v23, v13
	v_div_fmas_f32 v11, v11, v12, v23
	v_div_fixup_f32 v11, v11, v3, v2
.LBB14_280:
	s_or_b64 exec, exec, s[8:9]
	s_mov_b32 s0, 0x40a00000
	v_cmp_ge_f32_e32 vcc, s0, v4
	s_and_saveexec_b64 s[0:1], vcc
	s_xor_b64 s[2:3], exec, s[0:1]
	s_cbranch_execz .LBB14_290
; %bb.281:
	v_cmp_neq_f32_e32 vcc, 0, v4
	v_mov_b32_e32 v12, 0xff800000
	s_and_saveexec_b64 s[4:5], vcc
	s_cbranch_execz .LBB14_289
; %bb.282:
	v_cmp_ngt_f32_e32 vcc, 0, v4
	v_mov_b32_e32 v12, 0x7fc00000
	s_and_saveexec_b64 s[8:9], vcc
	s_cbranch_execz .LBB14_288
; %bb.283:
	v_mul_f32_e32 v2, v4, v4
	s_mov_b32 s0, 0x3727c5ac
	v_mul_f32_e32 v12, 0, v2
	v_cmp_ngt_f32_e32 vcc, s0, v4
                                        ; implicit-def: $vgpr3
	s_and_saveexec_b64 s[0:1], vcc
	s_xor_b64 s[0:1], exec, s[0:1]
	s_cbranch_execz .LBB14_285
; %bb.284:
	v_add_f32_e32 v3, 0x43f9c815, v12
	v_fmaak_f32 v3, v2, v3, 0x4829b65a
	v_fmaak_f32 v3, v2, v3, 0x4c38c9a1
	;; [unrolled: 1-line block ×3, first 2 shown]
	s_mov_b32 s10, 0xcf8ee29d
	v_mul_f32_e32 v13, v2, v3
	s_mov_b32 s11, 0x53f5f59c
	v_pk_add_f32 v[24:25], v[12:13], s[10:11]
	s_mov_b32 s10, 0x53e3ba8e
	s_mov_b32 s11, 0x578d3514
	v_pk_fma_f32 v[24:25], v[2:3], v[24:25], s[10:11] op_sel_hi:[0,1,1]
	s_mov_b32 s10, 0xd762b0a7
	s_mov_b32 s11, 0x5ae20a0c
	v_pk_fma_f32 v[24:25], v[2:3], v[24:25], s[10:11] op_sel_hi:[0,1,1]
	;; [unrolled: 3-line block ×3, first 2 shown]
	s_mov_b32 s10, 0xc0b90fdc
	s_mov_b32 s11, 0xc1f3c525
	v_pk_add_f32 v[26:27], v[2:3], s[10:11] op_sel_hi:[0,1]
	v_mul_f32_e32 v3, v26, v27
	v_mul_f32_e32 v3, v3, v24
	v_div_scale_f32 v13, s[10:11], v25, v25, v3
	v_rcp_f32_e32 v23, v13
	s_nop 0
	v_fma_f32 v24, -v13, v23, 1.0
	v_fmac_f32_e32 v23, v24, v23
	v_div_scale_f32 v24, vcc, v3, v25, v3
	v_mul_f32_e32 v26, v24, v23
	v_fma_f32 v27, -v13, v26, v24
	v_fmac_f32_e32 v26, v27, v23
	v_fma_f32 v13, -v13, v26, v24
	v_div_fmas_f32 v13, v13, v23, v26
	v_div_fixup_f32 v3, v13, v25, v3
.LBB14_285:
	s_andn2_saveexec_b64 s[0:1], s[0:1]
; %bb.286:
	v_mov_b32_e32 v3, 1.0
	v_fmamk_f32 v3, v2, 0xbe800000, v3
; %bb.287:
	s_or_b64 exec, exec, s[0:1]
	v_add_f32_e32 v13, 0x4673a1bf, v12
	v_fmaak_f32 v13, v2, v13, 0xcb5fc0fa
	v_add_f32_e32 v12, 0x44822913, v12
	v_fmaak_f32 v13, v2, v13, 0x4fa1fbc8
	v_fmaak_f32 v12, v2, v12, 0x4918dbb5
	;; [unrolled: 1-line block ×12, first 2 shown]
	v_div_scale_f32 v13, s[0:1], v12, v12, v2
	v_rcp_f32_e32 v23, v13
	s_mov_b32 s0, 0x800000
	v_cmp_gt_f32_e64 s[0:1], s0, v4
	s_mov_b32 s10, 0x3f317217
	v_fma_f32 v24, -v13, v23, 1.0
	v_fmac_f32_e32 v23, v24, v23
	v_div_scale_f32 v24, vcc, v2, v12, v2
	v_mul_f32_e32 v25, v24, v23
	v_fma_f32 v26, -v13, v25, v24
	v_fmac_f32_e32 v25, v26, v23
	v_fma_f32 v13, -v13, v25, v24
	v_mov_b32_e32 v24, 0x4f800000
	v_cndmask_b32_e64 v24, 1.0, v24, s[0:1]
	v_mul_f32_e32 v24, v4, v24
	v_log_f32_e32 v24, v24
	v_div_fmas_f32 v13, v13, v23, v25
	v_div_fixup_f32 v12, v13, v12, v2
	v_mul_f32_e32 v2, 0x3f317217, v24
	v_fma_f32 v13, v24, s10, -v2
	v_fmamk_f32 v13, v24, 0x3377d1cf, v13
	s_mov_b32 s10, 0x7f800000
	v_add_f32_e32 v2, v2, v13
	v_cmp_lt_f32_e64 vcc, |v24|, s10
	v_mov_b32_e32 v13, 0x41b17218
	v_cndmask_b32_e64 v13, 0, v13, s[0:1]
	v_cndmask_b32_e32 v2, v24, v2, vcc
	v_sub_f32_e32 v2, v2, v13
	v_mul_f32_e32 v2, 0x3f22f983, v2
	v_fmac_f32_e32 v12, v2, v3
.LBB14_288:
	s_or_b64 exec, exec, s[8:9]
.LBB14_289:
	s_or_b64 exec, exec, s[4:5]
.LBB14_290:
	s_andn2_saveexec_b64 s[8:9], s[2:3]
	s_cbranch_execz .LBB14_300
; %bb.291:
	v_add_f32_e32 v2, 0xbf490fdb, v4
	v_and_b32_e32 v3, 0x7fffffff, v2
	s_brev_b32 s0, 18
	v_cmp_nlt_f32_e64 s[10:11], |v2|, s0
	v_lshrrev_b32_e32 v25, 23, v3
                                        ; implicit-def: $vgpr12
                                        ; implicit-def: $vgpr13
	s_and_saveexec_b64 s[0:1], s[10:11]
	s_xor_b64 s[12:13], exec, s[0:1]
	s_cbranch_execz .LBB14_293
; %bb.292:
	v_add_u32_e32 v12, 0xffffff88, v25
	v_not_b32_e32 v23, 63
	v_cmp_lt_u32_e32 vcc, 63, v12
	s_mov_b32 s4, 0xfe5163ab
	v_mov_b32_e32 v13, 0
	v_cndmask_b32_e32 v23, 0, v23, vcc
	v_add_u32_e32 v12, v23, v12
	v_not_b32_e32 v23, 31
	v_cmp_lt_u32_e64 s[0:1], 31, v12
	s_nop 1
	v_cndmask_b32_e64 v24, 0, v23, s[0:1]
	v_add_u32_e32 v12, v24, v12
	v_cmp_lt_u32_e64 s[2:3], 31, v12
	s_nop 1
	v_cndmask_b32_e64 v23, 0, v23, s[2:3]
	v_add_u32_e32 v23, v23, v12
	v_and_b32_e32 v12, 0x7fffff, v3
	v_or_b32_e32 v24, 0x800000, v12
	v_mad_u64_u32 v[26:27], s[4:5], v24, s4, 0
	v_mov_b32_e32 v12, v27
	s_mov_b32 s4, 0x3c439041
	v_mad_u64_u32 v[28:29], s[4:5], v24, s4, v[12:13]
	v_mov_b32_e32 v12, v29
	s_mov_b32 s4, 0xdb629599
	;; [unrolled: 3-line block ×6, first 2 shown]
	v_mad_u64_u32 v[12:13], s[4:5], v24, s4, v[12:13]
	v_cndmask_b32_e32 v27, v36, v32, vcc
	v_cndmask_b32_e32 v12, v12, v34, vcc
	;; [unrolled: 1-line block ×3, first 2 shown]
	v_cndmask_b32_e64 v24, v12, v27, s[0:1]
	v_cndmask_b32_e64 v12, v13, v12, s[0:1]
	v_cndmask_b32_e32 v13, v34, v30, vcc
	v_cndmask_b32_e64 v27, v27, v13, s[0:1]
	v_sub_u32_e32 v29, 32, v23
	v_cmp_eq_u32_e64 s[4:5], 0, v23
	v_cndmask_b32_e32 v23, v32, v28, vcc
	v_cndmask_b32_e64 v12, v12, v24, s[2:3]
	v_cndmask_b32_e64 v24, v24, v27, s[2:3]
	v_cndmask_b32_e64 v13, v13, v23, s[0:1]
	v_alignbit_b32 v31, v12, v24, v29
	v_cndmask_b32_e64 v27, v27, v13, s[2:3]
	v_cndmask_b32_e64 v12, v31, v12, s[4:5]
	v_alignbit_b32 v28, v24, v27, v29
	v_cndmask_b32_e64 v24, v28, v24, s[4:5]
	v_bfe_u32 v32, v12, 29, 1
	v_cndmask_b32_e32 v26, v30, v26, vcc
	v_alignbit_b32 v28, v12, v24, 30
	v_sub_u32_e32 v33, 0, v32
	v_cndmask_b32_e64 v23, v23, v26, s[0:1]
	v_xor_b32_e32 v34, v28, v33
	v_cndmask_b32_e64 v13, v13, v23, s[2:3]
	v_alignbit_b32 v23, v27, v13, v29
	v_ffbh_u32_e32 v26, v34
	v_cndmask_b32_e64 v23, v23, v27, s[4:5]
	v_add_u32_e32 v26, 1, v26
	v_cmp_ne_u32_e32 vcc, v28, v33
	v_alignbit_b32 v24, v24, v23, 30
	v_alignbit_b32 v13, v23, v13, 30
	v_cndmask_b32_e32 v26, 33, v26, vcc
	v_xor_b32_e32 v24, v24, v33
	v_sub_u32_e32 v27, 32, v26
	v_xor_b32_e32 v13, v13, v33
	v_alignbit_b32 v28, v34, v24, v27
	v_alignbit_b32 v13, v24, v13, v27
	;; [unrolled: 1-line block ×3, first 2 shown]
	v_ffbh_u32_e32 v24, v23
	v_min_u32_e32 v24, 32, v24
	v_lshrrev_b32_e32 v31, 29, v12
	v_sub_u32_e32 v27, 31, v24
	v_alignbit_b32 v13, v23, v13, v27
	v_lshlrev_b32_e32 v23, 31, v31
	v_or_b32_e32 v27, 0x33800000, v23
	v_add_lshl_u32 v24, v24, v26, 23
	v_lshrrev_b32_e32 v13, 9, v13
	v_sub_u32_e32 v24, v27, v24
	v_or_b32_e32 v13, v24, v13
	v_alignbit_b32 v24, v26, v28, 9
	v_or_b32_e32 v23, v24, v23
	v_xor_b32_e32 v23, 1.0, v23
	s_mov_b32 s0, 0x3fc90fda
	v_mul_f32_e32 v24, 0x3fc90fda, v23
	v_fma_f32 v26, v23, s0, -v24
	v_fmamk_f32 v23, v23, 0x33a22168, v26
	v_fmac_f32_e32 v23, 0x3fc90fda, v13
	v_lshrrev_b32_e32 v12, 30, v12
	v_add_f32_e32 v13, v24, v23
	v_add_u32_e32 v12, v32, v12
	s_andn2_saveexec_b64 s[0:1], s[12:13]
	s_branch .LBB14_294
.LBB14_293:
	s_andn2_saveexec_b64 s[0:1], s[12:13]
.LBB14_294:
	s_mov_b32 s2, 0x3f22f983
	v_mul_f32_e64 v12, |v2|, s2
	v_rndne_f32_e32 v13, v12
	s_mov_b32 s2, 0xbfc90fda
	v_cvt_i32_f32_e32 v12, v13
	v_fma_f32 v23, v13, s2, |v2|
	v_fmamk_f32 v23, v13, 0xb3a22168, v23
	v_fmamk_f32 v13, v13, 0xa7c234c4, v23
; %bb.295:
	s_or_b64 exec, exec, s[0:1]
                                        ; implicit-def: $vgpr23
                                        ; implicit-def: $vgpr24
	s_and_saveexec_b64 s[0:1], s[10:11]
	s_xor_b64 s[10:11], exec, s[0:1]
	s_cbranch_execz .LBB14_297
; %bb.296:
	v_add_u32_e32 v23, 0xffffff88, v25
	v_not_b32_e32 v24, 63
	v_cmp_lt_u32_e32 vcc, 63, v23
	s_mov_b32 s4, 0xfe5163ab
	v_mov_b32_e32 v25, 0
	v_cndmask_b32_e32 v24, 0, v24, vcc
	v_add_u32_e32 v23, v24, v23
	v_not_b32_e32 v24, 31
	v_cmp_lt_u32_e64 s[0:1], 31, v23
	s_nop 1
	v_cndmask_b32_e64 v26, 0, v24, s[0:1]
	v_add_u32_e32 v23, v26, v23
	v_cmp_lt_u32_e64 s[2:3], 31, v23
	s_nop 1
	v_cndmask_b32_e64 v24, 0, v24, s[2:3]
	v_add_u32_e32 v23, v24, v23
	v_and_b32_e32 v24, 0x7fffff, v3
	v_or_b32_e32 v38, 0x800000, v24
	v_mad_u64_u32 v[26:27], s[4:5], v38, s4, 0
	v_mov_b32_e32 v24, v27
	s_mov_b32 s4, 0x3c439041
	v_mad_u64_u32 v[28:29], s[4:5], v38, s4, v[24:25]
	v_mov_b32_e32 v24, v29
	s_mov_b32 s4, 0xdb629599
	;; [unrolled: 3-line block ×6, first 2 shown]
	v_mad_u64_u32 v[24:25], s[4:5], v38, s4, v[24:25]
	v_cndmask_b32_e32 v27, v36, v32, vcc
	v_cndmask_b32_e32 v24, v24, v34, vcc
	;; [unrolled: 1-line block ×3, first 2 shown]
	v_cndmask_b32_e64 v29, v24, v27, s[0:1]
	v_cndmask_b32_e64 v24, v25, v24, s[0:1]
	v_cndmask_b32_e32 v25, v34, v30, vcc
	v_cndmask_b32_e64 v27, v27, v25, s[0:1]
	v_cndmask_b32_e64 v24, v24, v29, s[2:3]
	;; [unrolled: 1-line block ×3, first 2 shown]
	v_sub_u32_e32 v31, 32, v23
	v_alignbit_b32 v33, v24, v29, v31
	v_cmp_eq_u32_e64 s[4:5], 0, v23
	v_cndmask_b32_e32 v26, v30, v26, vcc
	s_nop 0
	v_cndmask_b32_e64 v23, v33, v24, s[4:5]
	v_cndmask_b32_e32 v24, v32, v28, vcc
	v_cndmask_b32_e64 v25, v25, v24, s[0:1]
	v_cndmask_b32_e64 v27, v27, v25, s[2:3]
	v_alignbit_b32 v28, v29, v27, v31
	v_cndmask_b32_e64 v28, v28, v29, s[4:5]
	v_bfe_u32 v33, v23, 29, 1
	v_cndmask_b32_e64 v24, v24, v26, s[0:1]
	v_alignbit_b32 v29, v23, v28, 30
	v_sub_u32_e32 v34, 0, v33
	v_cndmask_b32_e64 v24, v25, v24, s[2:3]
	v_xor_b32_e32 v35, v29, v34
	v_alignbit_b32 v25, v27, v24, v31
	v_cndmask_b32_e64 v25, v25, v27, s[4:5]
	v_ffbh_u32_e32 v27, v35
	v_add_u32_e32 v27, 1, v27
	v_cmp_ne_u32_e32 vcc, v29, v34
	v_alignbit_b32 v26, v28, v25, 30
	v_alignbit_b32 v24, v25, v24, 30
	v_cndmask_b32_e32 v27, 33, v27, vcc
	v_xor_b32_e32 v26, v26, v34
	v_sub_u32_e32 v28, 32, v27
	v_xor_b32_e32 v24, v24, v34
	v_alignbit_b32 v29, v35, v26, v28
	v_alignbit_b32 v24, v26, v24, v28
	;; [unrolled: 1-line block ×3, first 2 shown]
	v_ffbh_u32_e32 v26, v25
	v_min_u32_e32 v26, 32, v26
	v_lshrrev_b32_e32 v32, 29, v23
	v_sub_u32_e32 v28, 31, v26
	v_alignbit_b32 v24, v25, v24, v28
	v_lshlrev_b32_e32 v25, 31, v32
	v_or_b32_e32 v28, 0x33800000, v25
	v_add_lshl_u32 v26, v26, v27, 23
	v_lshrrev_b32_e32 v24, 9, v24
	v_sub_u32_e32 v26, v28, v26
	v_or_b32_e32 v24, v26, v24
	v_alignbit_b32 v26, v27, v29, 9
	v_or_b32_e32 v25, v26, v25
	v_xor_b32_e32 v25, 1.0, v25
	s_mov_b32 s0, 0x3fc90fda
	v_mul_f32_e32 v26, 0x3fc90fda, v25
	v_fma_f32 v27, v25, s0, -v26
	v_fmamk_f32 v25, v25, 0x33a22168, v27
	v_fmac_f32_e32 v25, 0x3fc90fda, v24
	v_lshrrev_b32_e32 v23, 30, v23
	v_add_f32_e32 v24, v26, v25
	v_add_u32_e32 v23, v33, v23
	s_andn2_saveexec_b64 s[0:1], s[10:11]
	s_cbranch_execnz .LBB14_298
	s_branch .LBB14_299
.LBB14_297:
	s_andn2_saveexec_b64 s[0:1], s[10:11]
.LBB14_298:
	s_mov_b32 s2, 0x3f22f983
	v_mul_f32_e64 v23, |v2|, s2
	v_rndne_f32_e32 v24, v23
	s_mov_b32 s2, 0xbfc90fda
	v_cvt_i32_f32_e32 v23, v24
	v_fma_f32 v25, v24, s2, |v2|
	v_fmamk_f32 v25, v24, 0xb3a22168, v25
	v_fmamk_f32 v24, v24, 0xa7c234c4, v25
.LBB14_299:
	s_or_b64 exec, exec, s[0:1]
	v_mul_f32_e32 v25, v4, v4
	s_mov_b32 s2, 0x41c80000
	v_div_scale_f32 v26, s[0:1], v25, v25, s2
	v_rcp_f32_e32 v27, v26
	v_xor_b32_e32 v3, v3, v2
	s_mov_b32 s4, 0x40a00000
	v_mov_b32_e32 v34, 0xbf000004
	v_fma_f32 v28, -v26, v27, 1.0
	v_fmac_f32_e32 v27, v28, v27
	v_div_scale_f32 v28, vcc, s2, v25, s2
	v_mul_f32_e32 v29, v28, v27
	v_fma_f32 v30, -v26, v29, v28
	v_fmac_f32_e32 v29, v30, v27
	v_fma_f32 v26, -v26, v29, v28
	v_div_fmas_f32 v26, v26, v27, v29
	v_div_fixup_f32 v25, v26, v25, s2
	v_mov_b32_e32 v26, 0x3a50e985
	v_mov_b32_e32 v27, 0x3a725406
	v_fmac_f32_e32 v26, 0, v25
	v_fmac_f32_e32 v27, 0, v25
	v_fmaak_f32 v26, v25, v26, 0x3da9a586
	v_fmaak_f32 v27, v25, v27, 0x3daf5e2d
	;; [unrolled: 1-line block ×8, first 2 shown]
	v_mov_b32_e32 v28, 0xbc3a3a12
	v_fmaak_f32 v26, v25, v26, 0x40a9b425
	v_fmaak_f32 v27, v25, v27, 0x40a9cb2f
	v_fmac_f32_e32 v28, 0, v25
	v_mov_b32_e32 v29, 0x4280a2ba
	v_fma_f32 v27, v25, v27, 1.0
	v_fmaak_f32 v28, v25, v28, 0xbfa429da
	v_fmac_f32_e32 v29, 0, v25
	v_fma_f32 v26, v25, v26, 1.0
	v_fmaak_f32 v28, v25, v28, 0xc19c6e80
	v_fmaak_f32 v29, v25, v29, 0x44561b86
	v_div_scale_f32 v30, s[0:1], v27, v27, v26
	v_fmaak_f32 v28, v25, v28, 0xc2ba697b
	v_fmaak_f32 v29, v25, v29, 0x4572a66e
	v_rcp_f32_e32 v31, v30
	v_fmaak_f32 v28, v25, v28, 0xc331ae61
	v_fmaak_f32 v29, v25, v29, 0x45e243be
	;; [unrolled: 1-line block ×8, first 2 shown]
	v_fma_f32 v29, -v30, v31, 1.0
	v_fmac_f32_e32 v31, v29, v31
	v_div_scale_f32 v29, vcc, v26, v27, v26
	v_mul_f32_e32 v32, v29, v31
	v_fma_f32 v33, -v30, v32, v29
	v_fmac_f32_e32 v32, v33, v31
	v_fma_f32 v29, -v30, v32, v29
	v_div_fmas_f32 v29, v29, v31, v32
	v_div_fixup_f32 v26, v29, v27, v26
	v_mul_f32_e32 v27, v13, v13
	v_mov_b32_e32 v29, 0x3c0881c4
	v_fmamk_f32 v30, v27, 0xb94c1982, v29
	v_fmaak_f32 v30, v27, v30, 0xbe2aaa9d
	v_mul_f32_e32 v30, v27, v30
	v_fmac_f32_e32 v13, v13, v30
	v_mov_b32_e32 v30, 0xbab64f3b
	v_fmamk_f32 v32, v27, 0x37d75334, v30
	v_fmaak_f32 v32, v27, v32, 0x3d2aabf7
	v_fmaak_f32 v32, v27, v32, 0xbf000004
	v_fma_f32 v27, v27, v32, 1.0
	v_and_b32_e32 v32, 1, v12
	v_lshlrev_b32_e32 v12, 30, v12
	v_cmp_eq_u32_e32 vcc, 0, v32
	v_and_b32_e32 v12, 0x80000000, v12
	v_xor_b32_e32 v3, v3, v12
	v_cndmask_b32_e32 v13, v27, v13, vcc
	v_div_scale_f32 v12, s[0:1], v4, v4, s4
	v_xor_b32_e32 v3, v3, v13
	v_rcp_f32_e32 v13, v12
	s_movk_i32 s2, 0x1f8
	v_mov_b32_e32 v27, 0x7fc00000
	v_cmp_class_f32_e64 s[0:1], v2, s2
	v_mov_b32_e32 v31, 0xbe2aaa9d
	v_mov_b32_e32 v33, 0x3d2aabf7
	v_cndmask_b32_e64 v2, v27, v3, s[0:1]
	v_fma_f32 v3, -v12, v13, 1.0
	v_fmac_f32_e32 v13, v3, v13
	v_div_scale_f32 v3, vcc, s4, v4, s4
	v_mul_f32_e32 v32, v3, v13
	v_fma_f32 v35, -v12, v32, v3
	v_fmac_f32_e32 v32, v35, v13
	v_fma_f32 v3, -v12, v32, v3
	v_div_scale_f32 v12, s[2:3], v25, v25, v28
	v_rcp_f32_e32 v35, v12
	v_div_fmas_f32 v3, v3, v13, v32
	v_div_fixup_f32 v3, v3, v4, s4
	v_fma_f32 v13, -v12, v35, 1.0
	v_fmac_f32_e32 v35, v13, v35
	v_div_scale_f32 v13, vcc, v28, v25, v28
	v_mul_f32_e32 v32, v13, v35
	v_fma_f32 v36, -v12, v32, v13
	v_fmac_f32_e32 v32, v36, v35
	v_fma_f32 v12, -v12, v32, v13
	v_div_fmas_f32 v12, v12, v35, v32
	v_div_fixup_f32 v12, v12, v25, v28
	v_mul_f32_e32 v3, v3, v12
	v_mul_f32_e32 v12, v24, v24
	v_fmac_f32_e32 v29, 0xb94c1982, v12
	v_fmac_f32_e32 v31, v12, v29
	v_fmac_f32_e32 v30, 0x37d75334, v12
	v_mul_f32_e32 v13, v12, v31
	v_fmac_f32_e32 v33, v12, v30
	v_fmac_f32_e32 v24, v24, v13
	;; [unrolled: 1-line block ×3, first 2 shown]
	v_and_b32_e32 v13, 1, v23
	v_fma_f32 v12, v12, v34, 1.0
	v_cmp_eq_u32_e32 vcc, 0, v13
	v_lshlrev_b32_e32 v13, 30, v23
	v_and_b32_e32 v13, 0x80000000, v13
	v_cndmask_b32_e64 v12, -v24, v12, vcc
	v_xor_b32_e32 v12, v13, v12
	v_cndmask_b32_e64 v12, v27, v12, s[0:1]
	s_mov_b32 s0, 0xf800000
	v_mul_f32_e32 v13, 0x4f800000, v4
	v_cmp_gt_f32_e32 vcc, s0, v4
	v_mul_f32_e32 v3, v3, v12
	v_fmac_f32_e32 v3, v26, v2
	v_cndmask_b32_e32 v4, v4, v13, vcc
	v_sqrt_f32_e32 v13, v4
	v_mul_f32_e32 v2, 0x3f4c422a, v3
	v_add_u32_e32 v3, -1, v13
	v_fma_f32 v12, -v3, v13, v4
	v_cmp_ge_f32_e64 s[0:1], 0, v12
	v_add_u32_e32 v12, 1, v13
	s_nop 0
	v_cndmask_b32_e64 v3, v13, v3, s[0:1]
	v_fma_f32 v13, -v12, v13, v4
	v_cmp_lt_f32_e64 s[0:1], 0, v13
	s_nop 1
	v_cndmask_b32_e64 v3, v3, v12, s[0:1]
	v_mul_f32_e32 v12, 0x37800000, v3
	v_cndmask_b32_e32 v3, v3, v12, vcc
	v_mov_b32_e32 v12, 0x260
	v_cmp_class_f32_e32 vcc, v4, v12
	s_nop 1
	v_cndmask_b32_e32 v3, v3, v4, vcc
	v_div_scale_f32 v4, s[0:1], v3, v3, v2
	v_rcp_f32_e32 v12, v4
	s_nop 0
	v_fma_f32 v13, -v4, v12, 1.0
	v_fmac_f32_e32 v12, v13, v12
	v_div_scale_f32 v13, vcc, v2, v3, v2
	v_mul_f32_e32 v23, v13, v12
	v_fma_f32 v24, -v4, v23, v13
	v_fmac_f32_e32 v23, v24, v12
	v_fma_f32 v4, -v4, v23, v13
	v_div_fmas_f32 v4, v4, v12, v23
	v_div_fixup_f32 v12, v4, v3, v2
.LBB14_300:
	s_or_b64 exec, exec, s[8:9]
	s_mov_b32 s0, 0x40a00000
	v_cmp_ge_f32_e32 vcc, s0, v5
	s_and_saveexec_b64 s[0:1], vcc
	s_xor_b64 s[2:3], exec, s[0:1]
	s_cbranch_execz .LBB14_310
; %bb.301:
	v_cmp_neq_f32_e32 vcc, 0, v5
	v_mov_b32_e32 v13, 0xff800000
	s_and_saveexec_b64 s[4:5], vcc
	s_cbranch_execz .LBB14_309
; %bb.302:
	v_cmp_ngt_f32_e32 vcc, 0, v5
	v_mov_b32_e32 v13, 0x7fc00000
	s_and_saveexec_b64 s[8:9], vcc
	s_cbranch_execz .LBB14_308
; %bb.303:
	v_mul_f32_e32 v2, v5, v5
	s_mov_b32 s0, 0x3727c5ac
	v_mul_f32_e32 v24, 0, v2
	v_cmp_ngt_f32_e32 vcc, s0, v5
                                        ; implicit-def: $vgpr3
	s_and_saveexec_b64 s[0:1], vcc
	s_xor_b64 s[0:1], exec, s[0:1]
	s_cbranch_execz .LBB14_305
; %bb.304:
	v_add_f32_e32 v3, 0x43f9c815, v24
	v_fmaak_f32 v3, v2, v3, 0x4829b65a
	v_fmaak_f32 v3, v2, v3, 0x4c38c9a1
	;; [unrolled: 1-line block ×3, first 2 shown]
	s_mov_b32 s10, 0xcf8ee29d
	v_mul_f32_e32 v25, v2, v3
	s_mov_b32 s11, 0x53f5f59c
	v_pk_add_f32 v[26:27], v[24:25], s[10:11]
	s_mov_b32 s10, 0x53e3ba8e
	s_mov_b32 s11, 0x578d3514
	v_pk_fma_f32 v[26:27], v[2:3], v[26:27], s[10:11] op_sel_hi:[0,1,1]
	s_mov_b32 s10, 0xd762b0a7
	s_mov_b32 s11, 0x5ae20a0c
	v_pk_fma_f32 v[26:27], v[2:3], v[26:27], s[10:11] op_sel_hi:[0,1,1]
	;; [unrolled: 3-line block ×3, first 2 shown]
	s_mov_b32 s10, 0xc0b90fdc
	s_mov_b32 s11, 0xc1f3c525
	v_pk_add_f32 v[28:29], v[2:3], s[10:11] op_sel_hi:[0,1]
	v_mul_f32_e32 v3, v28, v29
	v_mul_f32_e32 v3, v3, v26
	v_div_scale_f32 v4, s[10:11], v27, v27, v3
	v_rcp_f32_e32 v13, v4
	s_nop 0
	v_fma_f32 v23, -v4, v13, 1.0
	v_fmac_f32_e32 v13, v23, v13
	v_div_scale_f32 v23, vcc, v3, v27, v3
	v_mul_f32_e32 v25, v23, v13
	v_fma_f32 v26, -v4, v25, v23
	v_fmac_f32_e32 v25, v26, v13
	v_fma_f32 v4, -v4, v25, v23
	v_div_fmas_f32 v4, v4, v13, v25
	v_div_fixup_f32 v3, v4, v27, v3
.LBB14_305:
	s_andn2_saveexec_b64 s[0:1], s[0:1]
; %bb.306:
	v_mov_b32_e32 v3, 1.0
	v_fmamk_f32 v3, v2, 0xbe800000, v3
; %bb.307:
	s_or_b64 exec, exec, s[0:1]
	v_add_f32_e32 v4, 0x4673a1bf, v24
	v_fmaak_f32 v4, v2, v4, 0xcb5fc0fa
	v_add_f32_e32 v13, 0x44822913, v24
	v_fmaak_f32 v4, v2, v4, 0x4fa1fbc8
	v_fmaak_f32 v13, v2, v13, 0x4918dbb5
	;; [unrolled: 1-line block ×12, first 2 shown]
	v_div_scale_f32 v4, s[0:1], v13, v13, v2
	v_rcp_f32_e32 v23, v4
	s_mov_b32 s0, 0x800000
	v_cmp_gt_f32_e64 s[0:1], s0, v5
	s_mov_b32 s10, 0x3f317217
	v_fma_f32 v24, -v4, v23, 1.0
	v_fmac_f32_e32 v23, v24, v23
	v_div_scale_f32 v24, vcc, v2, v13, v2
	v_mul_f32_e32 v25, v24, v23
	v_fma_f32 v26, -v4, v25, v24
	v_fmac_f32_e32 v25, v26, v23
	v_fma_f32 v4, -v4, v25, v24
	v_mov_b32_e32 v24, 0x4f800000
	v_cndmask_b32_e64 v24, 1.0, v24, s[0:1]
	v_mul_f32_e32 v5, v5, v24
	v_log_f32_e32 v5, v5
	v_div_fmas_f32 v4, v4, v23, v25
	v_div_fixup_f32 v13, v4, v13, v2
	v_mul_f32_e32 v2, 0x3f317217, v5
	v_fma_f32 v4, v5, s10, -v2
	v_fmamk_f32 v4, v5, 0x3377d1cf, v4
	s_mov_b32 s10, 0x7f800000
	v_add_f32_e32 v2, v2, v4
	v_cmp_lt_f32_e64 vcc, |v5|, s10
	v_mov_b32_e32 v4, 0x41b17218
	v_cndmask_b32_e64 v4, 0, v4, s[0:1]
	v_cndmask_b32_e32 v2, v5, v2, vcc
	v_sub_f32_e32 v2, v2, v4
	v_mul_f32_e32 v2, 0x3f22f983, v2
	v_fmac_f32_e32 v13, v2, v3
.LBB14_308:
	s_or_b64 exec, exec, s[8:9]
.LBB14_309:
	s_or_b64 exec, exec, s[4:5]
                                        ; implicit-def: $vgpr2_vgpr3_vgpr4_vgpr5
.LBB14_310:
	s_andn2_saveexec_b64 s[8:9], s[2:3]
	s_cbranch_execz .LBB14_320
; %bb.311:
	v_add_f32_e32 v2, 0xbf490fdb, v5
	v_and_b32_e32 v3, 0x7fffffff, v2
	s_brev_b32 s0, 18
	v_cmp_nlt_f32_e64 s[10:11], |v2|, s0
	v_lshrrev_b32_e32 v25, 23, v3
                                        ; implicit-def: $vgpr4
                                        ; implicit-def: $vgpr13
	s_and_saveexec_b64 s[0:1], s[10:11]
	s_xor_b64 s[12:13], exec, s[0:1]
	s_cbranch_execz .LBB14_313
; %bb.312:
	v_add_u32_e32 v4, 0xffffff88, v25
	v_not_b32_e32 v13, 63
	v_cmp_lt_u32_e32 vcc, 63, v4
	s_mov_b32 s4, 0xfe5163ab
	v_mov_b32_e32 v27, 0
	v_cndmask_b32_e32 v13, 0, v13, vcc
	v_add_u32_e32 v4, v13, v4
	v_not_b32_e32 v13, 31
	v_cmp_lt_u32_e64 s[0:1], 31, v4
	s_nop 1
	v_cndmask_b32_e64 v23, 0, v13, s[0:1]
	v_add_u32_e32 v4, v23, v4
	v_cmp_lt_u32_e64 s[2:3], 31, v4
	s_nop 1
	v_cndmask_b32_e64 v13, 0, v13, s[2:3]
	v_add_u32_e32 v4, v13, v4
	v_and_b32_e32 v13, 0x7fffff, v3
	v_or_b32_e32 v13, 0x800000, v13
	v_mad_u64_u32 v[28:29], s[4:5], v13, s4, 0
	v_mov_b32_e32 v26, v29
	s_mov_b32 s4, 0x3c439041
	v_mad_u64_u32 v[30:31], s[4:5], v13, s4, v[26:27]
	v_mov_b32_e32 v26, v31
	s_mov_b32 s4, 0xdb629599
	;; [unrolled: 3-line block ×6, first 2 shown]
	v_mad_u64_u32 v[26:27], s[4:5], v13, s4, v[26:27]
	v_cndmask_b32_e32 v23, v38, v34, vcc
	v_cndmask_b32_e32 v13, v26, v36, vcc
	;; [unrolled: 1-line block ×3, first 2 shown]
	v_cndmask_b32_e64 v24, v13, v23, s[0:1]
	v_cndmask_b32_e64 v13, v26, v13, s[0:1]
	v_cndmask_b32_e32 v26, v36, v32, vcc
	v_cndmask_b32_e64 v23, v23, v26, s[0:1]
	v_cndmask_b32_e64 v13, v13, v24, s[2:3]
	;; [unrolled: 1-line block ×3, first 2 shown]
	v_sub_u32_e32 v27, 32, v4
	v_alignbit_b32 v29, v13, v24, v27
	v_cmp_eq_u32_e64 s[4:5], 0, v4
	v_cndmask_b32_e32 v28, v32, v28, vcc
	s_nop 0
	v_cndmask_b32_e64 v4, v29, v13, s[4:5]
	v_cndmask_b32_e32 v13, v34, v30, vcc
	v_cndmask_b32_e64 v26, v26, v13, s[0:1]
	v_cndmask_b32_e64 v23, v23, v26, s[2:3]
	v_alignbit_b32 v29, v24, v23, v27
	v_cndmask_b32_e64 v24, v29, v24, s[4:5]
	v_bfe_u32 v31, v4, 29, 1
	v_cndmask_b32_e64 v13, v13, v28, s[0:1]
	v_alignbit_b32 v29, v4, v24, 30
	v_sub_u32_e32 v33, 0, v31
	v_cndmask_b32_e64 v13, v26, v13, s[2:3]
	v_xor_b32_e32 v34, v29, v33
	v_alignbit_b32 v26, v23, v13, v27
	v_cndmask_b32_e64 v23, v26, v23, s[4:5]
	v_ffbh_u32_e32 v26, v34
	v_add_u32_e32 v26, 1, v26
	v_cmp_ne_u32_e32 vcc, v29, v33
	v_alignbit_b32 v24, v24, v23, 30
	v_alignbit_b32 v13, v23, v13, 30
	v_cndmask_b32_e32 v26, 33, v26, vcc
	v_xor_b32_e32 v24, v24, v33
	v_sub_u32_e32 v27, 32, v26
	v_xor_b32_e32 v13, v13, v33
	v_alignbit_b32 v28, v34, v24, v27
	v_alignbit_b32 v13, v24, v13, v27
	;; [unrolled: 1-line block ×3, first 2 shown]
	v_ffbh_u32_e32 v24, v23
	v_min_u32_e32 v24, 32, v24
	v_lshrrev_b32_e32 v30, 29, v4
	v_sub_u32_e32 v27, 31, v24
	v_alignbit_b32 v13, v23, v13, v27
	v_lshlrev_b32_e32 v23, 31, v30
	v_or_b32_e32 v27, 0x33800000, v23
	v_add_lshl_u32 v24, v24, v26, 23
	v_lshrrev_b32_e32 v13, 9, v13
	v_sub_u32_e32 v24, v27, v24
	v_or_b32_e32 v13, v24, v13
	v_alignbit_b32 v24, v26, v28, 9
	v_or_b32_e32 v23, v24, v23
	v_xor_b32_e32 v23, 1.0, v23
	s_mov_b32 s0, 0x3fc90fda
	v_mul_f32_e32 v24, 0x3fc90fda, v23
	v_fma_f32 v26, v23, s0, -v24
	v_fmamk_f32 v23, v23, 0x33a22168, v26
	v_fmac_f32_e32 v23, 0x3fc90fda, v13
	v_lshrrev_b32_e32 v4, 30, v4
	v_add_f32_e32 v13, v24, v23
	v_add_u32_e32 v4, v31, v4
	s_andn2_saveexec_b64 s[0:1], s[12:13]
	s_branch .LBB14_314
.LBB14_313:
	s_andn2_saveexec_b64 s[0:1], s[12:13]
.LBB14_314:
	s_mov_b32 s2, 0x3f22f983
	v_mul_f32_e64 v4, |v2|, s2
	v_rndne_f32_e32 v13, v4
	s_mov_b32 s2, 0xbfc90fda
	v_cvt_i32_f32_e32 v4, v13
	v_fma_f32 v23, v13, s2, |v2|
	v_fmamk_f32 v23, v13, 0xb3a22168, v23
	v_fmamk_f32 v13, v13, 0xa7c234c4, v23
; %bb.315:
	s_or_b64 exec, exec, s[0:1]
                                        ; implicit-def: $vgpr23
                                        ; implicit-def: $vgpr24
	s_and_saveexec_b64 s[0:1], s[10:11]
	s_xor_b64 s[10:11], exec, s[0:1]
	s_cbranch_execz .LBB14_317
; %bb.316:
	v_add_u32_e32 v23, 0xffffff88, v25
	v_not_b32_e32 v24, 63
	v_cmp_lt_u32_e32 vcc, 63, v23
	s_mov_b32 s4, 0xfe5163ab
	v_mov_b32_e32 v25, 0
	v_cndmask_b32_e32 v24, 0, v24, vcc
	v_add_u32_e32 v23, v24, v23
	v_not_b32_e32 v24, 31
	v_cmp_lt_u32_e64 s[0:1], 31, v23
	s_nop 1
	v_cndmask_b32_e64 v26, 0, v24, s[0:1]
	v_add_u32_e32 v23, v26, v23
	v_cmp_lt_u32_e64 s[2:3], 31, v23
	s_nop 1
	v_cndmask_b32_e64 v24, 0, v24, s[2:3]
	v_add_u32_e32 v23, v24, v23
	v_and_b32_e32 v24, 0x7fffff, v3
	v_or_b32_e32 v38, 0x800000, v24
	v_mad_u64_u32 v[26:27], s[4:5], v38, s4, 0
	v_mov_b32_e32 v24, v27
	s_mov_b32 s4, 0x3c439041
	v_mad_u64_u32 v[28:29], s[4:5], v38, s4, v[24:25]
	v_mov_b32_e32 v24, v29
	s_mov_b32 s4, 0xdb629599
	;; [unrolled: 3-line block ×6, first 2 shown]
	v_mad_u64_u32 v[24:25], s[4:5], v38, s4, v[24:25]
	v_cndmask_b32_e32 v27, v36, v32, vcc
	v_cndmask_b32_e32 v24, v24, v34, vcc
	;; [unrolled: 1-line block ×3, first 2 shown]
	v_cndmask_b32_e64 v29, v24, v27, s[0:1]
	v_cndmask_b32_e64 v24, v25, v24, s[0:1]
	v_cndmask_b32_e32 v25, v34, v30, vcc
	v_cndmask_b32_e64 v27, v27, v25, s[0:1]
	v_cndmask_b32_e64 v24, v24, v29, s[2:3]
	v_cndmask_b32_e64 v29, v29, v27, s[2:3]
	v_sub_u32_e32 v31, 32, v23
	v_alignbit_b32 v33, v24, v29, v31
	v_cmp_eq_u32_e64 s[4:5], 0, v23
	v_cndmask_b32_e32 v26, v30, v26, vcc
	s_nop 0
	v_cndmask_b32_e64 v23, v33, v24, s[4:5]
	v_cndmask_b32_e32 v24, v32, v28, vcc
	v_cndmask_b32_e64 v25, v25, v24, s[0:1]
	v_cndmask_b32_e64 v27, v27, v25, s[2:3]
	v_alignbit_b32 v28, v29, v27, v31
	v_cndmask_b32_e64 v28, v28, v29, s[4:5]
	v_bfe_u32 v33, v23, 29, 1
	v_cndmask_b32_e64 v24, v24, v26, s[0:1]
	v_alignbit_b32 v29, v23, v28, 30
	v_sub_u32_e32 v34, 0, v33
	v_cndmask_b32_e64 v24, v25, v24, s[2:3]
	v_xor_b32_e32 v35, v29, v34
	v_alignbit_b32 v25, v27, v24, v31
	v_cndmask_b32_e64 v25, v25, v27, s[4:5]
	v_ffbh_u32_e32 v27, v35
	v_add_u32_e32 v27, 1, v27
	v_cmp_ne_u32_e32 vcc, v29, v34
	v_alignbit_b32 v26, v28, v25, 30
	v_alignbit_b32 v24, v25, v24, 30
	v_cndmask_b32_e32 v27, 33, v27, vcc
	v_xor_b32_e32 v26, v26, v34
	v_sub_u32_e32 v28, 32, v27
	v_xor_b32_e32 v24, v24, v34
	v_alignbit_b32 v29, v35, v26, v28
	v_alignbit_b32 v24, v26, v24, v28
	;; [unrolled: 1-line block ×3, first 2 shown]
	v_ffbh_u32_e32 v26, v25
	v_min_u32_e32 v26, 32, v26
	v_lshrrev_b32_e32 v32, 29, v23
	v_sub_u32_e32 v28, 31, v26
	v_alignbit_b32 v24, v25, v24, v28
	v_lshlrev_b32_e32 v25, 31, v32
	v_or_b32_e32 v28, 0x33800000, v25
	v_add_lshl_u32 v26, v26, v27, 23
	v_lshrrev_b32_e32 v24, 9, v24
	v_sub_u32_e32 v26, v28, v26
	v_or_b32_e32 v24, v26, v24
	v_alignbit_b32 v26, v27, v29, 9
	v_or_b32_e32 v25, v26, v25
	v_xor_b32_e32 v25, 1.0, v25
	s_mov_b32 s0, 0x3fc90fda
	v_mul_f32_e32 v26, 0x3fc90fda, v25
	v_fma_f32 v27, v25, s0, -v26
	v_fmamk_f32 v25, v25, 0x33a22168, v27
	v_fmac_f32_e32 v25, 0x3fc90fda, v24
	v_lshrrev_b32_e32 v23, 30, v23
	v_add_f32_e32 v24, v26, v25
	v_add_u32_e32 v23, v33, v23
	s_andn2_saveexec_b64 s[0:1], s[10:11]
	s_cbranch_execnz .LBB14_318
	s_branch .LBB14_319
.LBB14_317:
	s_andn2_saveexec_b64 s[0:1], s[10:11]
.LBB14_318:
	s_mov_b32 s2, 0x3f22f983
	v_mul_f32_e64 v23, |v2|, s2
	v_rndne_f32_e32 v24, v23
	s_mov_b32 s2, 0xbfc90fda
	v_cvt_i32_f32_e32 v23, v24
	v_fma_f32 v25, v24, s2, |v2|
	v_fmamk_f32 v25, v24, 0xb3a22168, v25
	v_fmamk_f32 v24, v24, 0xa7c234c4, v25
.LBB14_319:
	s_or_b64 exec, exec, s[0:1]
	v_mul_f32_e32 v25, v5, v5
	s_mov_b32 s2, 0x41c80000
	v_div_scale_f32 v26, s[0:1], v25, v25, s2
	v_rcp_f32_e32 v27, v26
	v_xor_b32_e32 v3, v3, v2
	s_mov_b32 s4, 0x40a00000
	v_mov_b32_e32 v34, 0xbf000004
	v_fma_f32 v28, -v26, v27, 1.0
	v_fmac_f32_e32 v27, v28, v27
	v_div_scale_f32 v28, vcc, s2, v25, s2
	v_mul_f32_e32 v29, v28, v27
	v_fma_f32 v30, -v26, v29, v28
	v_fmac_f32_e32 v29, v30, v27
	v_fma_f32 v26, -v26, v29, v28
	v_div_fmas_f32 v26, v26, v27, v29
	v_div_fixup_f32 v25, v26, v25, s2
	v_mov_b32_e32 v26, 0x3a50e985
	v_mov_b32_e32 v27, 0x3a725406
	v_fmac_f32_e32 v26, 0, v25
	v_fmac_f32_e32 v27, 0, v25
	v_fmaak_f32 v26, v25, v26, 0x3da9a586
	v_fmaak_f32 v27, v25, v27, 0x3daf5e2d
	;; [unrolled: 1-line block ×8, first 2 shown]
	v_mov_b32_e32 v28, 0xbc3a3a12
	v_fmaak_f32 v26, v25, v26, 0x40a9b425
	v_fmaak_f32 v27, v25, v27, 0x40a9cb2f
	v_fmac_f32_e32 v28, 0, v25
	v_mov_b32_e32 v29, 0x4280a2ba
	v_fma_f32 v27, v25, v27, 1.0
	v_fmaak_f32 v28, v25, v28, 0xbfa429da
	v_fmac_f32_e32 v29, 0, v25
	v_fma_f32 v26, v25, v26, 1.0
	v_fmaak_f32 v28, v25, v28, 0xc19c6e80
	v_fmaak_f32 v29, v25, v29, 0x44561b86
	v_div_scale_f32 v30, s[0:1], v27, v27, v26
	v_fmaak_f32 v28, v25, v28, 0xc2ba697b
	v_fmaak_f32 v29, v25, v29, 0x4572a66e
	v_rcp_f32_e32 v31, v30
	v_fmaak_f32 v28, v25, v28, 0xc331ae61
	v_fmaak_f32 v29, v25, v29, 0x45e243be
	;; [unrolled: 1-line block ×8, first 2 shown]
	v_fma_f32 v29, -v30, v31, 1.0
	v_fmac_f32_e32 v31, v29, v31
	v_div_scale_f32 v29, vcc, v26, v27, v26
	v_mul_f32_e32 v32, v29, v31
	v_fma_f32 v33, -v30, v32, v29
	v_fmac_f32_e32 v32, v33, v31
	v_fma_f32 v29, -v30, v32, v29
	v_div_fmas_f32 v29, v29, v31, v32
	v_div_fixup_f32 v26, v29, v27, v26
	v_mul_f32_e32 v27, v13, v13
	v_mov_b32_e32 v29, 0x3c0881c4
	v_fmamk_f32 v30, v27, 0xb94c1982, v29
	v_fmaak_f32 v30, v27, v30, 0xbe2aaa9d
	v_mul_f32_e32 v30, v27, v30
	v_fmac_f32_e32 v13, v13, v30
	v_mov_b32_e32 v30, 0xbab64f3b
	v_fmamk_f32 v32, v27, 0x37d75334, v30
	v_fmaak_f32 v32, v27, v32, 0x3d2aabf7
	v_fmaak_f32 v32, v27, v32, 0xbf000004
	v_fma_f32 v27, v27, v32, 1.0
	v_and_b32_e32 v32, 1, v4
	v_lshlrev_b32_e32 v4, 30, v4
	v_cmp_eq_u32_e32 vcc, 0, v32
	v_and_b32_e32 v4, 0x80000000, v4
	v_xor_b32_e32 v3, v3, v4
	v_cndmask_b32_e32 v13, v27, v13, vcc
	v_div_scale_f32 v4, s[0:1], v5, v5, s4
	v_xor_b32_e32 v3, v3, v13
	v_rcp_f32_e32 v13, v4
	s_movk_i32 s2, 0x1f8
	v_mov_b32_e32 v27, 0x7fc00000
	v_cmp_class_f32_e64 s[0:1], v2, s2
	v_mov_b32_e32 v31, 0xbe2aaa9d
	v_mov_b32_e32 v33, 0x3d2aabf7
	v_cndmask_b32_e64 v2, v27, v3, s[0:1]
	v_fma_f32 v3, -v4, v13, 1.0
	v_fmac_f32_e32 v13, v3, v13
	v_div_scale_f32 v3, vcc, s4, v5, s4
	v_mul_f32_e32 v32, v3, v13
	v_fma_f32 v35, -v4, v32, v3
	v_fmac_f32_e32 v32, v35, v13
	v_fma_f32 v3, -v4, v32, v3
	v_div_scale_f32 v4, s[2:3], v25, v25, v28
	v_rcp_f32_e32 v35, v4
	v_div_fmas_f32 v3, v3, v13, v32
	v_div_fixup_f32 v3, v3, v5, s4
	v_fma_f32 v13, -v4, v35, 1.0
	v_fmac_f32_e32 v35, v13, v35
	v_div_scale_f32 v13, vcc, v28, v25, v28
	v_mul_f32_e32 v32, v13, v35
	v_fma_f32 v36, -v4, v32, v13
	v_fmac_f32_e32 v32, v36, v35
	v_fma_f32 v4, -v4, v32, v13
	v_div_fmas_f32 v4, v4, v35, v32
	v_div_fixup_f32 v4, v4, v25, v28
	v_mul_f32_e32 v3, v3, v4
	v_mul_f32_e32 v4, v24, v24
	v_fmac_f32_e32 v29, 0xb94c1982, v4
	v_fmac_f32_e32 v31, v4, v29
	;; [unrolled: 1-line block ×3, first 2 shown]
	v_mul_f32_e32 v13, v4, v31
	v_fmac_f32_e32 v33, v4, v30
	v_fmac_f32_e32 v24, v24, v13
	;; [unrolled: 1-line block ×3, first 2 shown]
	v_and_b32_e32 v13, 1, v23
	v_fma_f32 v4, v4, v34, 1.0
	v_cmp_eq_u32_e32 vcc, 0, v13
	v_lshlrev_b32_e32 v13, 30, v23
	v_and_b32_e32 v13, 0x80000000, v13
	v_cndmask_b32_e64 v4, -v24, v4, vcc
	v_xor_b32_e32 v4, v13, v4
	v_cndmask_b32_e64 v4, v27, v4, s[0:1]
	s_mov_b32 s0, 0xf800000
	v_mul_f32_e32 v13, 0x4f800000, v5
	v_cmp_gt_f32_e32 vcc, s0, v5
	v_mul_f32_e32 v3, v3, v4
	v_fmac_f32_e32 v3, v26, v2
	v_cndmask_b32_e32 v5, v5, v13, vcc
	v_sqrt_f32_e32 v13, v5
	v_mul_f32_e32 v2, 0x3f4c422a, v3
	v_add_u32_e32 v3, -1, v13
	v_fma_f32 v4, -v3, v13, v5
	v_cmp_ge_f32_e64 s[0:1], 0, v4
	v_add_u32_e32 v4, 1, v13
	s_nop 0
	v_cndmask_b32_e64 v3, v13, v3, s[0:1]
	v_fma_f32 v13, -v4, v13, v5
	v_cmp_lt_f32_e64 s[0:1], 0, v13
	s_nop 1
	v_cndmask_b32_e64 v3, v3, v4, s[0:1]
	v_mul_f32_e32 v4, 0x37800000, v3
	v_cndmask_b32_e32 v3, v3, v4, vcc
	v_mov_b32_e32 v4, 0x260
	v_cmp_class_f32_e32 vcc, v5, v4
	s_nop 1
	v_cndmask_b32_e32 v3, v3, v5, vcc
	v_div_scale_f32 v4, s[0:1], v3, v3, v2
	v_rcp_f32_e32 v5, v4
	s_nop 0
	v_fma_f32 v13, -v4, v5, 1.0
	v_fmac_f32_e32 v5, v13, v5
	v_div_scale_f32 v13, vcc, v2, v3, v2
	v_mul_f32_e32 v23, v13, v5
	v_fma_f32 v24, -v4, v23, v13
	v_fmac_f32_e32 v23, v24, v5
	v_fma_f32 v4, -v4, v23, v13
	v_div_fmas_f32 v4, v4, v5, v23
	v_div_fixup_f32 v13, v4, v3, v2
.LBB14_320:
	s_or_b64 exec, exec, s[8:9]
	v_lshl_add_u64 v[0:1], s[6:7], 2, v[0:1]
	v_mov_b32_e32 v23, 0
	v_lshl_add_u64 v[0:1], v[0:1], 0, v[22:23]
	v_add_co_u32_e32 v2, vcc, 0x1000, v0
	flat_store_dwordx4 v[0:1], v[6:9]
	s_nop 0
	v_addc_co_u32_e32 v3, vcc, 0, v1, vcc
	flat_store_dwordx4 v[2:3], v[14:17]
	v_add_co_u32_e32 v2, vcc, 0x2000, v0
	s_nop 1
	v_addc_co_u32_e32 v3, vcc, 0, v1, vcc
	v_add_co_u32_e32 v0, vcc, 0x3000, v0
	flat_store_dwordx4 v[2:3], v[18:21]
	s_nop 0
	v_addc_co_u32_e32 v1, vcc, 0, v1, vcc
	flat_store_dwordx4 v[0:1], v[10:13]
	s_waitcnt vmcnt(0) lgkmcnt(0)
	s_setpc_b64 s[30:31]
.Lfunc_end14:
	.size	_ZN2at6native25elementwise_kernel_helperILb0EZZZNS0_12_GLOBAL__N_121bessel_y0_kernel_cudaERNS_18TensorIteratorBaseEENKUlvE_clEvENKUlvE0_clEvEUlfE_NS0_6memory8policies10vectorizedILi4ESt5arrayIPcLm2EELi16EEEEEvT0_T1_, .Lfunc_end14-_ZN2at6native25elementwise_kernel_helperILb0EZZZNS0_12_GLOBAL__N_121bessel_y0_kernel_cudaERNS_18TensorIteratorBaseEENKUlvE_clEvENKUlvE0_clEvEUlfE_NS0_6memory8policies10vectorizedILi4ESt5arrayIPcLm2EELi16EEEEEvT0_T1_
                                        ; -- End function
	.section	.AMDGPU.csdata,"",@progbits
; Function info:
; codeLenInByte = 50496
; NumSgprs: 38
; NumVgprs: 40
; NumAgprs: 0
; TotalNumVgprs: 40
; ScratchSize: 0
; MemoryBound: 0
	.section	.text._ZN2at6native29vectorized_elementwise_kernelILi16EZZZNS0_12_GLOBAL__N_121bessel_y0_kernel_cudaERNS_18TensorIteratorBaseEENKUlvE_clEvENKUlvE0_clEvEUlfE_St5arrayIPcLm2EEEEviT0_T1_,"axG",@progbits,_ZN2at6native29vectorized_elementwise_kernelILi16EZZZNS0_12_GLOBAL__N_121bessel_y0_kernel_cudaERNS_18TensorIteratorBaseEENKUlvE_clEvENKUlvE0_clEvEUlfE_St5arrayIPcLm2EEEEviT0_T1_,comdat
	.globl	_ZN2at6native29vectorized_elementwise_kernelILi16EZZZNS0_12_GLOBAL__N_121bessel_y0_kernel_cudaERNS_18TensorIteratorBaseEENKUlvE_clEvENKUlvE0_clEvEUlfE_St5arrayIPcLm2EEEEviT0_T1_ ; -- Begin function _ZN2at6native29vectorized_elementwise_kernelILi16EZZZNS0_12_GLOBAL__N_121bessel_y0_kernel_cudaERNS_18TensorIteratorBaseEENKUlvE_clEvENKUlvE0_clEvEUlfE_St5arrayIPcLm2EEEEviT0_T1_
	.p2align	8
	.type	_ZN2at6native29vectorized_elementwise_kernelILi16EZZZNS0_12_GLOBAL__N_121bessel_y0_kernel_cudaERNS_18TensorIteratorBaseEENKUlvE_clEvENKUlvE0_clEvEUlfE_St5arrayIPcLm2EEEEviT0_T1_,@function
_ZN2at6native29vectorized_elementwise_kernelILi16EZZZNS0_12_GLOBAL__N_121bessel_y0_kernel_cudaERNS_18TensorIteratorBaseEENKUlvE_clEvENKUlvE0_clEvEUlfE_St5arrayIPcLm2EEEEviT0_T1_: ; @_ZN2at6native29vectorized_elementwise_kernelILi16EZZZNS0_12_GLOBAL__N_121bessel_y0_kernel_cudaERNS_18TensorIteratorBaseEENKUlvE_clEvENKUlvE0_clEvEUlfE_St5arrayIPcLm2EEEEviT0_T1_
; %bb.0:
	s_mov_b32 s14, s2
	s_load_dword s2, s[0:1], 0x0
	s_load_dwordx4 s[16:19], s[0:1], 0x8
	s_lshl_b32 s0, s14, 12
	v_mov_b32_e32 v40, v0
	s_mov_b32 s32, 0
	s_waitcnt lgkmcnt(0)
	s_sub_i32 s15, s2, s0
	s_cmpk_gt_i32 s15, 0xfff
	s_mov_b64 s[0:1], -1
	s_cbranch_scc1 .LBB15_3
; %bb.1:
	s_andn2_b64 vcc, exec, s[0:1]
	s_cbranch_vccz .LBB15_4
.LBB15_2:
	s_endpgm
.LBB15_3:
	s_mov_b32 s12, s14
	v_mov_b32_e32 v31, v40
	v_mov_b32_e32 v0, s16
	;; [unrolled: 1-line block ×5, first 2 shown]
	s_getpc_b64 s[0:1]
	s_add_u32 s0, s0, _ZN2at6native25elementwise_kernel_helperILb0EZZZNS0_12_GLOBAL__N_121bessel_y0_kernel_cudaERNS_18TensorIteratorBaseEENKUlvE_clEvENKUlvE0_clEvEUlfE_NS0_6memory8policies10vectorizedILi4ESt5arrayIPcLm2EELi16EEEEEvT0_T1_@rel32@lo+4
	s_addc_u32 s1, s1, _ZN2at6native25elementwise_kernel_helperILb0EZZZNS0_12_GLOBAL__N_121bessel_y0_kernel_cudaERNS_18TensorIteratorBaseEENKUlvE_clEvENKUlvE0_clEvEUlfE_NS0_6memory8policies10vectorizedILi4ESt5arrayIPcLm2EELi16EEEEEvT0_T1_@rel32@hi+12
	s_swappc_b64 s[30:31], s[0:1]
	s_cbranch_execnz .LBB15_2
.LBB15_4:
	s_mov_b32 s12, s14
	v_mov_b32_e32 v31, v40
	v_mov_b32_e32 v0, s16
	;; [unrolled: 1-line block ×6, first 2 shown]
	s_getpc_b64 s[0:1]
	s_add_u32 s0, s0, _ZN2at6native25elementwise_kernel_helperILb0EZZZNS0_12_GLOBAL__N_121bessel_y0_kernel_cudaERNS_18TensorIteratorBaseEENKUlvE_clEvENKUlvE0_clEvEUlfE_NS0_6memory8policies11unroll_baseILi256ESt5arrayIPcLm2EE23TrivialOffsetCalculatorILi1EjESF_NS8_15LoadWithoutCastENS8_16StoreWithoutCastELi16ELi1EEEEEvT0_T1_@rel32@lo+4
	s_addc_u32 s1, s1, _ZN2at6native25elementwise_kernel_helperILb0EZZZNS0_12_GLOBAL__N_121bessel_y0_kernel_cudaERNS_18TensorIteratorBaseEENKUlvE_clEvENKUlvE0_clEvEUlfE_NS0_6memory8policies11unroll_baseILi256ESt5arrayIPcLm2EE23TrivialOffsetCalculatorILi1EjESF_NS8_15LoadWithoutCastENS8_16StoreWithoutCastELi16ELi1EEEEEvT0_T1_@rel32@hi+12
	s_swappc_b64 s[30:31], s[0:1]
	s_endpgm
	.section	.rodata,"a",@progbits
	.p2align	6, 0x0
	.amdhsa_kernel _ZN2at6native29vectorized_elementwise_kernelILi16EZZZNS0_12_GLOBAL__N_121bessel_y0_kernel_cudaERNS_18TensorIteratorBaseEENKUlvE_clEvENKUlvE0_clEvEUlfE_St5arrayIPcLm2EEEEviT0_T1_
		.amdhsa_group_segment_fixed_size 0
		.amdhsa_private_segment_fixed_size 0
		.amdhsa_kernarg_size 24
		.amdhsa_user_sgpr_count 2
		.amdhsa_user_sgpr_dispatch_ptr 0
		.amdhsa_user_sgpr_queue_ptr 0
		.amdhsa_user_sgpr_kernarg_segment_ptr 1
		.amdhsa_user_sgpr_dispatch_id 0
		.amdhsa_user_sgpr_kernarg_preload_length 0
		.amdhsa_user_sgpr_kernarg_preload_offset 0
		.amdhsa_user_sgpr_private_segment_size 0
		.amdhsa_uses_dynamic_stack 0
		.amdhsa_enable_private_segment 0
		.amdhsa_system_sgpr_workgroup_id_x 1
		.amdhsa_system_sgpr_workgroup_id_y 0
		.amdhsa_system_sgpr_workgroup_id_z 0
		.amdhsa_system_sgpr_workgroup_info 0
		.amdhsa_system_vgpr_workitem_id 0
		.amdhsa_next_free_vgpr 50
		.amdhsa_next_free_sgpr 33
		.amdhsa_accum_offset 52
		.amdhsa_reserve_vcc 1
		.amdhsa_float_round_mode_32 0
		.amdhsa_float_round_mode_16_64 0
		.amdhsa_float_denorm_mode_32 3
		.amdhsa_float_denorm_mode_16_64 3
		.amdhsa_dx10_clamp 1
		.amdhsa_ieee_mode 1
		.amdhsa_fp16_overflow 0
		.amdhsa_tg_split 0
		.amdhsa_exception_fp_ieee_invalid_op 0
		.amdhsa_exception_fp_denorm_src 0
		.amdhsa_exception_fp_ieee_div_zero 0
		.amdhsa_exception_fp_ieee_overflow 0
		.amdhsa_exception_fp_ieee_underflow 0
		.amdhsa_exception_fp_ieee_inexact 0
		.amdhsa_exception_int_div_zero 0
	.end_amdhsa_kernel
	.section	.text._ZN2at6native29vectorized_elementwise_kernelILi16EZZZNS0_12_GLOBAL__N_121bessel_y0_kernel_cudaERNS_18TensorIteratorBaseEENKUlvE_clEvENKUlvE0_clEvEUlfE_St5arrayIPcLm2EEEEviT0_T1_,"axG",@progbits,_ZN2at6native29vectorized_elementwise_kernelILi16EZZZNS0_12_GLOBAL__N_121bessel_y0_kernel_cudaERNS_18TensorIteratorBaseEENKUlvE_clEvENKUlvE0_clEvEUlfE_St5arrayIPcLm2EEEEviT0_T1_,comdat
.Lfunc_end15:
	.size	_ZN2at6native29vectorized_elementwise_kernelILi16EZZZNS0_12_GLOBAL__N_121bessel_y0_kernel_cudaERNS_18TensorIteratorBaseEENKUlvE_clEvENKUlvE0_clEvEUlfE_St5arrayIPcLm2EEEEviT0_T1_, .Lfunc_end15-_ZN2at6native29vectorized_elementwise_kernelILi16EZZZNS0_12_GLOBAL__N_121bessel_y0_kernel_cudaERNS_18TensorIteratorBaseEENKUlvE_clEvENKUlvE0_clEvEUlfE_St5arrayIPcLm2EEEEviT0_T1_
                                        ; -- End function
	.section	.AMDGPU.csdata,"",@progbits
; Kernel info:
; codeLenInByte = 172
; NumSgprs: 39
; NumVgprs: 50
; NumAgprs: 0
; TotalNumVgprs: 50
; ScratchSize: 0
; MemoryBound: 0
; FloatMode: 240
; IeeeMode: 1
; LDSByteSize: 0 bytes/workgroup (compile time only)
; SGPRBlocks: 4
; VGPRBlocks: 6
; NumSGPRsForWavesPerEU: 39
; NumVGPRsForWavesPerEU: 50
; AccumOffset: 52
; Occupancy: 8
; WaveLimiterHint : 1
; COMPUTE_PGM_RSRC2:SCRATCH_EN: 0
; COMPUTE_PGM_RSRC2:USER_SGPR: 2
; COMPUTE_PGM_RSRC2:TRAP_HANDLER: 0
; COMPUTE_PGM_RSRC2:TGID_X_EN: 1
; COMPUTE_PGM_RSRC2:TGID_Y_EN: 0
; COMPUTE_PGM_RSRC2:TGID_Z_EN: 0
; COMPUTE_PGM_RSRC2:TIDIG_COMP_CNT: 0
; COMPUTE_PGM_RSRC3_GFX90A:ACCUM_OFFSET: 12
; COMPUTE_PGM_RSRC3_GFX90A:TG_SPLIT: 0
	.section	.text._ZN2at6native29vectorized_elementwise_kernelILi8EZZZNS0_12_GLOBAL__N_121bessel_y0_kernel_cudaERNS_18TensorIteratorBaseEENKUlvE_clEvENKUlvE0_clEvEUlfE_St5arrayIPcLm2EEEEviT0_T1_,"axG",@progbits,_ZN2at6native29vectorized_elementwise_kernelILi8EZZZNS0_12_GLOBAL__N_121bessel_y0_kernel_cudaERNS_18TensorIteratorBaseEENKUlvE_clEvENKUlvE0_clEvEUlfE_St5arrayIPcLm2EEEEviT0_T1_,comdat
	.globl	_ZN2at6native29vectorized_elementwise_kernelILi8EZZZNS0_12_GLOBAL__N_121bessel_y0_kernel_cudaERNS_18TensorIteratorBaseEENKUlvE_clEvENKUlvE0_clEvEUlfE_St5arrayIPcLm2EEEEviT0_T1_ ; -- Begin function _ZN2at6native29vectorized_elementwise_kernelILi8EZZZNS0_12_GLOBAL__N_121bessel_y0_kernel_cudaERNS_18TensorIteratorBaseEENKUlvE_clEvENKUlvE0_clEvEUlfE_St5arrayIPcLm2EEEEviT0_T1_
	.p2align	8
	.type	_ZN2at6native29vectorized_elementwise_kernelILi8EZZZNS0_12_GLOBAL__N_121bessel_y0_kernel_cudaERNS_18TensorIteratorBaseEENKUlvE_clEvENKUlvE0_clEvEUlfE_St5arrayIPcLm2EEEEviT0_T1_,@function
_ZN2at6native29vectorized_elementwise_kernelILi8EZZZNS0_12_GLOBAL__N_121bessel_y0_kernel_cudaERNS_18TensorIteratorBaseEENKUlvE_clEvENKUlvE0_clEvEUlfE_St5arrayIPcLm2EEEEviT0_T1_: ; @_ZN2at6native29vectorized_elementwise_kernelILi8EZZZNS0_12_GLOBAL__N_121bessel_y0_kernel_cudaERNS_18TensorIteratorBaseEENKUlvE_clEvENKUlvE0_clEvEUlfE_St5arrayIPcLm2EEEEviT0_T1_
; %bb.0:
	s_mov_b32 s14, s2
	s_load_dword s2, s[0:1], 0x0
	s_load_dwordx4 s[16:19], s[0:1], 0x8
	s_lshl_b32 s0, s14, 12
	v_mov_b32_e32 v40, v0
	s_mov_b32 s32, 0
	s_waitcnt lgkmcnt(0)
	s_sub_i32 s15, s2, s0
	s_cmpk_gt_i32 s15, 0xfff
	s_mov_b64 s[0:1], -1
	s_cbranch_scc1 .LBB16_3
; %bb.1:
	s_andn2_b64 vcc, exec, s[0:1]
	s_cbranch_vccz .LBB16_4
.LBB16_2:
	s_endpgm
.LBB16_3:
	s_mov_b32 s12, s14
	v_mov_b32_e32 v31, v40
	v_mov_b32_e32 v0, s16
	;; [unrolled: 1-line block ×5, first 2 shown]
	s_getpc_b64 s[0:1]
	s_add_u32 s0, s0, _ZN2at6native25elementwise_kernel_helperILb0EZZZNS0_12_GLOBAL__N_121bessel_y0_kernel_cudaERNS_18TensorIteratorBaseEENKUlvE_clEvENKUlvE0_clEvEUlfE_NS0_6memory8policies10vectorizedILi4ESt5arrayIPcLm2EELi16EEEEEvT0_T1_@rel32@lo+4
	s_addc_u32 s1, s1, _ZN2at6native25elementwise_kernel_helperILb0EZZZNS0_12_GLOBAL__N_121bessel_y0_kernel_cudaERNS_18TensorIteratorBaseEENKUlvE_clEvENKUlvE0_clEvEUlfE_NS0_6memory8policies10vectorizedILi4ESt5arrayIPcLm2EELi16EEEEEvT0_T1_@rel32@hi+12
	s_swappc_b64 s[30:31], s[0:1]
	s_cbranch_execnz .LBB16_2
.LBB16_4:
	s_mov_b32 s12, s14
	v_mov_b32_e32 v31, v40
	v_mov_b32_e32 v0, s16
	;; [unrolled: 1-line block ×6, first 2 shown]
	s_getpc_b64 s[0:1]
	s_add_u32 s0, s0, _ZN2at6native25elementwise_kernel_helperILb0EZZZNS0_12_GLOBAL__N_121bessel_y0_kernel_cudaERNS_18TensorIteratorBaseEENKUlvE_clEvENKUlvE0_clEvEUlfE_NS0_6memory8policies11unroll_baseILi256ESt5arrayIPcLm2EE23TrivialOffsetCalculatorILi1EjESF_NS8_15LoadWithoutCastENS8_16StoreWithoutCastELi16ELi1EEEEEvT0_T1_@rel32@lo+4
	s_addc_u32 s1, s1, _ZN2at6native25elementwise_kernel_helperILb0EZZZNS0_12_GLOBAL__N_121bessel_y0_kernel_cudaERNS_18TensorIteratorBaseEENKUlvE_clEvENKUlvE0_clEvEUlfE_NS0_6memory8policies11unroll_baseILi256ESt5arrayIPcLm2EE23TrivialOffsetCalculatorILi1EjESF_NS8_15LoadWithoutCastENS8_16StoreWithoutCastELi16ELi1EEEEEvT0_T1_@rel32@hi+12
	s_swappc_b64 s[30:31], s[0:1]
	s_endpgm
	.section	.rodata,"a",@progbits
	.p2align	6, 0x0
	.amdhsa_kernel _ZN2at6native29vectorized_elementwise_kernelILi8EZZZNS0_12_GLOBAL__N_121bessel_y0_kernel_cudaERNS_18TensorIteratorBaseEENKUlvE_clEvENKUlvE0_clEvEUlfE_St5arrayIPcLm2EEEEviT0_T1_
		.amdhsa_group_segment_fixed_size 0
		.amdhsa_private_segment_fixed_size 0
		.amdhsa_kernarg_size 24
		.amdhsa_user_sgpr_count 2
		.amdhsa_user_sgpr_dispatch_ptr 0
		.amdhsa_user_sgpr_queue_ptr 0
		.amdhsa_user_sgpr_kernarg_segment_ptr 1
		.amdhsa_user_sgpr_dispatch_id 0
		.amdhsa_user_sgpr_kernarg_preload_length 0
		.amdhsa_user_sgpr_kernarg_preload_offset 0
		.amdhsa_user_sgpr_private_segment_size 0
		.amdhsa_uses_dynamic_stack 0
		.amdhsa_enable_private_segment 0
		.amdhsa_system_sgpr_workgroup_id_x 1
		.amdhsa_system_sgpr_workgroup_id_y 0
		.amdhsa_system_sgpr_workgroup_id_z 0
		.amdhsa_system_sgpr_workgroup_info 0
		.amdhsa_system_vgpr_workitem_id 0
		.amdhsa_next_free_vgpr 50
		.amdhsa_next_free_sgpr 33
		.amdhsa_accum_offset 52
		.amdhsa_reserve_vcc 1
		.amdhsa_float_round_mode_32 0
		.amdhsa_float_round_mode_16_64 0
		.amdhsa_float_denorm_mode_32 3
		.amdhsa_float_denorm_mode_16_64 3
		.amdhsa_dx10_clamp 1
		.amdhsa_ieee_mode 1
		.amdhsa_fp16_overflow 0
		.amdhsa_tg_split 0
		.amdhsa_exception_fp_ieee_invalid_op 0
		.amdhsa_exception_fp_denorm_src 0
		.amdhsa_exception_fp_ieee_div_zero 0
		.amdhsa_exception_fp_ieee_overflow 0
		.amdhsa_exception_fp_ieee_underflow 0
		.amdhsa_exception_fp_ieee_inexact 0
		.amdhsa_exception_int_div_zero 0
	.end_amdhsa_kernel
	.section	.text._ZN2at6native29vectorized_elementwise_kernelILi8EZZZNS0_12_GLOBAL__N_121bessel_y0_kernel_cudaERNS_18TensorIteratorBaseEENKUlvE_clEvENKUlvE0_clEvEUlfE_St5arrayIPcLm2EEEEviT0_T1_,"axG",@progbits,_ZN2at6native29vectorized_elementwise_kernelILi8EZZZNS0_12_GLOBAL__N_121bessel_y0_kernel_cudaERNS_18TensorIteratorBaseEENKUlvE_clEvENKUlvE0_clEvEUlfE_St5arrayIPcLm2EEEEviT0_T1_,comdat
.Lfunc_end16:
	.size	_ZN2at6native29vectorized_elementwise_kernelILi8EZZZNS0_12_GLOBAL__N_121bessel_y0_kernel_cudaERNS_18TensorIteratorBaseEENKUlvE_clEvENKUlvE0_clEvEUlfE_St5arrayIPcLm2EEEEviT0_T1_, .Lfunc_end16-_ZN2at6native29vectorized_elementwise_kernelILi8EZZZNS0_12_GLOBAL__N_121bessel_y0_kernel_cudaERNS_18TensorIteratorBaseEENKUlvE_clEvENKUlvE0_clEvEUlfE_St5arrayIPcLm2EEEEviT0_T1_
                                        ; -- End function
	.section	.AMDGPU.csdata,"",@progbits
; Kernel info:
; codeLenInByte = 172
; NumSgprs: 39
; NumVgprs: 50
; NumAgprs: 0
; TotalNumVgprs: 50
; ScratchSize: 0
; MemoryBound: 0
; FloatMode: 240
; IeeeMode: 1
; LDSByteSize: 0 bytes/workgroup (compile time only)
; SGPRBlocks: 4
; VGPRBlocks: 6
; NumSGPRsForWavesPerEU: 39
; NumVGPRsForWavesPerEU: 50
; AccumOffset: 52
; Occupancy: 8
; WaveLimiterHint : 1
; COMPUTE_PGM_RSRC2:SCRATCH_EN: 0
; COMPUTE_PGM_RSRC2:USER_SGPR: 2
; COMPUTE_PGM_RSRC2:TRAP_HANDLER: 0
; COMPUTE_PGM_RSRC2:TGID_X_EN: 1
; COMPUTE_PGM_RSRC2:TGID_Y_EN: 0
; COMPUTE_PGM_RSRC2:TGID_Z_EN: 0
; COMPUTE_PGM_RSRC2:TIDIG_COMP_CNT: 0
; COMPUTE_PGM_RSRC3_GFX90A:ACCUM_OFFSET: 12
; COMPUTE_PGM_RSRC3_GFX90A:TG_SPLIT: 0
	.section	.text._ZN2at6native29vectorized_elementwise_kernelILi4EZZZNS0_12_GLOBAL__N_121bessel_y0_kernel_cudaERNS_18TensorIteratorBaseEENKUlvE_clEvENKUlvE0_clEvEUlfE_St5arrayIPcLm2EEEEviT0_T1_,"axG",@progbits,_ZN2at6native29vectorized_elementwise_kernelILi4EZZZNS0_12_GLOBAL__N_121bessel_y0_kernel_cudaERNS_18TensorIteratorBaseEENKUlvE_clEvENKUlvE0_clEvEUlfE_St5arrayIPcLm2EEEEviT0_T1_,comdat
	.globl	_ZN2at6native29vectorized_elementwise_kernelILi4EZZZNS0_12_GLOBAL__N_121bessel_y0_kernel_cudaERNS_18TensorIteratorBaseEENKUlvE_clEvENKUlvE0_clEvEUlfE_St5arrayIPcLm2EEEEviT0_T1_ ; -- Begin function _ZN2at6native29vectorized_elementwise_kernelILi4EZZZNS0_12_GLOBAL__N_121bessel_y0_kernel_cudaERNS_18TensorIteratorBaseEENKUlvE_clEvENKUlvE0_clEvEUlfE_St5arrayIPcLm2EEEEviT0_T1_
	.p2align	8
	.type	_ZN2at6native29vectorized_elementwise_kernelILi4EZZZNS0_12_GLOBAL__N_121bessel_y0_kernel_cudaERNS_18TensorIteratorBaseEENKUlvE_clEvENKUlvE0_clEvEUlfE_St5arrayIPcLm2EEEEviT0_T1_,@function
_ZN2at6native29vectorized_elementwise_kernelILi4EZZZNS0_12_GLOBAL__N_121bessel_y0_kernel_cudaERNS_18TensorIteratorBaseEENKUlvE_clEvENKUlvE0_clEvEUlfE_St5arrayIPcLm2EEEEviT0_T1_: ; @_ZN2at6native29vectorized_elementwise_kernelILi4EZZZNS0_12_GLOBAL__N_121bessel_y0_kernel_cudaERNS_18TensorIteratorBaseEENKUlvE_clEvENKUlvE0_clEvEUlfE_St5arrayIPcLm2EEEEviT0_T1_
; %bb.0:
	s_mov_b32 s14, s2
	s_load_dword s2, s[0:1], 0x0
	s_load_dwordx4 s[16:19], s[0:1], 0x8
	s_lshl_b32 s0, s14, 12
	v_mov_b32_e32 v40, v0
	s_mov_b32 s32, 0
	s_waitcnt lgkmcnt(0)
	s_sub_i32 s15, s2, s0
	s_cmpk_gt_i32 s15, 0xfff
	s_mov_b64 s[0:1], -1
	s_cbranch_scc1 .LBB17_3
; %bb.1:
	s_andn2_b64 vcc, exec, s[0:1]
	s_cbranch_vccz .LBB17_4
.LBB17_2:
	s_endpgm
.LBB17_3:
	s_mov_b32 s12, s14
	v_mov_b32_e32 v31, v40
	v_mov_b32_e32 v0, s16
	;; [unrolled: 1-line block ×5, first 2 shown]
	s_getpc_b64 s[0:1]
	s_add_u32 s0, s0, _ZN2at6native25elementwise_kernel_helperILb0EZZZNS0_12_GLOBAL__N_121bessel_y0_kernel_cudaERNS_18TensorIteratorBaseEENKUlvE_clEvENKUlvE0_clEvEUlfE_NS0_6memory8policies10vectorizedILi4ESt5arrayIPcLm2EELi16EEEEEvT0_T1_@rel32@lo+4
	s_addc_u32 s1, s1, _ZN2at6native25elementwise_kernel_helperILb0EZZZNS0_12_GLOBAL__N_121bessel_y0_kernel_cudaERNS_18TensorIteratorBaseEENKUlvE_clEvENKUlvE0_clEvEUlfE_NS0_6memory8policies10vectorizedILi4ESt5arrayIPcLm2EELi16EEEEEvT0_T1_@rel32@hi+12
	s_swappc_b64 s[30:31], s[0:1]
	s_cbranch_execnz .LBB17_2
.LBB17_4:
	s_mov_b32 s12, s14
	v_mov_b32_e32 v31, v40
	v_mov_b32_e32 v0, s16
	;; [unrolled: 1-line block ×6, first 2 shown]
	s_getpc_b64 s[0:1]
	s_add_u32 s0, s0, _ZN2at6native25elementwise_kernel_helperILb0EZZZNS0_12_GLOBAL__N_121bessel_y0_kernel_cudaERNS_18TensorIteratorBaseEENKUlvE_clEvENKUlvE0_clEvEUlfE_NS0_6memory8policies11unroll_baseILi256ESt5arrayIPcLm2EE23TrivialOffsetCalculatorILi1EjESF_NS8_15LoadWithoutCastENS8_16StoreWithoutCastELi16ELi1EEEEEvT0_T1_@rel32@lo+4
	s_addc_u32 s1, s1, _ZN2at6native25elementwise_kernel_helperILb0EZZZNS0_12_GLOBAL__N_121bessel_y0_kernel_cudaERNS_18TensorIteratorBaseEENKUlvE_clEvENKUlvE0_clEvEUlfE_NS0_6memory8policies11unroll_baseILi256ESt5arrayIPcLm2EE23TrivialOffsetCalculatorILi1EjESF_NS8_15LoadWithoutCastENS8_16StoreWithoutCastELi16ELi1EEEEEvT0_T1_@rel32@hi+12
	s_swappc_b64 s[30:31], s[0:1]
	s_endpgm
	.section	.rodata,"a",@progbits
	.p2align	6, 0x0
	.amdhsa_kernel _ZN2at6native29vectorized_elementwise_kernelILi4EZZZNS0_12_GLOBAL__N_121bessel_y0_kernel_cudaERNS_18TensorIteratorBaseEENKUlvE_clEvENKUlvE0_clEvEUlfE_St5arrayIPcLm2EEEEviT0_T1_
		.amdhsa_group_segment_fixed_size 0
		.amdhsa_private_segment_fixed_size 0
		.amdhsa_kernarg_size 24
		.amdhsa_user_sgpr_count 2
		.amdhsa_user_sgpr_dispatch_ptr 0
		.amdhsa_user_sgpr_queue_ptr 0
		.amdhsa_user_sgpr_kernarg_segment_ptr 1
		.amdhsa_user_sgpr_dispatch_id 0
		.amdhsa_user_sgpr_kernarg_preload_length 0
		.amdhsa_user_sgpr_kernarg_preload_offset 0
		.amdhsa_user_sgpr_private_segment_size 0
		.amdhsa_uses_dynamic_stack 0
		.amdhsa_enable_private_segment 0
		.amdhsa_system_sgpr_workgroup_id_x 1
		.amdhsa_system_sgpr_workgroup_id_y 0
		.amdhsa_system_sgpr_workgroup_id_z 0
		.amdhsa_system_sgpr_workgroup_info 0
		.amdhsa_system_vgpr_workitem_id 0
		.amdhsa_next_free_vgpr 50
		.amdhsa_next_free_sgpr 33
		.amdhsa_accum_offset 52
		.amdhsa_reserve_vcc 1
		.amdhsa_float_round_mode_32 0
		.amdhsa_float_round_mode_16_64 0
		.amdhsa_float_denorm_mode_32 3
		.amdhsa_float_denorm_mode_16_64 3
		.amdhsa_dx10_clamp 1
		.amdhsa_ieee_mode 1
		.amdhsa_fp16_overflow 0
		.amdhsa_tg_split 0
		.amdhsa_exception_fp_ieee_invalid_op 0
		.amdhsa_exception_fp_denorm_src 0
		.amdhsa_exception_fp_ieee_div_zero 0
		.amdhsa_exception_fp_ieee_overflow 0
		.amdhsa_exception_fp_ieee_underflow 0
		.amdhsa_exception_fp_ieee_inexact 0
		.amdhsa_exception_int_div_zero 0
	.end_amdhsa_kernel
	.section	.text._ZN2at6native29vectorized_elementwise_kernelILi4EZZZNS0_12_GLOBAL__N_121bessel_y0_kernel_cudaERNS_18TensorIteratorBaseEENKUlvE_clEvENKUlvE0_clEvEUlfE_St5arrayIPcLm2EEEEviT0_T1_,"axG",@progbits,_ZN2at6native29vectorized_elementwise_kernelILi4EZZZNS0_12_GLOBAL__N_121bessel_y0_kernel_cudaERNS_18TensorIteratorBaseEENKUlvE_clEvENKUlvE0_clEvEUlfE_St5arrayIPcLm2EEEEviT0_T1_,comdat
.Lfunc_end17:
	.size	_ZN2at6native29vectorized_elementwise_kernelILi4EZZZNS0_12_GLOBAL__N_121bessel_y0_kernel_cudaERNS_18TensorIteratorBaseEENKUlvE_clEvENKUlvE0_clEvEUlfE_St5arrayIPcLm2EEEEviT0_T1_, .Lfunc_end17-_ZN2at6native29vectorized_elementwise_kernelILi4EZZZNS0_12_GLOBAL__N_121bessel_y0_kernel_cudaERNS_18TensorIteratorBaseEENKUlvE_clEvENKUlvE0_clEvEUlfE_St5arrayIPcLm2EEEEviT0_T1_
                                        ; -- End function
	.section	.AMDGPU.csdata,"",@progbits
; Kernel info:
; codeLenInByte = 172
; NumSgprs: 39
; NumVgprs: 50
; NumAgprs: 0
; TotalNumVgprs: 50
; ScratchSize: 0
; MemoryBound: 0
; FloatMode: 240
; IeeeMode: 1
; LDSByteSize: 0 bytes/workgroup (compile time only)
; SGPRBlocks: 4
; VGPRBlocks: 6
; NumSGPRsForWavesPerEU: 39
; NumVGPRsForWavesPerEU: 50
; AccumOffset: 52
; Occupancy: 8
; WaveLimiterHint : 1
; COMPUTE_PGM_RSRC2:SCRATCH_EN: 0
; COMPUTE_PGM_RSRC2:USER_SGPR: 2
; COMPUTE_PGM_RSRC2:TRAP_HANDLER: 0
; COMPUTE_PGM_RSRC2:TGID_X_EN: 1
; COMPUTE_PGM_RSRC2:TGID_Y_EN: 0
; COMPUTE_PGM_RSRC2:TGID_Z_EN: 0
; COMPUTE_PGM_RSRC2:TIDIG_COMP_CNT: 0
; COMPUTE_PGM_RSRC3_GFX90A:ACCUM_OFFSET: 12
; COMPUTE_PGM_RSRC3_GFX90A:TG_SPLIT: 0
	.text
	.p2align	2                               ; -- Begin function _ZN2at6native25elementwise_kernel_helperILb0EZZZNS0_12_GLOBAL__N_121bessel_y0_kernel_cudaERNS_18TensorIteratorBaseEENKUlvE_clEvENKUlvE0_clEvEUlfE_NS0_6memory8policies10vectorizedILi2ESt5arrayIPcLm2EELi16EEEEEvT0_T1_
	.type	_ZN2at6native25elementwise_kernel_helperILb0EZZZNS0_12_GLOBAL__N_121bessel_y0_kernel_cudaERNS_18TensorIteratorBaseEENKUlvE_clEvENKUlvE0_clEvEUlfE_NS0_6memory8policies10vectorizedILi2ESt5arrayIPcLm2EELi16EEEEEvT0_T1_,@function
_ZN2at6native25elementwise_kernel_helperILb0EZZZNS0_12_GLOBAL__N_121bessel_y0_kernel_cudaERNS_18TensorIteratorBaseEENKUlvE_clEvENKUlvE0_clEvEUlfE_NS0_6memory8policies10vectorizedILi2ESt5arrayIPcLm2EELi16EEEEEvT0_T1_: ; @_ZN2at6native25elementwise_kernel_helperILb0EZZZNS0_12_GLOBAL__N_121bessel_y0_kernel_cudaERNS_18TensorIteratorBaseEENKUlvE_clEvENKUlvE0_clEvEUlfE_NS0_6memory8policies10vectorizedILi2ESt5arrayIPcLm2EELi16EEEEEvT0_T1_
; %bb.0:
	s_waitcnt vmcnt(0) expcnt(0) lgkmcnt(0)
	s_lshl_b32 s6, s12, 12
	s_ashr_i32 s7, s6, 31
	v_and_b32_e32 v10, 0x3ff, v31
	v_lshl_add_u64 v[6:7], s[6:7], 2, v[2:3]
	v_mov_b32_e32 v3, 0
	v_lshlrev_b32_e32 v2, 3, v10
	v_lshl_add_u64 v[8:9], v[6:7], 0, v[2:3]
	s_movk_i32 s0, 0x1000
	v_add_co_u32_e32 v4, vcc, s0, v8
	s_mov_b32 s0, 0x40a00000
	s_nop 0
	v_addc_co_u32_e32 v5, vcc, 0, v9, vcc
	flat_load_dwordx2 v[12:13], v[8:9] nt
	flat_load_dwordx2 v[16:17], v[8:9] offset:2048 nt
	flat_load_dwordx2 v[20:21], v[4:5] nt
	flat_load_dwordx2 v[22:23], v[4:5] offset:2048 nt
	v_or_b32_e32 v4, 0x400, v10
	v_add_co_u32_e32 v26, vcc, 0x2000, v8
	v_lshlrev_b32_e32 v4, 3, v4
	v_mov_b32_e32 v5, v3
	v_addc_co_u32_e32 v27, vcc, 0, v9, vcc
	v_lshl_add_u64 v[24:25], v[6:7], 0, v[4:5]
	v_add_co_u32_e32 v8, vcc, 0x3000, v8
	s_nop 1
	v_addc_co_u32_e32 v9, vcc, 0, v9, vcc
	flat_load_dwordx2 v[18:19], v[24:25] nt
	flat_load_dwordx2 v[14:15], v[26:27] offset:2048 nt
	flat_load_dwordx2 v[10:11], v[8:9] nt
	flat_load_dwordx2 v[6:7], v[8:9] offset:2048 nt
                                        ; implicit-def: $vgpr8
	s_waitcnt vmcnt(0) lgkmcnt(0)
	v_cmp_ge_f32_e32 vcc, s0, v12
	s_and_saveexec_b64 s[0:1], vcc
	s_xor_b64 s[2:3], exec, s[0:1]
	s_cbranch_execz .LBB18_10
; %bb.1:
	v_cmp_neq_f32_e32 vcc, 0, v12
	v_mov_b32_e32 v8, 0xff800000
	s_and_saveexec_b64 s[4:5], vcc
	s_cbranch_execz .LBB18_9
; %bb.2:
	v_cmp_ngt_f32_e32 vcc, 0, v12
	v_mov_b32_e32 v8, 0x7fc00000
	s_and_saveexec_b64 s[8:9], vcc
	s_cbranch_execz .LBB18_8
; %bb.3:
	v_mul_f32_e32 v8, v12, v12
	s_mov_b32 s0, 0x3727c5ac
	v_mul_f32_e32 v24, 0, v8
	v_cmp_ngt_f32_e32 vcc, s0, v12
                                        ; implicit-def: $vgpr3
	s_and_saveexec_b64 s[0:1], vcc
	s_xor_b64 s[0:1], exec, s[0:1]
	s_cbranch_execz .LBB18_5
; %bb.4:
	v_add_f32_e32 v3, 0x43f9c815, v24
	v_fmaak_f32 v3, v8, v3, 0x4829b65a
	v_fmaak_f32 v3, v8, v3, 0x4c38c9a1
	;; [unrolled: 1-line block ×3, first 2 shown]
	s_mov_b32 s10, 0xcf8ee29d
	v_mul_f32_e32 v25, v8, v3
	s_mov_b32 s11, 0x53f5f59c
	v_pk_add_f32 v[26:27], v[24:25], s[10:11]
	s_mov_b32 s10, 0x53e3ba8e
	s_mov_b32 s11, 0x578d3514
	v_pk_fma_f32 v[26:27], v[8:9], v[26:27], s[10:11] op_sel_hi:[0,1,1]
	s_mov_b32 s10, 0xd762b0a7
	s_mov_b32 s11, 0x5ae20a0c
	v_pk_fma_f32 v[26:27], v[8:9], v[26:27], s[10:11] op_sel_hi:[0,1,1]
	;; [unrolled: 3-line block ×3, first 2 shown]
	s_mov_b32 s10, 0xc0b90fdc
	s_mov_b32 s11, 0xc1f3c525
	v_pk_add_f32 v[28:29], v[8:9], s[10:11] op_sel_hi:[0,1]
	v_mul_f32_e32 v3, v28, v29
	v_mul_f32_e32 v3, v3, v26
	v_div_scale_f32 v5, s[10:11], v27, v27, v3
	v_rcp_f32_e32 v9, v5
	s_nop 0
	v_fma_f32 v25, -v5, v9, 1.0
	v_fmac_f32_e32 v9, v25, v9
	v_div_scale_f32 v25, vcc, v3, v27, v3
	v_mul_f32_e32 v26, v25, v9
	v_fma_f32 v28, -v5, v26, v25
	v_fmac_f32_e32 v26, v28, v9
	v_fma_f32 v5, -v5, v26, v25
	v_div_fmas_f32 v5, v5, v9, v26
	v_div_fixup_f32 v3, v5, v27, v3
.LBB18_5:
	s_andn2_saveexec_b64 s[0:1], s[0:1]
; %bb.6:
	v_mov_b32_e32 v3, 1.0
	v_fmamk_f32 v3, v8, 0xbe800000, v3
; %bb.7:
	s_or_b64 exec, exec, s[0:1]
	v_add_f32_e32 v5, 0x4673a1bf, v24
	v_fmaak_f32 v5, v8, v5, 0xcb5fc0fa
	v_add_f32_e32 v9, 0x44822913, v24
	v_fmaak_f32 v5, v8, v5, 0x4fa1fbc8
	v_fmaak_f32 v9, v8, v9, 0x4918dbb5
	;; [unrolled: 1-line block ×12, first 2 shown]
	v_div_scale_f32 v8, s[0:1], v9, v9, v5
	v_rcp_f32_e32 v24, v8
	s_mov_b32 s0, 0x800000
	v_cmp_gt_f32_e64 s[0:1], s0, v12
	s_mov_b32 s10, 0x3f317217
	v_fma_f32 v25, -v8, v24, 1.0
	v_fmac_f32_e32 v24, v25, v24
	v_div_scale_f32 v25, vcc, v5, v9, v5
	v_mul_f32_e32 v26, v25, v24
	v_fma_f32 v27, -v8, v26, v25
	v_fmac_f32_e32 v26, v27, v24
	v_fma_f32 v8, -v8, v26, v25
	v_mov_b32_e32 v25, 0x4f800000
	v_cndmask_b32_e64 v25, 1.0, v25, s[0:1]
	v_mul_f32_e32 v25, v12, v25
	v_log_f32_e32 v25, v25
	v_div_fmas_f32 v8, v8, v24, v26
	v_div_fixup_f32 v8, v8, v9, v5
	v_mul_f32_e32 v5, 0x3f317217, v25
	v_fma_f32 v9, v25, s10, -v5
	v_fmamk_f32 v9, v25, 0x3377d1cf, v9
	s_mov_b32 s10, 0x7f800000
	v_add_f32_e32 v5, v5, v9
	v_cmp_lt_f32_e64 vcc, |v25|, s10
	v_mov_b32_e32 v9, 0x41b17218
	v_cndmask_b32_e64 v9, 0, v9, s[0:1]
	v_cndmask_b32_e32 v5, v25, v5, vcc
	v_sub_f32_e32 v5, v5, v9
	v_mul_f32_e32 v5, 0x3f22f983, v5
	v_fmac_f32_e32 v8, v5, v3
.LBB18_8:
	s_or_b64 exec, exec, s[8:9]
.LBB18_9:
	s_or_b64 exec, exec, s[4:5]
.LBB18_10:
	s_andn2_saveexec_b64 s[8:9], s[2:3]
	s_cbranch_execz .LBB18_20
; %bb.11:
	v_add_f32_e32 v3, 0xbf490fdb, v12
	v_and_b32_e32 v5, 0x7fffffff, v3
	s_brev_b32 s0, 18
	v_cmp_nlt_f32_e64 s[10:11], |v3|, s0
	v_lshrrev_b32_e32 v26, 23, v5
                                        ; implicit-def: $vgpr8
                                        ; implicit-def: $vgpr9
	s_and_saveexec_b64 s[0:1], s[10:11]
	s_xor_b64 s[12:13], exec, s[0:1]
	s_cbranch_execz .LBB18_13
; %bb.12:
	v_add_u32_e32 v8, 0xffffff88, v26
	v_not_b32_e32 v24, 63
	v_cmp_lt_u32_e32 vcc, 63, v8
	s_mov_b32 s4, 0xfe5163ab
	v_mov_b32_e32 v9, 0
	v_cndmask_b32_e32 v24, 0, v24, vcc
	v_add_u32_e32 v8, v24, v8
	v_not_b32_e32 v24, 31
	v_cmp_lt_u32_e64 s[0:1], 31, v8
	s_nop 1
	v_cndmask_b32_e64 v25, 0, v24, s[0:1]
	v_add_u32_e32 v8, v25, v8
	v_cmp_lt_u32_e64 s[2:3], 31, v8
	s_nop 1
	v_cndmask_b32_e64 v24, 0, v24, s[2:3]
	v_add_u32_e32 v27, v24, v8
	v_and_b32_e32 v8, 0x7fffff, v5
	v_or_b32_e32 v38, 0x800000, v8
	v_mad_u64_u32 v[24:25], s[4:5], v38, s4, 0
	v_mov_b32_e32 v8, v25
	s_mov_b32 s4, 0x3c439041
	v_mad_u64_u32 v[28:29], s[4:5], v38, s4, v[8:9]
	v_mov_b32_e32 v8, v29
	s_mov_b32 s4, 0xdb629599
	;; [unrolled: 3-line block ×6, first 2 shown]
	v_mad_u64_u32 v[8:9], s[4:5], v38, s4, v[8:9]
	v_cndmask_b32_e32 v25, v36, v32, vcc
	v_cndmask_b32_e32 v8, v8, v34, vcc
	;; [unrolled: 1-line block ×3, first 2 shown]
	v_cndmask_b32_e64 v29, v8, v25, s[0:1]
	v_cndmask_b32_e64 v8, v9, v8, s[0:1]
	v_cndmask_b32_e32 v9, v34, v30, vcc
	v_cndmask_b32_e64 v25, v25, v9, s[0:1]
	v_sub_u32_e32 v31, 32, v27
	v_cmp_eq_u32_e64 s[4:5], 0, v27
	v_cndmask_b32_e32 v27, v32, v28, vcc
	v_cndmask_b32_e64 v8, v8, v29, s[2:3]
	v_cndmask_b32_e64 v29, v29, v25, s[2:3]
	;; [unrolled: 1-line block ×3, first 2 shown]
	v_alignbit_b32 v33, v8, v29, v31
	v_cndmask_b32_e64 v25, v25, v9, s[2:3]
	v_cndmask_b32_e64 v8, v33, v8, s[4:5]
	v_alignbit_b32 v28, v29, v25, v31
	v_cndmask_b32_e64 v28, v28, v29, s[4:5]
	v_bfe_u32 v33, v8, 29, 1
	v_cndmask_b32_e32 v24, v30, v24, vcc
	v_alignbit_b32 v29, v8, v28, 30
	v_sub_u32_e32 v34, 0, v33
	v_cndmask_b32_e64 v24, v27, v24, s[0:1]
	v_xor_b32_e32 v35, v29, v34
	v_cndmask_b32_e64 v9, v9, v24, s[2:3]
	v_alignbit_b32 v24, v25, v9, v31
	v_ffbh_u32_e32 v27, v35
	v_cndmask_b32_e64 v24, v24, v25, s[4:5]
	v_add_u32_e32 v27, 1, v27
	v_cmp_ne_u32_e32 vcc, v29, v34
	v_alignbit_b32 v25, v28, v24, 30
	v_alignbit_b32 v9, v24, v9, 30
	v_cndmask_b32_e32 v27, 33, v27, vcc
	v_xor_b32_e32 v25, v25, v34
	v_sub_u32_e32 v28, 32, v27
	v_xor_b32_e32 v9, v9, v34
	v_alignbit_b32 v29, v35, v25, v28
	v_alignbit_b32 v9, v25, v9, v28
	;; [unrolled: 1-line block ×3, first 2 shown]
	v_ffbh_u32_e32 v25, v24
	v_min_u32_e32 v25, 32, v25
	v_lshrrev_b32_e32 v32, 29, v8
	v_sub_u32_e32 v28, 31, v25
	v_alignbit_b32 v9, v24, v9, v28
	v_lshlrev_b32_e32 v24, 31, v32
	v_or_b32_e32 v28, 0x33800000, v24
	v_add_lshl_u32 v25, v25, v27, 23
	v_lshrrev_b32_e32 v9, 9, v9
	v_sub_u32_e32 v25, v28, v25
	v_or_b32_e32 v9, v25, v9
	v_alignbit_b32 v25, v27, v29, 9
	v_or_b32_e32 v24, v25, v24
	v_xor_b32_e32 v24, 1.0, v24
	s_mov_b32 s0, 0x3fc90fda
	v_mul_f32_e32 v25, 0x3fc90fda, v24
	v_fma_f32 v27, v24, s0, -v25
	v_fmamk_f32 v24, v24, 0x33a22168, v27
	v_fmac_f32_e32 v24, 0x3fc90fda, v9
	v_lshrrev_b32_e32 v8, 30, v8
	v_add_f32_e32 v9, v25, v24
	v_add_u32_e32 v8, v33, v8
	s_andn2_saveexec_b64 s[0:1], s[12:13]
	s_branch .LBB18_14
.LBB18_13:
	s_andn2_saveexec_b64 s[0:1], s[12:13]
.LBB18_14:
	s_mov_b32 s2, 0x3f22f983
	v_mul_f32_e64 v8, |v3|, s2
	v_rndne_f32_e32 v9, v8
	s_mov_b32 s2, 0xbfc90fda
	v_cvt_i32_f32_e32 v8, v9
	v_fma_f32 v24, v9, s2, |v3|
	v_fmamk_f32 v24, v9, 0xb3a22168, v24
	v_fmamk_f32 v9, v9, 0xa7c234c4, v24
; %bb.15:
	s_or_b64 exec, exec, s[0:1]
                                        ; implicit-def: $vgpr24
                                        ; implicit-def: $vgpr25
	s_and_saveexec_b64 s[0:1], s[10:11]
	s_xor_b64 s[10:11], exec, s[0:1]
	s_cbranch_execz .LBB18_17
; %bb.16:
	v_add_u32_e32 v24, 0xffffff88, v26
	v_not_b32_e32 v26, 63
	v_cmp_lt_u32_e32 vcc, 63, v24
	s_mov_b32 s4, 0xfe5163ab
	v_mov_b32_e32 v25, 0
	v_cndmask_b32_e32 v26, 0, v26, vcc
	v_add_u32_e32 v24, v26, v24
	v_not_b32_e32 v26, 31
	v_cmp_lt_u32_e64 s[0:1], 31, v24
	s_nop 1
	v_cndmask_b32_e64 v27, 0, v26, s[0:1]
	v_add_u32_e32 v24, v27, v24
	v_cmp_lt_u32_e64 s[2:3], 31, v24
	s_nop 1
	v_cndmask_b32_e64 v26, 0, v26, s[2:3]
	v_add_u32_e32 v38, v26, v24
	v_and_b32_e32 v24, 0x7fffff, v5
	v_or_b32_e32 v39, 0x800000, v24
	v_mad_u64_u32 v[26:27], s[4:5], v39, s4, 0
	v_mov_b32_e32 v24, v27
	s_mov_b32 s4, 0x3c439041
	v_mad_u64_u32 v[28:29], s[4:5], v39, s4, v[24:25]
	v_mov_b32_e32 v24, v29
	s_mov_b32 s4, 0xdb629599
	;; [unrolled: 3-line block ×6, first 2 shown]
	v_mad_u64_u32 v[24:25], s[4:5], v39, s4, v[24:25]
	v_cndmask_b32_e32 v27, v36, v32, vcc
	v_cndmask_b32_e32 v24, v24, v34, vcc
	;; [unrolled: 1-line block ×3, first 2 shown]
	v_cndmask_b32_e64 v29, v24, v27, s[0:1]
	v_cndmask_b32_e64 v24, v25, v24, s[0:1]
	v_cndmask_b32_e32 v25, v34, v30, vcc
	v_cndmask_b32_e64 v27, v27, v25, s[0:1]
	v_cndmask_b32_e32 v28, v32, v28, vcc
	v_cndmask_b32_e64 v24, v24, v29, s[2:3]
	v_cndmask_b32_e64 v29, v29, v27, s[2:3]
	v_sub_u32_e32 v31, 32, v38
	v_cndmask_b32_e64 v25, v25, v28, s[0:1]
	v_alignbit_b32 v33, v24, v29, v31
	v_cmp_eq_u32_e64 s[4:5], 0, v38
	v_cndmask_b32_e64 v27, v27, v25, s[2:3]
	v_alignbit_b32 v32, v29, v27, v31
	v_cndmask_b32_e64 v24, v33, v24, s[4:5]
	v_cndmask_b32_e64 v29, v32, v29, s[4:5]
	v_bfe_u32 v34, v24, 29, 1
	v_cndmask_b32_e32 v26, v30, v26, vcc
	v_alignbit_b32 v32, v24, v29, 30
	v_sub_u32_e32 v35, 0, v34
	v_cndmask_b32_e64 v26, v28, v26, s[0:1]
	v_xor_b32_e32 v36, v32, v35
	v_cndmask_b32_e64 v25, v25, v26, s[2:3]
	v_alignbit_b32 v26, v27, v25, v31
	v_ffbh_u32_e32 v28, v36
	v_cndmask_b32_e64 v26, v26, v27, s[4:5]
	v_add_u32_e32 v28, 1, v28
	v_cmp_ne_u32_e32 vcc, v32, v35
	v_alignbit_b32 v27, v29, v26, 30
	v_alignbit_b32 v25, v26, v25, 30
	v_cndmask_b32_e32 v28, 33, v28, vcc
	v_xor_b32_e32 v27, v27, v35
	v_sub_u32_e32 v29, 32, v28
	v_xor_b32_e32 v25, v25, v35
	v_alignbit_b32 v30, v36, v27, v29
	v_alignbit_b32 v25, v27, v25, v29
	;; [unrolled: 1-line block ×3, first 2 shown]
	v_ffbh_u32_e32 v27, v26
	v_min_u32_e32 v27, 32, v27
	v_lshrrev_b32_e32 v33, 29, v24
	v_sub_u32_e32 v29, 31, v27
	v_alignbit_b32 v25, v26, v25, v29
	v_lshlrev_b32_e32 v26, 31, v33
	v_or_b32_e32 v29, 0x33800000, v26
	v_add_lshl_u32 v27, v27, v28, 23
	v_lshrrev_b32_e32 v25, 9, v25
	v_sub_u32_e32 v27, v29, v27
	v_or_b32_e32 v25, v27, v25
	v_alignbit_b32 v27, v28, v30, 9
	v_or_b32_e32 v26, v27, v26
	v_xor_b32_e32 v26, 1.0, v26
	s_mov_b32 s0, 0x3fc90fda
	v_mul_f32_e32 v27, 0x3fc90fda, v26
	v_fma_f32 v28, v26, s0, -v27
	v_fmamk_f32 v26, v26, 0x33a22168, v28
	v_fmac_f32_e32 v26, 0x3fc90fda, v25
	v_lshrrev_b32_e32 v24, 30, v24
	v_add_f32_e32 v25, v27, v26
	v_add_u32_e32 v24, v34, v24
	s_andn2_saveexec_b64 s[0:1], s[10:11]
	s_cbranch_execnz .LBB18_18
	s_branch .LBB18_19
.LBB18_17:
	s_andn2_saveexec_b64 s[0:1], s[10:11]
.LBB18_18:
	s_mov_b32 s2, 0x3f22f983
	v_mul_f32_e64 v24, |v3|, s2
	v_rndne_f32_e32 v25, v24
	s_mov_b32 s2, 0xbfc90fda
	v_cvt_i32_f32_e32 v24, v25
	v_fma_f32 v26, v25, s2, |v3|
	v_fmamk_f32 v26, v25, 0xb3a22168, v26
	v_fmamk_f32 v25, v25, 0xa7c234c4, v26
.LBB18_19:
	s_or_b64 exec, exec, s[0:1]
	v_mul_f32_e32 v26, v12, v12
	s_mov_b32 s2, 0x41c80000
	v_div_scale_f32 v27, s[0:1], v26, v26, s2
	v_rcp_f32_e32 v28, v27
	v_xor_b32_e32 v5, v5, v3
	s_mov_b32 s4, 0x40a00000
	v_mov_b32_e32 v35, 0xbf000004
	v_fma_f32 v29, -v27, v28, 1.0
	v_fmac_f32_e32 v28, v29, v28
	v_div_scale_f32 v29, vcc, s2, v26, s2
	v_mul_f32_e32 v30, v29, v28
	v_fma_f32 v31, -v27, v30, v29
	v_fmac_f32_e32 v30, v31, v28
	v_fma_f32 v27, -v27, v30, v29
	v_div_fmas_f32 v27, v27, v28, v30
	v_div_fixup_f32 v26, v27, v26, s2
	v_mov_b32_e32 v27, 0x3a50e985
	v_mov_b32_e32 v28, 0x3a725406
	v_fmac_f32_e32 v27, 0, v26
	v_fmac_f32_e32 v28, 0, v26
	v_fmaak_f32 v27, v26, v27, 0x3da9a586
	v_fmaak_f32 v28, v26, v28, 0x3daf5e2d
	;; [unrolled: 1-line block ×8, first 2 shown]
	v_mov_b32_e32 v29, 0xbc3a3a12
	v_fmaak_f32 v27, v26, v27, 0x40a9b425
	v_fmaak_f32 v28, v26, v28, 0x40a9cb2f
	v_fmac_f32_e32 v29, 0, v26
	v_mov_b32_e32 v30, 0x4280a2ba
	v_fma_f32 v28, v26, v28, 1.0
	v_fmaak_f32 v29, v26, v29, 0xbfa429da
	v_fmac_f32_e32 v30, 0, v26
	v_fma_f32 v27, v26, v27, 1.0
	v_fmaak_f32 v29, v26, v29, 0xc19c6e80
	v_fmaak_f32 v30, v26, v30, 0x44561b86
	v_div_scale_f32 v31, s[0:1], v28, v28, v27
	v_fmaak_f32 v29, v26, v29, 0xc2ba697b
	v_fmaak_f32 v30, v26, v30, 0x4572a66e
	v_rcp_f32_e32 v32, v31
	v_fmaak_f32 v29, v26, v29, 0xc331ae61
	v_fmaak_f32 v30, v26, v30, 0x45e243be
	;; [unrolled: 1-line block ×8, first 2 shown]
	v_fma_f32 v30, -v31, v32, 1.0
	v_fmac_f32_e32 v32, v30, v32
	v_div_scale_f32 v30, vcc, v27, v28, v27
	v_mul_f32_e32 v33, v30, v32
	v_fma_f32 v34, -v31, v33, v30
	v_fmac_f32_e32 v33, v34, v32
	v_fma_f32 v30, -v31, v33, v30
	v_div_fmas_f32 v30, v30, v32, v33
	v_div_fixup_f32 v27, v30, v28, v27
	v_mul_f32_e32 v28, v9, v9
	v_mov_b32_e32 v30, 0x3c0881c4
	v_fmamk_f32 v31, v28, 0xb94c1982, v30
	v_fmaak_f32 v31, v28, v31, 0xbe2aaa9d
	v_mul_f32_e32 v31, v28, v31
	v_fmac_f32_e32 v9, v9, v31
	v_mov_b32_e32 v31, 0xbab64f3b
	v_fmamk_f32 v33, v28, 0x37d75334, v31
	v_fmaak_f32 v33, v28, v33, 0x3d2aabf7
	v_fmaak_f32 v33, v28, v33, 0xbf000004
	v_fma_f32 v28, v28, v33, 1.0
	v_and_b32_e32 v33, 1, v8
	v_lshlrev_b32_e32 v8, 30, v8
	v_cmp_eq_u32_e32 vcc, 0, v33
	v_and_b32_e32 v8, 0x80000000, v8
	v_xor_b32_e32 v5, v5, v8
	v_cndmask_b32_e32 v9, v28, v9, vcc
	v_div_scale_f32 v8, s[0:1], v12, v12, s4
	v_xor_b32_e32 v5, v5, v9
	v_rcp_f32_e32 v9, v8
	s_movk_i32 s2, 0x1f8
	v_mov_b32_e32 v28, 0x7fc00000
	v_cmp_class_f32_e64 s[0:1], v3, s2
	v_mov_b32_e32 v32, 0xbe2aaa9d
	v_mov_b32_e32 v34, 0x3d2aabf7
	v_cndmask_b32_e64 v3, v28, v5, s[0:1]
	v_fma_f32 v5, -v8, v9, 1.0
	v_fmac_f32_e32 v9, v5, v9
	v_div_scale_f32 v5, vcc, s4, v12, s4
	v_mul_f32_e32 v33, v5, v9
	v_fma_f32 v36, -v8, v33, v5
	v_fmac_f32_e32 v33, v36, v9
	v_fma_f32 v5, -v8, v33, v5
	v_div_scale_f32 v8, s[2:3], v26, v26, v29
	v_rcp_f32_e32 v36, v8
	v_div_fmas_f32 v5, v5, v9, v33
	v_div_fixup_f32 v5, v5, v12, s4
	v_fma_f32 v9, -v8, v36, 1.0
	v_fmac_f32_e32 v36, v9, v36
	v_div_scale_f32 v9, vcc, v29, v26, v29
	v_mul_f32_e32 v33, v9, v36
	v_fma_f32 v37, -v8, v33, v9
	v_fmac_f32_e32 v33, v37, v36
	v_fma_f32 v8, -v8, v33, v9
	v_div_fmas_f32 v8, v8, v36, v33
	v_div_fixup_f32 v8, v8, v26, v29
	v_mul_f32_e32 v5, v5, v8
	v_mul_f32_e32 v8, v25, v25
	v_fmac_f32_e32 v30, 0xb94c1982, v8
	v_fmac_f32_e32 v32, v8, v30
	;; [unrolled: 1-line block ×3, first 2 shown]
	v_mul_f32_e32 v9, v8, v32
	v_fmac_f32_e32 v34, v8, v31
	v_fmac_f32_e32 v25, v25, v9
	v_fmac_f32_e32 v35, v8, v34
	v_and_b32_e32 v9, 1, v24
	v_fma_f32 v8, v8, v35, 1.0
	v_cmp_eq_u32_e32 vcc, 0, v9
	v_lshlrev_b32_e32 v9, 30, v24
	v_and_b32_e32 v9, 0x80000000, v9
	v_cndmask_b32_e64 v8, -v25, v8, vcc
	v_xor_b32_e32 v8, v9, v8
	v_cndmask_b32_e64 v8, v28, v8, s[0:1]
	s_mov_b32 s0, 0xf800000
	v_mul_f32_e32 v9, 0x4f800000, v12
	v_cmp_gt_f32_e32 vcc, s0, v12
	v_mul_f32_e32 v5, v5, v8
	v_fmac_f32_e32 v5, v27, v3
	v_cndmask_b32_e32 v9, v12, v9, vcc
	v_sqrt_f32_e32 v12, v9
	v_mul_f32_e32 v3, 0x3f4c422a, v5
	v_add_u32_e32 v5, -1, v12
	v_fma_f32 v8, -v5, v12, v9
	v_cmp_ge_f32_e64 s[0:1], 0, v8
	v_add_u32_e32 v8, 1, v12
	s_nop 0
	v_cndmask_b32_e64 v5, v12, v5, s[0:1]
	v_fma_f32 v12, -v8, v12, v9
	v_cmp_lt_f32_e64 s[0:1], 0, v12
	s_nop 1
	v_cndmask_b32_e64 v5, v5, v8, s[0:1]
	v_mul_f32_e32 v8, 0x37800000, v5
	v_cndmask_b32_e32 v5, v5, v8, vcc
	v_mov_b32_e32 v8, 0x260
	v_cmp_class_f32_e32 vcc, v9, v8
	s_nop 1
	v_cndmask_b32_e32 v5, v5, v9, vcc
	v_div_scale_f32 v8, s[0:1], v5, v5, v3
	v_rcp_f32_e32 v9, v8
	s_nop 0
	v_fma_f32 v12, -v8, v9, 1.0
	v_fmac_f32_e32 v9, v12, v9
	v_div_scale_f32 v12, vcc, v3, v5, v3
	v_mul_f32_e32 v24, v12, v9
	v_fma_f32 v25, -v8, v24, v12
	v_fmac_f32_e32 v24, v25, v9
	v_fma_f32 v8, -v8, v24, v12
	v_div_fmas_f32 v8, v8, v9, v24
	v_div_fixup_f32 v8, v8, v5, v3
.LBB18_20:
	s_or_b64 exec, exec, s[8:9]
	s_mov_b32 s0, 0x40a00000
	v_cmp_ge_f32_e32 vcc, s0, v13
	s_and_saveexec_b64 s[0:1], vcc
	s_xor_b64 s[2:3], exec, s[0:1]
	s_cbranch_execz .LBB18_30
; %bb.21:
	v_cmp_neq_f32_e32 vcc, 0, v13
	v_mov_b32_e32 v9, 0xff800000
	s_and_saveexec_b64 s[4:5], vcc
	s_cbranch_execz .LBB18_29
; %bb.22:
	v_cmp_ngt_f32_e32 vcc, 0, v13
	v_mov_b32_e32 v9, 0x7fc00000
	s_and_saveexec_b64 s[8:9], vcc
	s_cbranch_execz .LBB18_28
; %bb.23:
	v_mul_f32_e32 v12, v13, v13
	s_mov_b32 s0, 0x3727c5ac
	v_mul_f32_e32 v24, 0, v12
	v_cmp_ngt_f32_e32 vcc, s0, v13
                                        ; implicit-def: $vgpr3
	s_and_saveexec_b64 s[0:1], vcc
	s_xor_b64 s[0:1], exec, s[0:1]
	s_cbranch_execz .LBB18_25
; %bb.24:
	v_add_f32_e32 v3, 0x43f9c815, v24
	v_fmaak_f32 v3, v12, v3, 0x4829b65a
	v_fmaak_f32 v3, v12, v3, 0x4c38c9a1
	;; [unrolled: 1-line block ×3, first 2 shown]
	s_mov_b32 s10, 0xcf8ee29d
	v_mul_f32_e32 v25, v12, v3
	s_mov_b32 s11, 0x53f5f59c
	v_pk_add_f32 v[26:27], v[24:25], s[10:11]
	s_mov_b32 s10, 0x53e3ba8e
	s_mov_b32 s11, 0x578d3514
	v_pk_fma_f32 v[26:27], v[12:13], v[26:27], s[10:11] op_sel_hi:[0,1,1]
	s_mov_b32 s10, 0xd762b0a7
	s_mov_b32 s11, 0x5ae20a0c
	v_pk_fma_f32 v[26:27], v[12:13], v[26:27], s[10:11] op_sel_hi:[0,1,1]
	;; [unrolled: 3-line block ×3, first 2 shown]
	s_mov_b32 s10, 0xc0b90fdc
	s_mov_b32 s11, 0xc1f3c525
	v_pk_add_f32 v[28:29], v[12:13], s[10:11] op_sel_hi:[0,1]
	v_mul_f32_e32 v3, v28, v29
	v_mul_f32_e32 v3, v3, v26
	v_div_scale_f32 v5, s[10:11], v27, v27, v3
	v_rcp_f32_e32 v9, v5
	s_nop 0
	v_fma_f32 v25, -v5, v9, 1.0
	v_fmac_f32_e32 v9, v25, v9
	v_div_scale_f32 v25, vcc, v3, v27, v3
	v_mul_f32_e32 v26, v25, v9
	v_fma_f32 v28, -v5, v26, v25
	v_fmac_f32_e32 v26, v28, v9
	v_fma_f32 v5, -v5, v26, v25
	v_div_fmas_f32 v5, v5, v9, v26
	v_div_fixup_f32 v3, v5, v27, v3
.LBB18_25:
	s_andn2_saveexec_b64 s[0:1], s[0:1]
; %bb.26:
	v_mov_b32_e32 v3, 1.0
	v_fmamk_f32 v3, v12, 0xbe800000, v3
; %bb.27:
	s_or_b64 exec, exec, s[0:1]
	v_add_f32_e32 v5, 0x4673a1bf, v24
	v_fmaak_f32 v5, v12, v5, 0xcb5fc0fa
	v_add_f32_e32 v9, 0x44822913, v24
	v_fmaak_f32 v5, v12, v5, 0x4fa1fbc8
	v_fmaak_f32 v9, v12, v9, 0x4918dbb5
	;; [unrolled: 1-line block ×12, first 2 shown]
	v_div_scale_f32 v12, s[0:1], v9, v9, v5
	v_rcp_f32_e32 v24, v12
	s_mov_b32 s0, 0x800000
	v_cmp_gt_f32_e64 s[0:1], s0, v13
	s_mov_b32 s10, 0x3f317217
	v_fma_f32 v25, -v12, v24, 1.0
	v_fmac_f32_e32 v24, v25, v24
	v_div_scale_f32 v25, vcc, v5, v9, v5
	v_mul_f32_e32 v26, v25, v24
	v_fma_f32 v27, -v12, v26, v25
	v_fmac_f32_e32 v26, v27, v24
	v_fma_f32 v12, -v12, v26, v25
	v_mov_b32_e32 v25, 0x4f800000
	v_cndmask_b32_e64 v25, 1.0, v25, s[0:1]
	v_mul_f32_e32 v13, v13, v25
	v_log_f32_e32 v13, v13
	v_div_fmas_f32 v12, v12, v24, v26
	v_div_fixup_f32 v9, v12, v9, v5
	v_mul_f32_e32 v5, 0x3f317217, v13
	v_fma_f32 v12, v13, s10, -v5
	v_fmamk_f32 v12, v13, 0x3377d1cf, v12
	s_mov_b32 s10, 0x7f800000
	v_add_f32_e32 v5, v5, v12
	v_cmp_lt_f32_e64 vcc, |v13|, s10
	v_mov_b32_e32 v12, 0x41b17218
	v_cndmask_b32_e64 v12, 0, v12, s[0:1]
	v_cndmask_b32_e32 v5, v13, v5, vcc
	v_sub_f32_e32 v5, v5, v12
	v_mul_f32_e32 v5, 0x3f22f983, v5
	v_fmac_f32_e32 v9, v5, v3
.LBB18_28:
	s_or_b64 exec, exec, s[8:9]
.LBB18_29:
	s_or_b64 exec, exec, s[4:5]
                                        ; implicit-def: $vgpr12_vgpr13
.LBB18_30:
	s_andn2_saveexec_b64 s[8:9], s[2:3]
	s_cbranch_execz .LBB18_40
; %bb.31:
	v_add_f32_e32 v3, 0xbf490fdb, v13
	v_and_b32_e32 v5, 0x7fffffff, v3
	s_brev_b32 s0, 18
	v_cmp_nlt_f32_e64 s[10:11], |v3|, s0
	v_lshrrev_b32_e32 v26, 23, v5
                                        ; implicit-def: $vgpr9
                                        ; implicit-def: $vgpr12
	s_and_saveexec_b64 s[0:1], s[10:11]
	s_xor_b64 s[12:13], exec, s[0:1]
	s_cbranch_execz .LBB18_33
; %bb.32:
	v_add_u32_e32 v9, 0xffffff88, v26
	v_not_b32_e32 v12, 63
	v_cmp_lt_u32_e32 vcc, 63, v9
	s_mov_b32 s4, 0xfe5163ab
	v_mov_b32_e32 v25, 0
	v_cndmask_b32_e32 v12, 0, v12, vcc
	v_add_u32_e32 v9, v12, v9
	v_not_b32_e32 v12, 31
	v_cmp_lt_u32_e64 s[0:1], 31, v9
	s_nop 1
	v_cndmask_b32_e64 v24, 0, v12, s[0:1]
	v_add_u32_e32 v9, v24, v9
	v_cmp_lt_u32_e64 s[2:3], 31, v9
	s_nop 1
	v_cndmask_b32_e64 v12, 0, v12, s[2:3]
	v_add_u32_e32 v9, v12, v9
	v_and_b32_e32 v12, 0x7fffff, v5
	v_or_b32_e32 v12, 0x800000, v12
	v_mad_u64_u32 v[28:29], s[4:5], v12, s4, 0
	v_mov_b32_e32 v24, v29
	s_mov_b32 s4, 0x3c439041
	v_mad_u64_u32 v[30:31], s[4:5], v12, s4, v[24:25]
	v_mov_b32_e32 v24, v31
	s_mov_b32 s4, 0xdb629599
	;; [unrolled: 3-line block ×6, first 2 shown]
	v_mad_u64_u32 v[24:25], s[4:5], v12, s4, v[24:25]
	v_cndmask_b32_e32 v27, v38, v34, vcc
	v_cndmask_b32_e32 v12, v24, v36, vcc
	;; [unrolled: 1-line block ×3, first 2 shown]
	v_cndmask_b32_e64 v24, v12, v27, s[0:1]
	v_cndmask_b32_e64 v12, v25, v12, s[0:1]
	v_cndmask_b32_e32 v25, v36, v32, vcc
	v_cndmask_b32_e64 v27, v27, v25, s[0:1]
	v_cndmask_b32_e64 v12, v12, v24, s[2:3]
	;; [unrolled: 1-line block ×3, first 2 shown]
	v_sub_u32_e32 v29, 32, v9
	v_alignbit_b32 v31, v12, v24, v29
	v_cmp_eq_u32_e64 s[4:5], 0, v9
	v_cndmask_b32_e32 v28, v32, v28, vcc
	s_nop 0
	v_cndmask_b32_e64 v9, v31, v12, s[4:5]
	v_cndmask_b32_e32 v12, v34, v30, vcc
	v_cndmask_b32_e64 v25, v25, v12, s[0:1]
	v_cndmask_b32_e64 v27, v27, v25, s[2:3]
	v_alignbit_b32 v30, v24, v27, v29
	v_cndmask_b32_e64 v24, v30, v24, s[4:5]
	v_bfe_u32 v33, v9, 29, 1
	v_cndmask_b32_e64 v12, v12, v28, s[0:1]
	v_alignbit_b32 v30, v9, v24, 30
	v_sub_u32_e32 v34, 0, v33
	v_cndmask_b32_e64 v12, v25, v12, s[2:3]
	v_xor_b32_e32 v35, v30, v34
	v_alignbit_b32 v25, v27, v12, v29
	v_cndmask_b32_e64 v25, v25, v27, s[4:5]
	v_ffbh_u32_e32 v27, v35
	v_add_u32_e32 v27, 1, v27
	v_cmp_ne_u32_e32 vcc, v30, v34
	v_alignbit_b32 v24, v24, v25, 30
	v_alignbit_b32 v12, v25, v12, 30
	v_cndmask_b32_e32 v27, 33, v27, vcc
	v_xor_b32_e32 v24, v24, v34
	v_sub_u32_e32 v28, 32, v27
	v_xor_b32_e32 v12, v12, v34
	v_alignbit_b32 v29, v35, v24, v28
	v_alignbit_b32 v12, v24, v12, v28
	v_alignbit_b32 v24, v29, v12, 9
	v_ffbh_u32_e32 v25, v24
	v_min_u32_e32 v25, 32, v25
	v_lshrrev_b32_e32 v31, 29, v9
	v_sub_u32_e32 v28, 31, v25
	v_alignbit_b32 v12, v24, v12, v28
	v_lshlrev_b32_e32 v24, 31, v31
	v_or_b32_e32 v28, 0x33800000, v24
	v_add_lshl_u32 v25, v25, v27, 23
	v_lshrrev_b32_e32 v12, 9, v12
	v_sub_u32_e32 v25, v28, v25
	v_or_b32_e32 v12, v25, v12
	v_alignbit_b32 v25, v27, v29, 9
	v_or_b32_e32 v24, v25, v24
	v_xor_b32_e32 v24, 1.0, v24
	s_mov_b32 s0, 0x3fc90fda
	v_mul_f32_e32 v25, 0x3fc90fda, v24
	v_fma_f32 v27, v24, s0, -v25
	v_fmamk_f32 v24, v24, 0x33a22168, v27
	v_fmac_f32_e32 v24, 0x3fc90fda, v12
	v_lshrrev_b32_e32 v9, 30, v9
	v_add_f32_e32 v12, v25, v24
	v_add_u32_e32 v9, v33, v9
	s_andn2_saveexec_b64 s[0:1], s[12:13]
	s_branch .LBB18_34
.LBB18_33:
	s_andn2_saveexec_b64 s[0:1], s[12:13]
.LBB18_34:
	s_mov_b32 s2, 0x3f22f983
	v_mul_f32_e64 v9, |v3|, s2
	v_rndne_f32_e32 v12, v9
	s_mov_b32 s2, 0xbfc90fda
	v_cvt_i32_f32_e32 v9, v12
	v_fma_f32 v24, v12, s2, |v3|
	v_fmamk_f32 v24, v12, 0xb3a22168, v24
	v_fmamk_f32 v12, v12, 0xa7c234c4, v24
; %bb.35:
	s_or_b64 exec, exec, s[0:1]
                                        ; implicit-def: $vgpr24
                                        ; implicit-def: $vgpr25
	s_and_saveexec_b64 s[0:1], s[10:11]
	s_xor_b64 s[10:11], exec, s[0:1]
	s_cbranch_execz .LBB18_37
; %bb.36:
	v_add_u32_e32 v24, 0xffffff88, v26
	v_not_b32_e32 v26, 63
	v_cmp_lt_u32_e32 vcc, 63, v24
	s_mov_b32 s4, 0xfe5163ab
	v_mov_b32_e32 v25, 0
	v_cndmask_b32_e32 v26, 0, v26, vcc
	v_add_u32_e32 v24, v26, v24
	v_not_b32_e32 v26, 31
	v_cmp_lt_u32_e64 s[0:1], 31, v24
	s_nop 1
	v_cndmask_b32_e64 v27, 0, v26, s[0:1]
	v_add_u32_e32 v24, v27, v24
	v_cmp_lt_u32_e64 s[2:3], 31, v24
	s_nop 1
	v_cndmask_b32_e64 v26, 0, v26, s[2:3]
	v_add_u32_e32 v38, v26, v24
	v_and_b32_e32 v24, 0x7fffff, v5
	v_or_b32_e32 v39, 0x800000, v24
	v_mad_u64_u32 v[26:27], s[4:5], v39, s4, 0
	v_mov_b32_e32 v24, v27
	s_mov_b32 s4, 0x3c439041
	v_mad_u64_u32 v[28:29], s[4:5], v39, s4, v[24:25]
	v_mov_b32_e32 v24, v29
	s_mov_b32 s4, 0xdb629599
	;; [unrolled: 3-line block ×6, first 2 shown]
	v_mad_u64_u32 v[24:25], s[4:5], v39, s4, v[24:25]
	v_cndmask_b32_e32 v27, v36, v32, vcc
	v_cndmask_b32_e32 v24, v24, v34, vcc
	;; [unrolled: 1-line block ×3, first 2 shown]
	v_cndmask_b32_e64 v29, v24, v27, s[0:1]
	v_cndmask_b32_e64 v24, v25, v24, s[0:1]
	v_cndmask_b32_e32 v25, v34, v30, vcc
	v_cndmask_b32_e64 v27, v27, v25, s[0:1]
	v_cndmask_b32_e32 v28, v32, v28, vcc
	v_cndmask_b32_e64 v24, v24, v29, s[2:3]
	v_cndmask_b32_e64 v29, v29, v27, s[2:3]
	v_sub_u32_e32 v31, 32, v38
	v_cndmask_b32_e64 v25, v25, v28, s[0:1]
	v_alignbit_b32 v33, v24, v29, v31
	v_cmp_eq_u32_e64 s[4:5], 0, v38
	v_cndmask_b32_e64 v27, v27, v25, s[2:3]
	v_alignbit_b32 v32, v29, v27, v31
	v_cndmask_b32_e64 v24, v33, v24, s[4:5]
	v_cndmask_b32_e64 v29, v32, v29, s[4:5]
	v_bfe_u32 v34, v24, 29, 1
	v_cndmask_b32_e32 v26, v30, v26, vcc
	v_alignbit_b32 v32, v24, v29, 30
	v_sub_u32_e32 v35, 0, v34
	v_cndmask_b32_e64 v26, v28, v26, s[0:1]
	v_xor_b32_e32 v36, v32, v35
	v_cndmask_b32_e64 v25, v25, v26, s[2:3]
	v_alignbit_b32 v26, v27, v25, v31
	v_ffbh_u32_e32 v28, v36
	v_cndmask_b32_e64 v26, v26, v27, s[4:5]
	v_add_u32_e32 v28, 1, v28
	v_cmp_ne_u32_e32 vcc, v32, v35
	v_alignbit_b32 v27, v29, v26, 30
	v_alignbit_b32 v25, v26, v25, 30
	v_cndmask_b32_e32 v28, 33, v28, vcc
	v_xor_b32_e32 v27, v27, v35
	v_sub_u32_e32 v29, 32, v28
	v_xor_b32_e32 v25, v25, v35
	v_alignbit_b32 v30, v36, v27, v29
	v_alignbit_b32 v25, v27, v25, v29
	;; [unrolled: 1-line block ×3, first 2 shown]
	v_ffbh_u32_e32 v27, v26
	v_min_u32_e32 v27, 32, v27
	v_lshrrev_b32_e32 v33, 29, v24
	v_sub_u32_e32 v29, 31, v27
	v_alignbit_b32 v25, v26, v25, v29
	v_lshlrev_b32_e32 v26, 31, v33
	v_or_b32_e32 v29, 0x33800000, v26
	v_add_lshl_u32 v27, v27, v28, 23
	v_lshrrev_b32_e32 v25, 9, v25
	v_sub_u32_e32 v27, v29, v27
	v_or_b32_e32 v25, v27, v25
	v_alignbit_b32 v27, v28, v30, 9
	v_or_b32_e32 v26, v27, v26
	v_xor_b32_e32 v26, 1.0, v26
	s_mov_b32 s0, 0x3fc90fda
	v_mul_f32_e32 v27, 0x3fc90fda, v26
	v_fma_f32 v28, v26, s0, -v27
	v_fmamk_f32 v26, v26, 0x33a22168, v28
	v_fmac_f32_e32 v26, 0x3fc90fda, v25
	v_lshrrev_b32_e32 v24, 30, v24
	v_add_f32_e32 v25, v27, v26
	v_add_u32_e32 v24, v34, v24
	s_andn2_saveexec_b64 s[0:1], s[10:11]
	s_cbranch_execnz .LBB18_38
	s_branch .LBB18_39
.LBB18_37:
	s_andn2_saveexec_b64 s[0:1], s[10:11]
.LBB18_38:
	s_mov_b32 s2, 0x3f22f983
	v_mul_f32_e64 v24, |v3|, s2
	v_rndne_f32_e32 v25, v24
	s_mov_b32 s2, 0xbfc90fda
	v_cvt_i32_f32_e32 v24, v25
	v_fma_f32 v26, v25, s2, |v3|
	v_fmamk_f32 v26, v25, 0xb3a22168, v26
	v_fmamk_f32 v25, v25, 0xa7c234c4, v26
.LBB18_39:
	s_or_b64 exec, exec, s[0:1]
	v_mul_f32_e32 v26, v13, v13
	s_mov_b32 s2, 0x41c80000
	v_div_scale_f32 v27, s[0:1], v26, v26, s2
	v_rcp_f32_e32 v28, v27
	v_xor_b32_e32 v5, v5, v3
	s_mov_b32 s4, 0x40a00000
	v_mov_b32_e32 v35, 0xbf000004
	v_fma_f32 v29, -v27, v28, 1.0
	v_fmac_f32_e32 v28, v29, v28
	v_div_scale_f32 v29, vcc, s2, v26, s2
	v_mul_f32_e32 v30, v29, v28
	v_fma_f32 v31, -v27, v30, v29
	v_fmac_f32_e32 v30, v31, v28
	v_fma_f32 v27, -v27, v30, v29
	v_div_fmas_f32 v27, v27, v28, v30
	v_div_fixup_f32 v26, v27, v26, s2
	v_mov_b32_e32 v27, 0x3a50e985
	v_mov_b32_e32 v28, 0x3a725406
	v_fmac_f32_e32 v27, 0, v26
	v_fmac_f32_e32 v28, 0, v26
	v_fmaak_f32 v27, v26, v27, 0x3da9a586
	v_fmaak_f32 v28, v26, v28, 0x3daf5e2d
	v_fmaak_f32 v27, v26, v27, 0x3f9ea90a
	v_fmaak_f32 v28, v26, v28, 0x3fa07396
	v_fmaak_f32 v27, v26, v27, 0x40ae4fdf
	v_fmaak_f32 v28, v26, v28, 0x40af123f
	v_fmaak_f32 v27, v26, v27, 0x410bf463
	v_fmaak_f32 v28, v26, v28, 0x410c30c7
	v_mov_b32_e32 v29, 0xbc3a3a12
	v_fmaak_f32 v27, v26, v27, 0x40a9b425
	v_fmaak_f32 v28, v26, v28, 0x40a9cb2f
	v_fmac_f32_e32 v29, 0, v26
	v_mov_b32_e32 v30, 0x4280a2ba
	v_fma_f32 v28, v26, v28, 1.0
	v_fmaak_f32 v29, v26, v29, 0xbfa429da
	v_fmac_f32_e32 v30, 0, v26
	v_fma_f32 v27, v26, v27, 1.0
	v_fmaak_f32 v29, v26, v29, 0xc19c6e80
	v_fmaak_f32 v30, v26, v30, 0x44561b86
	v_div_scale_f32 v31, s[0:1], v28, v28, v27
	v_fmaak_f32 v29, v26, v29, 0xc2ba697b
	v_fmaak_f32 v30, v26, v30, 0x4572a66e
	v_rcp_f32_e32 v32, v31
	v_fmaak_f32 v29, v26, v29, 0xc331ae61
	v_fmaak_f32 v30, v26, v30, 0x45e243be
	;; [unrolled: 1-line block ×8, first 2 shown]
	v_fma_f32 v30, -v31, v32, 1.0
	v_fmac_f32_e32 v32, v30, v32
	v_div_scale_f32 v30, vcc, v27, v28, v27
	v_mul_f32_e32 v33, v30, v32
	v_fma_f32 v34, -v31, v33, v30
	v_fmac_f32_e32 v33, v34, v32
	v_fma_f32 v30, -v31, v33, v30
	v_div_fmas_f32 v30, v30, v32, v33
	v_div_fixup_f32 v27, v30, v28, v27
	v_mul_f32_e32 v28, v12, v12
	v_mov_b32_e32 v30, 0x3c0881c4
	v_fmamk_f32 v31, v28, 0xb94c1982, v30
	v_fmaak_f32 v31, v28, v31, 0xbe2aaa9d
	v_mul_f32_e32 v31, v28, v31
	v_fmac_f32_e32 v12, v12, v31
	v_mov_b32_e32 v31, 0xbab64f3b
	v_fmamk_f32 v33, v28, 0x37d75334, v31
	v_fmaak_f32 v33, v28, v33, 0x3d2aabf7
	v_fmaak_f32 v33, v28, v33, 0xbf000004
	v_fma_f32 v28, v28, v33, 1.0
	v_and_b32_e32 v33, 1, v9
	v_lshlrev_b32_e32 v9, 30, v9
	v_cmp_eq_u32_e32 vcc, 0, v33
	v_and_b32_e32 v9, 0x80000000, v9
	v_xor_b32_e32 v5, v5, v9
	v_cndmask_b32_e32 v12, v28, v12, vcc
	v_div_scale_f32 v9, s[0:1], v13, v13, s4
	v_xor_b32_e32 v5, v5, v12
	v_rcp_f32_e32 v12, v9
	s_movk_i32 s2, 0x1f8
	v_mov_b32_e32 v28, 0x7fc00000
	v_cmp_class_f32_e64 s[0:1], v3, s2
	v_mov_b32_e32 v32, 0xbe2aaa9d
	v_mov_b32_e32 v34, 0x3d2aabf7
	v_cndmask_b32_e64 v3, v28, v5, s[0:1]
	v_fma_f32 v5, -v9, v12, 1.0
	v_fmac_f32_e32 v12, v5, v12
	v_div_scale_f32 v5, vcc, s4, v13, s4
	v_mul_f32_e32 v33, v5, v12
	v_fma_f32 v36, -v9, v33, v5
	v_fmac_f32_e32 v33, v36, v12
	v_fma_f32 v5, -v9, v33, v5
	v_div_scale_f32 v9, s[2:3], v26, v26, v29
	v_rcp_f32_e32 v36, v9
	v_div_fmas_f32 v5, v5, v12, v33
	v_div_fixup_f32 v5, v5, v13, s4
	v_fma_f32 v12, -v9, v36, 1.0
	v_fmac_f32_e32 v36, v12, v36
	v_div_scale_f32 v12, vcc, v29, v26, v29
	v_mul_f32_e32 v33, v12, v36
	v_fma_f32 v37, -v9, v33, v12
	v_fmac_f32_e32 v33, v37, v36
	v_fma_f32 v9, -v9, v33, v12
	v_div_fmas_f32 v9, v9, v36, v33
	v_div_fixup_f32 v9, v9, v26, v29
	v_mul_f32_e32 v5, v5, v9
	v_mul_f32_e32 v9, v25, v25
	v_fmac_f32_e32 v30, 0xb94c1982, v9
	v_fmac_f32_e32 v32, v9, v30
	;; [unrolled: 1-line block ×3, first 2 shown]
	v_mul_f32_e32 v12, v9, v32
	v_fmac_f32_e32 v34, v9, v31
	v_fmac_f32_e32 v25, v25, v12
	;; [unrolled: 1-line block ×3, first 2 shown]
	v_and_b32_e32 v12, 1, v24
	v_fma_f32 v9, v9, v35, 1.0
	v_cmp_eq_u32_e32 vcc, 0, v12
	v_lshlrev_b32_e32 v12, 30, v24
	v_and_b32_e32 v12, 0x80000000, v12
	v_cndmask_b32_e64 v9, -v25, v9, vcc
	v_xor_b32_e32 v9, v12, v9
	v_cndmask_b32_e64 v9, v28, v9, s[0:1]
	s_mov_b32 s0, 0xf800000
	v_mul_f32_e32 v12, 0x4f800000, v13
	v_cmp_gt_f32_e32 vcc, s0, v13
	v_mul_f32_e32 v5, v5, v9
	v_fmac_f32_e32 v5, v27, v3
	v_cndmask_b32_e32 v12, v13, v12, vcc
	v_sqrt_f32_e32 v13, v12
	v_mul_f32_e32 v3, 0x3f4c422a, v5
	v_add_u32_e32 v5, -1, v13
	v_fma_f32 v9, -v5, v13, v12
	v_cmp_ge_f32_e64 s[0:1], 0, v9
	v_add_u32_e32 v9, 1, v13
	s_nop 0
	v_cndmask_b32_e64 v5, v13, v5, s[0:1]
	v_fma_f32 v13, -v9, v13, v12
	v_cmp_lt_f32_e64 s[0:1], 0, v13
	s_nop 1
	v_cndmask_b32_e64 v5, v5, v9, s[0:1]
	v_mul_f32_e32 v9, 0x37800000, v5
	v_cndmask_b32_e32 v5, v5, v9, vcc
	v_mov_b32_e32 v9, 0x260
	v_cmp_class_f32_e32 vcc, v12, v9
	s_nop 1
	v_cndmask_b32_e32 v5, v5, v12, vcc
	v_div_scale_f32 v9, s[0:1], v5, v5, v3
	v_rcp_f32_e32 v12, v9
	s_nop 0
	v_fma_f32 v13, -v9, v12, 1.0
	v_fmac_f32_e32 v12, v13, v12
	v_div_scale_f32 v13, vcc, v3, v5, v3
	v_mul_f32_e32 v24, v13, v12
	v_fma_f32 v25, -v9, v24, v13
	v_fmac_f32_e32 v24, v25, v12
	v_fma_f32 v9, -v9, v24, v13
	v_div_fmas_f32 v9, v9, v12, v24
	v_div_fixup_f32 v9, v9, v5, v3
.LBB18_40:
	s_or_b64 exec, exec, s[8:9]
	s_mov_b32 s0, 0x40a00000
	v_cmp_ge_f32_e32 vcc, s0, v16
                                        ; implicit-def: $vgpr12
	s_and_saveexec_b64 s[0:1], vcc
	s_xor_b64 s[2:3], exec, s[0:1]
	s_cbranch_execz .LBB18_50
; %bb.41:
	v_cmp_neq_f32_e32 vcc, 0, v16
	v_mov_b32_e32 v12, 0xff800000
	s_and_saveexec_b64 s[4:5], vcc
	s_cbranch_execz .LBB18_49
; %bb.42:
	v_cmp_ngt_f32_e32 vcc, 0, v16
	v_mov_b32_e32 v12, 0x7fc00000
	s_and_saveexec_b64 s[8:9], vcc
	s_cbranch_execz .LBB18_48
; %bb.43:
	v_mul_f32_e32 v12, v16, v16
	s_mov_b32 s0, 0x3727c5ac
	v_mul_f32_e32 v24, 0, v12
	v_cmp_ngt_f32_e32 vcc, s0, v16
                                        ; implicit-def: $vgpr3
	s_and_saveexec_b64 s[0:1], vcc
	s_xor_b64 s[0:1], exec, s[0:1]
	s_cbranch_execz .LBB18_45
; %bb.44:
	v_add_f32_e32 v3, 0x43f9c815, v24
	v_fmaak_f32 v3, v12, v3, 0x4829b65a
	v_fmaak_f32 v3, v12, v3, 0x4c38c9a1
	;; [unrolled: 1-line block ×3, first 2 shown]
	s_mov_b32 s10, 0xcf8ee29d
	v_mul_f32_e32 v25, v12, v3
	s_mov_b32 s11, 0x53f5f59c
	v_pk_add_f32 v[26:27], v[24:25], s[10:11]
	s_mov_b32 s10, 0x53e3ba8e
	s_mov_b32 s11, 0x578d3514
	v_pk_fma_f32 v[26:27], v[12:13], v[26:27], s[10:11] op_sel_hi:[0,1,1]
	s_mov_b32 s10, 0xd762b0a7
	s_mov_b32 s11, 0x5ae20a0c
	v_pk_fma_f32 v[26:27], v[12:13], v[26:27], s[10:11] op_sel_hi:[0,1,1]
	;; [unrolled: 3-line block ×3, first 2 shown]
	s_mov_b32 s10, 0xc0b90fdc
	s_mov_b32 s11, 0xc1f3c525
	v_pk_add_f32 v[28:29], v[12:13], s[10:11] op_sel_hi:[0,1]
	v_mul_f32_e32 v3, v28, v29
	v_mul_f32_e32 v3, v3, v26
	v_div_scale_f32 v5, s[10:11], v27, v27, v3
	v_rcp_f32_e32 v13, v5
	s_nop 0
	v_fma_f32 v25, -v5, v13, 1.0
	v_fmac_f32_e32 v13, v25, v13
	v_div_scale_f32 v25, vcc, v3, v27, v3
	v_mul_f32_e32 v26, v25, v13
	v_fma_f32 v28, -v5, v26, v25
	v_fmac_f32_e32 v26, v28, v13
	v_fma_f32 v5, -v5, v26, v25
	v_div_fmas_f32 v5, v5, v13, v26
	v_div_fixup_f32 v3, v5, v27, v3
.LBB18_45:
	s_andn2_saveexec_b64 s[0:1], s[0:1]
; %bb.46:
	v_mov_b32_e32 v3, 1.0
	v_fmamk_f32 v3, v12, 0xbe800000, v3
; %bb.47:
	s_or_b64 exec, exec, s[0:1]
	v_add_f32_e32 v5, 0x4673a1bf, v24
	v_fmaak_f32 v5, v12, v5, 0xcb5fc0fa
	v_add_f32_e32 v13, 0x44822913, v24
	v_fmaak_f32 v5, v12, v5, 0x4fa1fbc8
	v_fmaak_f32 v13, v12, v13, 0x4918dbb5
	;; [unrolled: 1-line block ×12, first 2 shown]
	v_div_scale_f32 v12, s[0:1], v13, v13, v5
	v_rcp_f32_e32 v24, v12
	s_mov_b32 s0, 0x800000
	v_cmp_gt_f32_e64 s[0:1], s0, v16
	s_mov_b32 s10, 0x3f317217
	v_fma_f32 v25, -v12, v24, 1.0
	v_fmac_f32_e32 v24, v25, v24
	v_div_scale_f32 v25, vcc, v5, v13, v5
	v_mul_f32_e32 v26, v25, v24
	v_fma_f32 v27, -v12, v26, v25
	v_fmac_f32_e32 v26, v27, v24
	v_fma_f32 v12, -v12, v26, v25
	v_mov_b32_e32 v25, 0x4f800000
	v_cndmask_b32_e64 v25, 1.0, v25, s[0:1]
	v_mul_f32_e32 v25, v16, v25
	v_log_f32_e32 v25, v25
	v_div_fmas_f32 v12, v12, v24, v26
	v_div_fixup_f32 v12, v12, v13, v5
	v_mul_f32_e32 v5, 0x3f317217, v25
	v_fma_f32 v13, v25, s10, -v5
	v_fmamk_f32 v13, v25, 0x3377d1cf, v13
	s_mov_b32 s10, 0x7f800000
	v_add_f32_e32 v5, v5, v13
	v_cmp_lt_f32_e64 vcc, |v25|, s10
	v_mov_b32_e32 v13, 0x41b17218
	v_cndmask_b32_e64 v13, 0, v13, s[0:1]
	v_cndmask_b32_e32 v5, v25, v5, vcc
	v_sub_f32_e32 v5, v5, v13
	v_mul_f32_e32 v5, 0x3f22f983, v5
	v_fmac_f32_e32 v12, v5, v3
.LBB18_48:
	s_or_b64 exec, exec, s[8:9]
.LBB18_49:
	s_or_b64 exec, exec, s[4:5]
.LBB18_50:
	s_andn2_saveexec_b64 s[8:9], s[2:3]
	s_cbranch_execz .LBB18_60
; %bb.51:
	v_add_f32_e32 v3, 0xbf490fdb, v16
	v_and_b32_e32 v5, 0x7fffffff, v3
	s_brev_b32 s0, 18
	v_cmp_nlt_f32_e64 s[10:11], |v3|, s0
	v_lshrrev_b32_e32 v26, 23, v5
                                        ; implicit-def: $vgpr12
                                        ; implicit-def: $vgpr13
	s_and_saveexec_b64 s[0:1], s[10:11]
	s_xor_b64 s[12:13], exec, s[0:1]
	s_cbranch_execz .LBB18_53
; %bb.52:
	v_add_u32_e32 v12, 0xffffff88, v26
	v_not_b32_e32 v24, 63
	v_cmp_lt_u32_e32 vcc, 63, v12
	s_mov_b32 s4, 0xfe5163ab
	v_mov_b32_e32 v13, 0
	v_cndmask_b32_e32 v24, 0, v24, vcc
	v_add_u32_e32 v12, v24, v12
	v_not_b32_e32 v24, 31
	v_cmp_lt_u32_e64 s[0:1], 31, v12
	s_nop 1
	v_cndmask_b32_e64 v25, 0, v24, s[0:1]
	v_add_u32_e32 v12, v25, v12
	v_cmp_lt_u32_e64 s[2:3], 31, v12
	s_nop 1
	v_cndmask_b32_e64 v24, 0, v24, s[2:3]
	v_add_u32_e32 v27, v24, v12
	v_and_b32_e32 v12, 0x7fffff, v5
	v_or_b32_e32 v38, 0x800000, v12
	v_mad_u64_u32 v[24:25], s[4:5], v38, s4, 0
	v_mov_b32_e32 v12, v25
	s_mov_b32 s4, 0x3c439041
	v_mad_u64_u32 v[28:29], s[4:5], v38, s4, v[12:13]
	v_mov_b32_e32 v12, v29
	s_mov_b32 s4, 0xdb629599
	;; [unrolled: 3-line block ×6, first 2 shown]
	v_mad_u64_u32 v[12:13], s[4:5], v38, s4, v[12:13]
	v_cndmask_b32_e32 v25, v36, v32, vcc
	v_cndmask_b32_e32 v12, v12, v34, vcc
	;; [unrolled: 1-line block ×3, first 2 shown]
	v_cndmask_b32_e64 v29, v12, v25, s[0:1]
	v_cndmask_b32_e64 v12, v13, v12, s[0:1]
	v_cndmask_b32_e32 v13, v34, v30, vcc
	v_cndmask_b32_e64 v25, v25, v13, s[0:1]
	v_sub_u32_e32 v31, 32, v27
	v_cmp_eq_u32_e64 s[4:5], 0, v27
	v_cndmask_b32_e32 v27, v32, v28, vcc
	v_cndmask_b32_e64 v12, v12, v29, s[2:3]
	v_cndmask_b32_e64 v29, v29, v25, s[2:3]
	;; [unrolled: 1-line block ×3, first 2 shown]
	v_alignbit_b32 v33, v12, v29, v31
	v_cndmask_b32_e64 v25, v25, v13, s[2:3]
	v_cndmask_b32_e64 v12, v33, v12, s[4:5]
	v_alignbit_b32 v28, v29, v25, v31
	v_cndmask_b32_e64 v28, v28, v29, s[4:5]
	v_bfe_u32 v33, v12, 29, 1
	v_cndmask_b32_e32 v24, v30, v24, vcc
	v_alignbit_b32 v29, v12, v28, 30
	v_sub_u32_e32 v34, 0, v33
	v_cndmask_b32_e64 v24, v27, v24, s[0:1]
	v_xor_b32_e32 v35, v29, v34
	v_cndmask_b32_e64 v13, v13, v24, s[2:3]
	v_alignbit_b32 v24, v25, v13, v31
	v_ffbh_u32_e32 v27, v35
	v_cndmask_b32_e64 v24, v24, v25, s[4:5]
	v_add_u32_e32 v27, 1, v27
	v_cmp_ne_u32_e32 vcc, v29, v34
	v_alignbit_b32 v25, v28, v24, 30
	v_alignbit_b32 v13, v24, v13, 30
	v_cndmask_b32_e32 v27, 33, v27, vcc
	v_xor_b32_e32 v25, v25, v34
	v_sub_u32_e32 v28, 32, v27
	v_xor_b32_e32 v13, v13, v34
	v_alignbit_b32 v29, v35, v25, v28
	v_alignbit_b32 v13, v25, v13, v28
	;; [unrolled: 1-line block ×3, first 2 shown]
	v_ffbh_u32_e32 v25, v24
	v_min_u32_e32 v25, 32, v25
	v_lshrrev_b32_e32 v32, 29, v12
	v_sub_u32_e32 v28, 31, v25
	v_alignbit_b32 v13, v24, v13, v28
	v_lshlrev_b32_e32 v24, 31, v32
	v_or_b32_e32 v28, 0x33800000, v24
	v_add_lshl_u32 v25, v25, v27, 23
	v_lshrrev_b32_e32 v13, 9, v13
	v_sub_u32_e32 v25, v28, v25
	v_or_b32_e32 v13, v25, v13
	v_alignbit_b32 v25, v27, v29, 9
	v_or_b32_e32 v24, v25, v24
	v_xor_b32_e32 v24, 1.0, v24
	s_mov_b32 s0, 0x3fc90fda
	v_mul_f32_e32 v25, 0x3fc90fda, v24
	v_fma_f32 v27, v24, s0, -v25
	v_fmamk_f32 v24, v24, 0x33a22168, v27
	v_fmac_f32_e32 v24, 0x3fc90fda, v13
	v_lshrrev_b32_e32 v12, 30, v12
	v_add_f32_e32 v13, v25, v24
	v_add_u32_e32 v12, v33, v12
	s_andn2_saveexec_b64 s[0:1], s[12:13]
	s_branch .LBB18_54
.LBB18_53:
	s_andn2_saveexec_b64 s[0:1], s[12:13]
.LBB18_54:
	s_mov_b32 s2, 0x3f22f983
	v_mul_f32_e64 v12, |v3|, s2
	v_rndne_f32_e32 v13, v12
	s_mov_b32 s2, 0xbfc90fda
	v_cvt_i32_f32_e32 v12, v13
	v_fma_f32 v24, v13, s2, |v3|
	v_fmamk_f32 v24, v13, 0xb3a22168, v24
	v_fmamk_f32 v13, v13, 0xa7c234c4, v24
; %bb.55:
	s_or_b64 exec, exec, s[0:1]
                                        ; implicit-def: $vgpr24
                                        ; implicit-def: $vgpr25
	s_and_saveexec_b64 s[0:1], s[10:11]
	s_xor_b64 s[10:11], exec, s[0:1]
	s_cbranch_execz .LBB18_57
; %bb.56:
	v_add_u32_e32 v24, 0xffffff88, v26
	v_not_b32_e32 v26, 63
	v_cmp_lt_u32_e32 vcc, 63, v24
	s_mov_b32 s4, 0xfe5163ab
	v_mov_b32_e32 v25, 0
	v_cndmask_b32_e32 v26, 0, v26, vcc
	v_add_u32_e32 v24, v26, v24
	v_not_b32_e32 v26, 31
	v_cmp_lt_u32_e64 s[0:1], 31, v24
	s_nop 1
	v_cndmask_b32_e64 v27, 0, v26, s[0:1]
	v_add_u32_e32 v24, v27, v24
	v_cmp_lt_u32_e64 s[2:3], 31, v24
	s_nop 1
	v_cndmask_b32_e64 v26, 0, v26, s[2:3]
	v_add_u32_e32 v38, v26, v24
	v_and_b32_e32 v24, 0x7fffff, v5
	v_or_b32_e32 v39, 0x800000, v24
	v_mad_u64_u32 v[26:27], s[4:5], v39, s4, 0
	v_mov_b32_e32 v24, v27
	s_mov_b32 s4, 0x3c439041
	v_mad_u64_u32 v[28:29], s[4:5], v39, s4, v[24:25]
	v_mov_b32_e32 v24, v29
	s_mov_b32 s4, 0xdb629599
	;; [unrolled: 3-line block ×6, first 2 shown]
	v_mad_u64_u32 v[24:25], s[4:5], v39, s4, v[24:25]
	v_cndmask_b32_e32 v27, v36, v32, vcc
	v_cndmask_b32_e32 v24, v24, v34, vcc
	;; [unrolled: 1-line block ×3, first 2 shown]
	v_cndmask_b32_e64 v29, v24, v27, s[0:1]
	v_cndmask_b32_e64 v24, v25, v24, s[0:1]
	v_cndmask_b32_e32 v25, v34, v30, vcc
	v_cndmask_b32_e64 v27, v27, v25, s[0:1]
	v_cndmask_b32_e32 v28, v32, v28, vcc
	v_cndmask_b32_e64 v24, v24, v29, s[2:3]
	v_cndmask_b32_e64 v29, v29, v27, s[2:3]
	v_sub_u32_e32 v31, 32, v38
	v_cndmask_b32_e64 v25, v25, v28, s[0:1]
	v_alignbit_b32 v33, v24, v29, v31
	v_cmp_eq_u32_e64 s[4:5], 0, v38
	v_cndmask_b32_e64 v27, v27, v25, s[2:3]
	v_alignbit_b32 v32, v29, v27, v31
	v_cndmask_b32_e64 v24, v33, v24, s[4:5]
	v_cndmask_b32_e64 v29, v32, v29, s[4:5]
	v_bfe_u32 v34, v24, 29, 1
	v_cndmask_b32_e32 v26, v30, v26, vcc
	v_alignbit_b32 v32, v24, v29, 30
	v_sub_u32_e32 v35, 0, v34
	v_cndmask_b32_e64 v26, v28, v26, s[0:1]
	v_xor_b32_e32 v36, v32, v35
	v_cndmask_b32_e64 v25, v25, v26, s[2:3]
	v_alignbit_b32 v26, v27, v25, v31
	v_ffbh_u32_e32 v28, v36
	v_cndmask_b32_e64 v26, v26, v27, s[4:5]
	v_add_u32_e32 v28, 1, v28
	v_cmp_ne_u32_e32 vcc, v32, v35
	v_alignbit_b32 v27, v29, v26, 30
	v_alignbit_b32 v25, v26, v25, 30
	v_cndmask_b32_e32 v28, 33, v28, vcc
	v_xor_b32_e32 v27, v27, v35
	v_sub_u32_e32 v29, 32, v28
	v_xor_b32_e32 v25, v25, v35
	v_alignbit_b32 v30, v36, v27, v29
	v_alignbit_b32 v25, v27, v25, v29
	;; [unrolled: 1-line block ×3, first 2 shown]
	v_ffbh_u32_e32 v27, v26
	v_min_u32_e32 v27, 32, v27
	v_lshrrev_b32_e32 v33, 29, v24
	v_sub_u32_e32 v29, 31, v27
	v_alignbit_b32 v25, v26, v25, v29
	v_lshlrev_b32_e32 v26, 31, v33
	v_or_b32_e32 v29, 0x33800000, v26
	v_add_lshl_u32 v27, v27, v28, 23
	v_lshrrev_b32_e32 v25, 9, v25
	v_sub_u32_e32 v27, v29, v27
	v_or_b32_e32 v25, v27, v25
	v_alignbit_b32 v27, v28, v30, 9
	v_or_b32_e32 v26, v27, v26
	v_xor_b32_e32 v26, 1.0, v26
	s_mov_b32 s0, 0x3fc90fda
	v_mul_f32_e32 v27, 0x3fc90fda, v26
	v_fma_f32 v28, v26, s0, -v27
	v_fmamk_f32 v26, v26, 0x33a22168, v28
	v_fmac_f32_e32 v26, 0x3fc90fda, v25
	v_lshrrev_b32_e32 v24, 30, v24
	v_add_f32_e32 v25, v27, v26
	v_add_u32_e32 v24, v34, v24
	s_andn2_saveexec_b64 s[0:1], s[10:11]
	s_cbranch_execnz .LBB18_58
	s_branch .LBB18_59
.LBB18_57:
	s_andn2_saveexec_b64 s[0:1], s[10:11]
.LBB18_58:
	s_mov_b32 s2, 0x3f22f983
	v_mul_f32_e64 v24, |v3|, s2
	v_rndne_f32_e32 v25, v24
	s_mov_b32 s2, 0xbfc90fda
	v_cvt_i32_f32_e32 v24, v25
	v_fma_f32 v26, v25, s2, |v3|
	v_fmamk_f32 v26, v25, 0xb3a22168, v26
	v_fmamk_f32 v25, v25, 0xa7c234c4, v26
.LBB18_59:
	s_or_b64 exec, exec, s[0:1]
	v_mul_f32_e32 v26, v16, v16
	s_mov_b32 s2, 0x41c80000
	v_div_scale_f32 v27, s[0:1], v26, v26, s2
	v_rcp_f32_e32 v28, v27
	v_xor_b32_e32 v5, v5, v3
	s_mov_b32 s4, 0x40a00000
	v_mov_b32_e32 v35, 0xbf000004
	v_fma_f32 v29, -v27, v28, 1.0
	v_fmac_f32_e32 v28, v29, v28
	v_div_scale_f32 v29, vcc, s2, v26, s2
	v_mul_f32_e32 v30, v29, v28
	v_fma_f32 v31, -v27, v30, v29
	v_fmac_f32_e32 v30, v31, v28
	v_fma_f32 v27, -v27, v30, v29
	v_div_fmas_f32 v27, v27, v28, v30
	v_div_fixup_f32 v26, v27, v26, s2
	v_mov_b32_e32 v27, 0x3a50e985
	v_mov_b32_e32 v28, 0x3a725406
	v_fmac_f32_e32 v27, 0, v26
	v_fmac_f32_e32 v28, 0, v26
	v_fmaak_f32 v27, v26, v27, 0x3da9a586
	v_fmaak_f32 v28, v26, v28, 0x3daf5e2d
	;; [unrolled: 1-line block ×8, first 2 shown]
	v_mov_b32_e32 v29, 0xbc3a3a12
	v_fmaak_f32 v27, v26, v27, 0x40a9b425
	v_fmaak_f32 v28, v26, v28, 0x40a9cb2f
	v_fmac_f32_e32 v29, 0, v26
	v_mov_b32_e32 v30, 0x4280a2ba
	v_fma_f32 v28, v26, v28, 1.0
	v_fmaak_f32 v29, v26, v29, 0xbfa429da
	v_fmac_f32_e32 v30, 0, v26
	v_fma_f32 v27, v26, v27, 1.0
	v_fmaak_f32 v29, v26, v29, 0xc19c6e80
	v_fmaak_f32 v30, v26, v30, 0x44561b86
	v_div_scale_f32 v31, s[0:1], v28, v28, v27
	v_fmaak_f32 v29, v26, v29, 0xc2ba697b
	v_fmaak_f32 v30, v26, v30, 0x4572a66e
	v_rcp_f32_e32 v32, v31
	v_fmaak_f32 v29, v26, v29, 0xc331ae61
	v_fmaak_f32 v30, v26, v30, 0x45e243be
	;; [unrolled: 1-line block ×8, first 2 shown]
	v_fma_f32 v30, -v31, v32, 1.0
	v_fmac_f32_e32 v32, v30, v32
	v_div_scale_f32 v30, vcc, v27, v28, v27
	v_mul_f32_e32 v33, v30, v32
	v_fma_f32 v34, -v31, v33, v30
	v_fmac_f32_e32 v33, v34, v32
	v_fma_f32 v30, -v31, v33, v30
	v_div_fmas_f32 v30, v30, v32, v33
	v_div_fixup_f32 v27, v30, v28, v27
	v_mul_f32_e32 v28, v13, v13
	v_mov_b32_e32 v30, 0x3c0881c4
	v_fmamk_f32 v31, v28, 0xb94c1982, v30
	v_fmaak_f32 v31, v28, v31, 0xbe2aaa9d
	v_mul_f32_e32 v31, v28, v31
	v_fmac_f32_e32 v13, v13, v31
	v_mov_b32_e32 v31, 0xbab64f3b
	v_fmamk_f32 v33, v28, 0x37d75334, v31
	v_fmaak_f32 v33, v28, v33, 0x3d2aabf7
	v_fmaak_f32 v33, v28, v33, 0xbf000004
	v_fma_f32 v28, v28, v33, 1.0
	v_and_b32_e32 v33, 1, v12
	v_lshlrev_b32_e32 v12, 30, v12
	v_cmp_eq_u32_e32 vcc, 0, v33
	v_and_b32_e32 v12, 0x80000000, v12
	v_xor_b32_e32 v5, v5, v12
	v_cndmask_b32_e32 v13, v28, v13, vcc
	v_div_scale_f32 v12, s[0:1], v16, v16, s4
	v_xor_b32_e32 v5, v5, v13
	v_rcp_f32_e32 v13, v12
	s_movk_i32 s2, 0x1f8
	v_mov_b32_e32 v28, 0x7fc00000
	v_cmp_class_f32_e64 s[0:1], v3, s2
	v_mov_b32_e32 v32, 0xbe2aaa9d
	v_mov_b32_e32 v34, 0x3d2aabf7
	v_cndmask_b32_e64 v3, v28, v5, s[0:1]
	v_fma_f32 v5, -v12, v13, 1.0
	v_fmac_f32_e32 v13, v5, v13
	v_div_scale_f32 v5, vcc, s4, v16, s4
	v_mul_f32_e32 v33, v5, v13
	v_fma_f32 v36, -v12, v33, v5
	v_fmac_f32_e32 v33, v36, v13
	v_fma_f32 v5, -v12, v33, v5
	v_div_scale_f32 v12, s[2:3], v26, v26, v29
	v_rcp_f32_e32 v36, v12
	v_div_fmas_f32 v5, v5, v13, v33
	v_div_fixup_f32 v5, v5, v16, s4
	v_fma_f32 v13, -v12, v36, 1.0
	v_fmac_f32_e32 v36, v13, v36
	v_div_scale_f32 v13, vcc, v29, v26, v29
	v_mul_f32_e32 v33, v13, v36
	v_fma_f32 v37, -v12, v33, v13
	v_fmac_f32_e32 v33, v37, v36
	v_fma_f32 v12, -v12, v33, v13
	v_div_fmas_f32 v12, v12, v36, v33
	v_div_fixup_f32 v12, v12, v26, v29
	v_mul_f32_e32 v5, v5, v12
	v_mul_f32_e32 v12, v25, v25
	v_fmac_f32_e32 v30, 0xb94c1982, v12
	v_fmac_f32_e32 v32, v12, v30
	;; [unrolled: 1-line block ×3, first 2 shown]
	v_mul_f32_e32 v13, v12, v32
	v_fmac_f32_e32 v34, v12, v31
	v_fmac_f32_e32 v25, v25, v13
	v_fmac_f32_e32 v35, v12, v34
	v_and_b32_e32 v13, 1, v24
	v_fma_f32 v12, v12, v35, 1.0
	v_cmp_eq_u32_e32 vcc, 0, v13
	v_lshlrev_b32_e32 v13, 30, v24
	v_and_b32_e32 v13, 0x80000000, v13
	v_cndmask_b32_e64 v12, -v25, v12, vcc
	v_xor_b32_e32 v12, v13, v12
	v_cndmask_b32_e64 v12, v28, v12, s[0:1]
	s_mov_b32 s0, 0xf800000
	v_mul_f32_e32 v13, 0x4f800000, v16
	v_cmp_gt_f32_e32 vcc, s0, v16
	v_mul_f32_e32 v5, v5, v12
	v_fmac_f32_e32 v5, v27, v3
	v_cndmask_b32_e32 v13, v16, v13, vcc
	v_sqrt_f32_e32 v16, v13
	v_mul_f32_e32 v3, 0x3f4c422a, v5
	v_add_u32_e32 v5, -1, v16
	v_fma_f32 v12, -v5, v16, v13
	v_cmp_ge_f32_e64 s[0:1], 0, v12
	v_add_u32_e32 v12, 1, v16
	s_nop 0
	v_cndmask_b32_e64 v5, v16, v5, s[0:1]
	v_fma_f32 v16, -v12, v16, v13
	v_cmp_lt_f32_e64 s[0:1], 0, v16
	s_nop 1
	v_cndmask_b32_e64 v5, v5, v12, s[0:1]
	v_mul_f32_e32 v12, 0x37800000, v5
	v_cndmask_b32_e32 v5, v5, v12, vcc
	v_mov_b32_e32 v12, 0x260
	v_cmp_class_f32_e32 vcc, v13, v12
	s_nop 1
	v_cndmask_b32_e32 v5, v5, v13, vcc
	v_div_scale_f32 v12, s[0:1], v5, v5, v3
	v_rcp_f32_e32 v13, v12
	s_nop 0
	v_fma_f32 v16, -v12, v13, 1.0
	v_fmac_f32_e32 v13, v16, v13
	v_div_scale_f32 v16, vcc, v3, v5, v3
	v_mul_f32_e32 v24, v16, v13
	v_fma_f32 v25, -v12, v24, v16
	v_fmac_f32_e32 v24, v25, v13
	v_fma_f32 v12, -v12, v24, v16
	v_div_fmas_f32 v12, v12, v13, v24
	v_div_fixup_f32 v12, v12, v5, v3
.LBB18_60:
	s_or_b64 exec, exec, s[8:9]
	s_mov_b32 s0, 0x40a00000
	v_cmp_ge_f32_e32 vcc, s0, v17
	s_and_saveexec_b64 s[0:1], vcc
	s_xor_b64 s[2:3], exec, s[0:1]
	s_cbranch_execz .LBB18_70
; %bb.61:
	v_cmp_neq_f32_e32 vcc, 0, v17
	v_mov_b32_e32 v13, 0xff800000
	s_and_saveexec_b64 s[4:5], vcc
	s_cbranch_execz .LBB18_69
; %bb.62:
	v_cmp_ngt_f32_e32 vcc, 0, v17
	v_mov_b32_e32 v13, 0x7fc00000
	s_and_saveexec_b64 s[8:9], vcc
	s_cbranch_execz .LBB18_68
; %bb.63:
	v_mul_f32_e32 v16, v17, v17
	s_mov_b32 s0, 0x3727c5ac
	v_mul_f32_e32 v24, 0, v16
	v_cmp_ngt_f32_e32 vcc, s0, v17
                                        ; implicit-def: $vgpr3
	s_and_saveexec_b64 s[0:1], vcc
	s_xor_b64 s[0:1], exec, s[0:1]
	s_cbranch_execz .LBB18_65
; %bb.64:
	v_add_f32_e32 v3, 0x43f9c815, v24
	v_fmaak_f32 v3, v16, v3, 0x4829b65a
	v_fmaak_f32 v3, v16, v3, 0x4c38c9a1
	;; [unrolled: 1-line block ×3, first 2 shown]
	s_mov_b32 s10, 0xcf8ee29d
	v_mul_f32_e32 v25, v16, v3
	s_mov_b32 s11, 0x53f5f59c
	v_pk_add_f32 v[26:27], v[24:25], s[10:11]
	s_mov_b32 s10, 0x53e3ba8e
	s_mov_b32 s11, 0x578d3514
	v_pk_fma_f32 v[26:27], v[16:17], v[26:27], s[10:11] op_sel_hi:[0,1,1]
	s_mov_b32 s10, 0xd762b0a7
	s_mov_b32 s11, 0x5ae20a0c
	v_pk_fma_f32 v[26:27], v[16:17], v[26:27], s[10:11] op_sel_hi:[0,1,1]
	;; [unrolled: 3-line block ×3, first 2 shown]
	s_mov_b32 s10, 0xc0b90fdc
	s_mov_b32 s11, 0xc1f3c525
	v_pk_add_f32 v[28:29], v[16:17], s[10:11] op_sel_hi:[0,1]
	v_mul_f32_e32 v3, v28, v29
	v_mul_f32_e32 v3, v3, v26
	v_div_scale_f32 v5, s[10:11], v27, v27, v3
	v_rcp_f32_e32 v13, v5
	s_nop 0
	v_fma_f32 v25, -v5, v13, 1.0
	v_fmac_f32_e32 v13, v25, v13
	v_div_scale_f32 v25, vcc, v3, v27, v3
	v_mul_f32_e32 v26, v25, v13
	v_fma_f32 v28, -v5, v26, v25
	v_fmac_f32_e32 v26, v28, v13
	v_fma_f32 v5, -v5, v26, v25
	v_div_fmas_f32 v5, v5, v13, v26
	v_div_fixup_f32 v3, v5, v27, v3
.LBB18_65:
	s_andn2_saveexec_b64 s[0:1], s[0:1]
; %bb.66:
	v_mov_b32_e32 v3, 1.0
	v_fmamk_f32 v3, v16, 0xbe800000, v3
; %bb.67:
	s_or_b64 exec, exec, s[0:1]
	v_add_f32_e32 v5, 0x4673a1bf, v24
	v_fmaak_f32 v5, v16, v5, 0xcb5fc0fa
	v_add_f32_e32 v13, 0x44822913, v24
	v_fmaak_f32 v5, v16, v5, 0x4fa1fbc8
	v_fmaak_f32 v13, v16, v13, 0x4918dbb5
	v_fmaak_f32 v5, v16, v5, 0xd364abdf
	v_fmaak_f32 v13, v16, v13, 0x4d803b1b
	v_fmaak_f32 v5, v16, v5, 0x569f5392
	v_fmaak_f32 v13, v16, v13, 0x51a0eed9
	v_fmaak_f32 v5, v16, v5, 0xd945090f
	v_fmaak_f32 v13, v16, v13, 0x5593afe6
	v_fmaak_f32 v5, v16, v5, 0x5b1d4a5b
	v_fmaak_f32 v13, v16, v13, 0x59344887
	v_fmaak_f32 v13, v16, v13, 0x5c5e92fe
	v_fmaak_f32 v5, v16, v5, 0xda836a5b
	v_div_scale_f32 v16, s[0:1], v13, v13, v5
	v_rcp_f32_e32 v24, v16
	s_mov_b32 s0, 0x800000
	v_cmp_gt_f32_e64 s[0:1], s0, v17
	s_mov_b32 s10, 0x3f317217
	v_fma_f32 v25, -v16, v24, 1.0
	v_fmac_f32_e32 v24, v25, v24
	v_div_scale_f32 v25, vcc, v5, v13, v5
	v_mul_f32_e32 v26, v25, v24
	v_fma_f32 v27, -v16, v26, v25
	v_fmac_f32_e32 v26, v27, v24
	v_fma_f32 v16, -v16, v26, v25
	v_mov_b32_e32 v25, 0x4f800000
	v_cndmask_b32_e64 v25, 1.0, v25, s[0:1]
	v_mul_f32_e32 v17, v17, v25
	v_log_f32_e32 v17, v17
	v_div_fmas_f32 v16, v16, v24, v26
	v_div_fixup_f32 v13, v16, v13, v5
	v_mul_f32_e32 v5, 0x3f317217, v17
	v_fma_f32 v16, v17, s10, -v5
	v_fmamk_f32 v16, v17, 0x3377d1cf, v16
	s_mov_b32 s10, 0x7f800000
	v_add_f32_e32 v5, v5, v16
	v_cmp_lt_f32_e64 vcc, |v17|, s10
	v_mov_b32_e32 v16, 0x41b17218
	v_cndmask_b32_e64 v16, 0, v16, s[0:1]
	v_cndmask_b32_e32 v5, v17, v5, vcc
	v_sub_f32_e32 v5, v5, v16
	v_mul_f32_e32 v5, 0x3f22f983, v5
	v_fmac_f32_e32 v13, v5, v3
.LBB18_68:
	s_or_b64 exec, exec, s[8:9]
.LBB18_69:
	s_or_b64 exec, exec, s[4:5]
                                        ; implicit-def: $vgpr16_vgpr17
.LBB18_70:
	s_andn2_saveexec_b64 s[8:9], s[2:3]
	s_cbranch_execz .LBB18_80
; %bb.71:
	v_add_f32_e32 v3, 0xbf490fdb, v17
	v_and_b32_e32 v5, 0x7fffffff, v3
	s_brev_b32 s0, 18
	v_cmp_nlt_f32_e64 s[10:11], |v3|, s0
	v_lshrrev_b32_e32 v26, 23, v5
                                        ; implicit-def: $vgpr13
                                        ; implicit-def: $vgpr16
	s_and_saveexec_b64 s[0:1], s[10:11]
	s_xor_b64 s[12:13], exec, s[0:1]
	s_cbranch_execz .LBB18_73
; %bb.72:
	v_add_u32_e32 v13, 0xffffff88, v26
	v_not_b32_e32 v16, 63
	v_cmp_lt_u32_e32 vcc, 63, v13
	s_mov_b32 s4, 0xfe5163ab
	v_mov_b32_e32 v25, 0
	v_cndmask_b32_e32 v16, 0, v16, vcc
	v_add_u32_e32 v13, v16, v13
	v_not_b32_e32 v16, 31
	v_cmp_lt_u32_e64 s[0:1], 31, v13
	s_nop 1
	v_cndmask_b32_e64 v24, 0, v16, s[0:1]
	v_add_u32_e32 v13, v24, v13
	v_cmp_lt_u32_e64 s[2:3], 31, v13
	s_nop 1
	v_cndmask_b32_e64 v16, 0, v16, s[2:3]
	v_add_u32_e32 v13, v16, v13
	v_and_b32_e32 v16, 0x7fffff, v5
	v_or_b32_e32 v16, 0x800000, v16
	v_mad_u64_u32 v[28:29], s[4:5], v16, s4, 0
	v_mov_b32_e32 v24, v29
	s_mov_b32 s4, 0x3c439041
	v_mad_u64_u32 v[30:31], s[4:5], v16, s4, v[24:25]
	v_mov_b32_e32 v24, v31
	s_mov_b32 s4, 0xdb629599
	;; [unrolled: 3-line block ×6, first 2 shown]
	v_mad_u64_u32 v[24:25], s[4:5], v16, s4, v[24:25]
	v_cndmask_b32_e32 v27, v38, v34, vcc
	v_cndmask_b32_e32 v16, v24, v36, vcc
	;; [unrolled: 1-line block ×3, first 2 shown]
	v_cndmask_b32_e64 v24, v16, v27, s[0:1]
	v_cndmask_b32_e64 v16, v25, v16, s[0:1]
	v_cndmask_b32_e32 v25, v36, v32, vcc
	v_cndmask_b32_e64 v27, v27, v25, s[0:1]
	v_cndmask_b32_e64 v16, v16, v24, s[2:3]
	v_cndmask_b32_e64 v24, v24, v27, s[2:3]
	v_sub_u32_e32 v29, 32, v13
	v_alignbit_b32 v31, v16, v24, v29
	v_cmp_eq_u32_e64 s[4:5], 0, v13
	v_cndmask_b32_e32 v28, v32, v28, vcc
	s_nop 0
	v_cndmask_b32_e64 v13, v31, v16, s[4:5]
	v_cndmask_b32_e32 v16, v34, v30, vcc
	v_cndmask_b32_e64 v25, v25, v16, s[0:1]
	v_cndmask_b32_e64 v27, v27, v25, s[2:3]
	v_alignbit_b32 v30, v24, v27, v29
	v_cndmask_b32_e64 v24, v30, v24, s[4:5]
	v_bfe_u32 v33, v13, 29, 1
	v_cndmask_b32_e64 v16, v16, v28, s[0:1]
	v_alignbit_b32 v30, v13, v24, 30
	v_sub_u32_e32 v34, 0, v33
	v_cndmask_b32_e64 v16, v25, v16, s[2:3]
	v_xor_b32_e32 v35, v30, v34
	v_alignbit_b32 v25, v27, v16, v29
	v_cndmask_b32_e64 v25, v25, v27, s[4:5]
	v_ffbh_u32_e32 v27, v35
	v_add_u32_e32 v27, 1, v27
	v_cmp_ne_u32_e32 vcc, v30, v34
	v_alignbit_b32 v24, v24, v25, 30
	v_alignbit_b32 v16, v25, v16, 30
	v_cndmask_b32_e32 v27, 33, v27, vcc
	v_xor_b32_e32 v24, v24, v34
	v_sub_u32_e32 v28, 32, v27
	v_xor_b32_e32 v16, v16, v34
	v_alignbit_b32 v29, v35, v24, v28
	v_alignbit_b32 v16, v24, v16, v28
	v_alignbit_b32 v24, v29, v16, 9
	v_ffbh_u32_e32 v25, v24
	v_min_u32_e32 v25, 32, v25
	v_lshrrev_b32_e32 v31, 29, v13
	v_sub_u32_e32 v28, 31, v25
	v_alignbit_b32 v16, v24, v16, v28
	v_lshlrev_b32_e32 v24, 31, v31
	v_or_b32_e32 v28, 0x33800000, v24
	v_add_lshl_u32 v25, v25, v27, 23
	v_lshrrev_b32_e32 v16, 9, v16
	v_sub_u32_e32 v25, v28, v25
	v_or_b32_e32 v16, v25, v16
	v_alignbit_b32 v25, v27, v29, 9
	v_or_b32_e32 v24, v25, v24
	v_xor_b32_e32 v24, 1.0, v24
	s_mov_b32 s0, 0x3fc90fda
	v_mul_f32_e32 v25, 0x3fc90fda, v24
	v_fma_f32 v27, v24, s0, -v25
	v_fmamk_f32 v24, v24, 0x33a22168, v27
	v_fmac_f32_e32 v24, 0x3fc90fda, v16
	v_lshrrev_b32_e32 v13, 30, v13
	v_add_f32_e32 v16, v25, v24
	v_add_u32_e32 v13, v33, v13
	s_andn2_saveexec_b64 s[0:1], s[12:13]
	s_branch .LBB18_74
.LBB18_73:
	s_andn2_saveexec_b64 s[0:1], s[12:13]
.LBB18_74:
	s_mov_b32 s2, 0x3f22f983
	v_mul_f32_e64 v13, |v3|, s2
	v_rndne_f32_e32 v16, v13
	s_mov_b32 s2, 0xbfc90fda
	v_cvt_i32_f32_e32 v13, v16
	v_fma_f32 v24, v16, s2, |v3|
	v_fmamk_f32 v24, v16, 0xb3a22168, v24
	v_fmamk_f32 v16, v16, 0xa7c234c4, v24
; %bb.75:
	s_or_b64 exec, exec, s[0:1]
                                        ; implicit-def: $vgpr24
                                        ; implicit-def: $vgpr25
	s_and_saveexec_b64 s[0:1], s[10:11]
	s_xor_b64 s[10:11], exec, s[0:1]
	s_cbranch_execz .LBB18_77
; %bb.76:
	v_add_u32_e32 v24, 0xffffff88, v26
	v_not_b32_e32 v26, 63
	v_cmp_lt_u32_e32 vcc, 63, v24
	s_mov_b32 s4, 0xfe5163ab
	v_mov_b32_e32 v25, 0
	v_cndmask_b32_e32 v26, 0, v26, vcc
	v_add_u32_e32 v24, v26, v24
	v_not_b32_e32 v26, 31
	v_cmp_lt_u32_e64 s[0:1], 31, v24
	s_nop 1
	v_cndmask_b32_e64 v27, 0, v26, s[0:1]
	v_add_u32_e32 v24, v27, v24
	v_cmp_lt_u32_e64 s[2:3], 31, v24
	s_nop 1
	v_cndmask_b32_e64 v26, 0, v26, s[2:3]
	v_add_u32_e32 v38, v26, v24
	v_and_b32_e32 v24, 0x7fffff, v5
	v_or_b32_e32 v39, 0x800000, v24
	v_mad_u64_u32 v[26:27], s[4:5], v39, s4, 0
	v_mov_b32_e32 v24, v27
	s_mov_b32 s4, 0x3c439041
	v_mad_u64_u32 v[28:29], s[4:5], v39, s4, v[24:25]
	v_mov_b32_e32 v24, v29
	s_mov_b32 s4, 0xdb629599
	;; [unrolled: 3-line block ×6, first 2 shown]
	v_mad_u64_u32 v[24:25], s[4:5], v39, s4, v[24:25]
	v_cndmask_b32_e32 v27, v36, v32, vcc
	v_cndmask_b32_e32 v24, v24, v34, vcc
	;; [unrolled: 1-line block ×3, first 2 shown]
	v_cndmask_b32_e64 v29, v24, v27, s[0:1]
	v_cndmask_b32_e64 v24, v25, v24, s[0:1]
	v_cndmask_b32_e32 v25, v34, v30, vcc
	v_cndmask_b32_e64 v27, v27, v25, s[0:1]
	v_cndmask_b32_e32 v28, v32, v28, vcc
	v_cndmask_b32_e64 v24, v24, v29, s[2:3]
	v_cndmask_b32_e64 v29, v29, v27, s[2:3]
	v_sub_u32_e32 v31, 32, v38
	v_cndmask_b32_e64 v25, v25, v28, s[0:1]
	v_alignbit_b32 v33, v24, v29, v31
	v_cmp_eq_u32_e64 s[4:5], 0, v38
	v_cndmask_b32_e64 v27, v27, v25, s[2:3]
	v_alignbit_b32 v32, v29, v27, v31
	v_cndmask_b32_e64 v24, v33, v24, s[4:5]
	v_cndmask_b32_e64 v29, v32, v29, s[4:5]
	v_bfe_u32 v34, v24, 29, 1
	v_cndmask_b32_e32 v26, v30, v26, vcc
	v_alignbit_b32 v32, v24, v29, 30
	v_sub_u32_e32 v35, 0, v34
	v_cndmask_b32_e64 v26, v28, v26, s[0:1]
	v_xor_b32_e32 v36, v32, v35
	v_cndmask_b32_e64 v25, v25, v26, s[2:3]
	v_alignbit_b32 v26, v27, v25, v31
	v_ffbh_u32_e32 v28, v36
	v_cndmask_b32_e64 v26, v26, v27, s[4:5]
	v_add_u32_e32 v28, 1, v28
	v_cmp_ne_u32_e32 vcc, v32, v35
	v_alignbit_b32 v27, v29, v26, 30
	v_alignbit_b32 v25, v26, v25, 30
	v_cndmask_b32_e32 v28, 33, v28, vcc
	v_xor_b32_e32 v27, v27, v35
	v_sub_u32_e32 v29, 32, v28
	v_xor_b32_e32 v25, v25, v35
	v_alignbit_b32 v30, v36, v27, v29
	v_alignbit_b32 v25, v27, v25, v29
	;; [unrolled: 1-line block ×3, first 2 shown]
	v_ffbh_u32_e32 v27, v26
	v_min_u32_e32 v27, 32, v27
	v_lshrrev_b32_e32 v33, 29, v24
	v_sub_u32_e32 v29, 31, v27
	v_alignbit_b32 v25, v26, v25, v29
	v_lshlrev_b32_e32 v26, 31, v33
	v_or_b32_e32 v29, 0x33800000, v26
	v_add_lshl_u32 v27, v27, v28, 23
	v_lshrrev_b32_e32 v25, 9, v25
	v_sub_u32_e32 v27, v29, v27
	v_or_b32_e32 v25, v27, v25
	v_alignbit_b32 v27, v28, v30, 9
	v_or_b32_e32 v26, v27, v26
	v_xor_b32_e32 v26, 1.0, v26
	s_mov_b32 s0, 0x3fc90fda
	v_mul_f32_e32 v27, 0x3fc90fda, v26
	v_fma_f32 v28, v26, s0, -v27
	v_fmamk_f32 v26, v26, 0x33a22168, v28
	v_fmac_f32_e32 v26, 0x3fc90fda, v25
	v_lshrrev_b32_e32 v24, 30, v24
	v_add_f32_e32 v25, v27, v26
	v_add_u32_e32 v24, v34, v24
	s_andn2_saveexec_b64 s[0:1], s[10:11]
	s_cbranch_execnz .LBB18_78
	s_branch .LBB18_79
.LBB18_77:
	s_andn2_saveexec_b64 s[0:1], s[10:11]
.LBB18_78:
	s_mov_b32 s2, 0x3f22f983
	v_mul_f32_e64 v24, |v3|, s2
	v_rndne_f32_e32 v25, v24
	s_mov_b32 s2, 0xbfc90fda
	v_cvt_i32_f32_e32 v24, v25
	v_fma_f32 v26, v25, s2, |v3|
	v_fmamk_f32 v26, v25, 0xb3a22168, v26
	v_fmamk_f32 v25, v25, 0xa7c234c4, v26
.LBB18_79:
	s_or_b64 exec, exec, s[0:1]
	v_mul_f32_e32 v26, v17, v17
	s_mov_b32 s2, 0x41c80000
	v_div_scale_f32 v27, s[0:1], v26, v26, s2
	v_rcp_f32_e32 v28, v27
	v_xor_b32_e32 v5, v5, v3
	s_mov_b32 s4, 0x40a00000
	v_mov_b32_e32 v35, 0xbf000004
	v_fma_f32 v29, -v27, v28, 1.0
	v_fmac_f32_e32 v28, v29, v28
	v_div_scale_f32 v29, vcc, s2, v26, s2
	v_mul_f32_e32 v30, v29, v28
	v_fma_f32 v31, -v27, v30, v29
	v_fmac_f32_e32 v30, v31, v28
	v_fma_f32 v27, -v27, v30, v29
	v_div_fmas_f32 v27, v27, v28, v30
	v_div_fixup_f32 v26, v27, v26, s2
	v_mov_b32_e32 v27, 0x3a50e985
	v_mov_b32_e32 v28, 0x3a725406
	v_fmac_f32_e32 v27, 0, v26
	v_fmac_f32_e32 v28, 0, v26
	v_fmaak_f32 v27, v26, v27, 0x3da9a586
	v_fmaak_f32 v28, v26, v28, 0x3daf5e2d
	;; [unrolled: 1-line block ×8, first 2 shown]
	v_mov_b32_e32 v29, 0xbc3a3a12
	v_fmaak_f32 v27, v26, v27, 0x40a9b425
	v_fmaak_f32 v28, v26, v28, 0x40a9cb2f
	v_fmac_f32_e32 v29, 0, v26
	v_mov_b32_e32 v30, 0x4280a2ba
	v_fma_f32 v28, v26, v28, 1.0
	v_fmaak_f32 v29, v26, v29, 0xbfa429da
	v_fmac_f32_e32 v30, 0, v26
	v_fma_f32 v27, v26, v27, 1.0
	v_fmaak_f32 v29, v26, v29, 0xc19c6e80
	v_fmaak_f32 v30, v26, v30, 0x44561b86
	v_div_scale_f32 v31, s[0:1], v28, v28, v27
	v_fmaak_f32 v29, v26, v29, 0xc2ba697b
	v_fmaak_f32 v30, v26, v30, 0x4572a66e
	v_rcp_f32_e32 v32, v31
	v_fmaak_f32 v29, v26, v29, 0xc331ae61
	v_fmaak_f32 v30, v26, v30, 0x45e243be
	;; [unrolled: 1-line block ×8, first 2 shown]
	v_fma_f32 v30, -v31, v32, 1.0
	v_fmac_f32_e32 v32, v30, v32
	v_div_scale_f32 v30, vcc, v27, v28, v27
	v_mul_f32_e32 v33, v30, v32
	v_fma_f32 v34, -v31, v33, v30
	v_fmac_f32_e32 v33, v34, v32
	v_fma_f32 v30, -v31, v33, v30
	v_div_fmas_f32 v30, v30, v32, v33
	v_div_fixup_f32 v27, v30, v28, v27
	v_mul_f32_e32 v28, v16, v16
	v_mov_b32_e32 v30, 0x3c0881c4
	v_fmamk_f32 v31, v28, 0xb94c1982, v30
	v_fmaak_f32 v31, v28, v31, 0xbe2aaa9d
	v_mul_f32_e32 v31, v28, v31
	v_fmac_f32_e32 v16, v16, v31
	v_mov_b32_e32 v31, 0xbab64f3b
	v_fmamk_f32 v33, v28, 0x37d75334, v31
	v_fmaak_f32 v33, v28, v33, 0x3d2aabf7
	v_fmaak_f32 v33, v28, v33, 0xbf000004
	v_fma_f32 v28, v28, v33, 1.0
	v_and_b32_e32 v33, 1, v13
	v_lshlrev_b32_e32 v13, 30, v13
	v_cmp_eq_u32_e32 vcc, 0, v33
	v_and_b32_e32 v13, 0x80000000, v13
	v_xor_b32_e32 v5, v5, v13
	v_cndmask_b32_e32 v16, v28, v16, vcc
	v_div_scale_f32 v13, s[0:1], v17, v17, s4
	v_xor_b32_e32 v5, v5, v16
	v_rcp_f32_e32 v16, v13
	s_movk_i32 s2, 0x1f8
	v_mov_b32_e32 v28, 0x7fc00000
	v_cmp_class_f32_e64 s[0:1], v3, s2
	v_mov_b32_e32 v32, 0xbe2aaa9d
	v_mov_b32_e32 v34, 0x3d2aabf7
	v_cndmask_b32_e64 v3, v28, v5, s[0:1]
	v_fma_f32 v5, -v13, v16, 1.0
	v_fmac_f32_e32 v16, v5, v16
	v_div_scale_f32 v5, vcc, s4, v17, s4
	v_mul_f32_e32 v33, v5, v16
	v_fma_f32 v36, -v13, v33, v5
	v_fmac_f32_e32 v33, v36, v16
	v_fma_f32 v5, -v13, v33, v5
	v_div_scale_f32 v13, s[2:3], v26, v26, v29
	v_rcp_f32_e32 v36, v13
	v_div_fmas_f32 v5, v5, v16, v33
	v_div_fixup_f32 v5, v5, v17, s4
	v_fma_f32 v16, -v13, v36, 1.0
	v_fmac_f32_e32 v36, v16, v36
	v_div_scale_f32 v16, vcc, v29, v26, v29
	v_mul_f32_e32 v33, v16, v36
	v_fma_f32 v37, -v13, v33, v16
	v_fmac_f32_e32 v33, v37, v36
	v_fma_f32 v13, -v13, v33, v16
	v_div_fmas_f32 v13, v13, v36, v33
	v_div_fixup_f32 v13, v13, v26, v29
	v_mul_f32_e32 v5, v5, v13
	v_mul_f32_e32 v13, v25, v25
	v_fmac_f32_e32 v30, 0xb94c1982, v13
	v_fmac_f32_e32 v32, v13, v30
	v_fmac_f32_e32 v31, 0x37d75334, v13
	v_mul_f32_e32 v16, v13, v32
	v_fmac_f32_e32 v34, v13, v31
	v_fmac_f32_e32 v25, v25, v16
	;; [unrolled: 1-line block ×3, first 2 shown]
	v_and_b32_e32 v16, 1, v24
	v_fma_f32 v13, v13, v35, 1.0
	v_cmp_eq_u32_e32 vcc, 0, v16
	v_lshlrev_b32_e32 v16, 30, v24
	v_and_b32_e32 v16, 0x80000000, v16
	v_cndmask_b32_e64 v13, -v25, v13, vcc
	v_xor_b32_e32 v13, v16, v13
	v_cndmask_b32_e64 v13, v28, v13, s[0:1]
	s_mov_b32 s0, 0xf800000
	v_mul_f32_e32 v16, 0x4f800000, v17
	v_cmp_gt_f32_e32 vcc, s0, v17
	v_mul_f32_e32 v5, v5, v13
	v_fmac_f32_e32 v5, v27, v3
	v_cndmask_b32_e32 v16, v17, v16, vcc
	v_sqrt_f32_e32 v17, v16
	v_mul_f32_e32 v3, 0x3f4c422a, v5
	v_add_u32_e32 v5, -1, v17
	v_fma_f32 v13, -v5, v17, v16
	v_cmp_ge_f32_e64 s[0:1], 0, v13
	v_add_u32_e32 v13, 1, v17
	s_nop 0
	v_cndmask_b32_e64 v5, v17, v5, s[0:1]
	v_fma_f32 v17, -v13, v17, v16
	v_cmp_lt_f32_e64 s[0:1], 0, v17
	s_nop 1
	v_cndmask_b32_e64 v5, v5, v13, s[0:1]
	v_mul_f32_e32 v13, 0x37800000, v5
	v_cndmask_b32_e32 v5, v5, v13, vcc
	v_mov_b32_e32 v13, 0x260
	v_cmp_class_f32_e32 vcc, v16, v13
	s_nop 1
	v_cndmask_b32_e32 v5, v5, v16, vcc
	v_div_scale_f32 v13, s[0:1], v5, v5, v3
	v_rcp_f32_e32 v16, v13
	s_nop 0
	v_fma_f32 v17, -v13, v16, 1.0
	v_fmac_f32_e32 v16, v17, v16
	v_div_scale_f32 v17, vcc, v3, v5, v3
	v_mul_f32_e32 v24, v17, v16
	v_fma_f32 v25, -v13, v24, v17
	v_fmac_f32_e32 v24, v25, v16
	v_fma_f32 v13, -v13, v24, v17
	v_div_fmas_f32 v13, v13, v16, v24
	v_div_fixup_f32 v13, v13, v5, v3
.LBB18_80:
	s_or_b64 exec, exec, s[8:9]
	s_mov_b32 s0, 0x40a00000
	v_cmp_ge_f32_e32 vcc, s0, v20
                                        ; implicit-def: $vgpr16
	s_and_saveexec_b64 s[0:1], vcc
	s_xor_b64 s[2:3], exec, s[0:1]
	s_cbranch_execz .LBB18_90
; %bb.81:
	v_cmp_neq_f32_e32 vcc, 0, v20
	v_mov_b32_e32 v16, 0xff800000
	s_and_saveexec_b64 s[4:5], vcc
	s_cbranch_execz .LBB18_89
; %bb.82:
	v_cmp_ngt_f32_e32 vcc, 0, v20
	v_mov_b32_e32 v16, 0x7fc00000
	s_and_saveexec_b64 s[8:9], vcc
	s_cbranch_execz .LBB18_88
; %bb.83:
	v_mul_f32_e32 v16, v20, v20
	s_mov_b32 s0, 0x3727c5ac
	v_mul_f32_e32 v24, 0, v16
	v_cmp_ngt_f32_e32 vcc, s0, v20
                                        ; implicit-def: $vgpr3
	s_and_saveexec_b64 s[0:1], vcc
	s_xor_b64 s[0:1], exec, s[0:1]
	s_cbranch_execz .LBB18_85
; %bb.84:
	v_add_f32_e32 v3, 0x43f9c815, v24
	v_fmaak_f32 v3, v16, v3, 0x4829b65a
	v_fmaak_f32 v3, v16, v3, 0x4c38c9a1
	v_fmaak_f32 v3, v16, v3, 0x5026ad80
	s_mov_b32 s10, 0xcf8ee29d
	v_mul_f32_e32 v25, v16, v3
	s_mov_b32 s11, 0x53f5f59c
	v_pk_add_f32 v[26:27], v[24:25], s[10:11]
	s_mov_b32 s10, 0x53e3ba8e
	s_mov_b32 s11, 0x578d3514
	v_pk_fma_f32 v[26:27], v[16:17], v[26:27], s[10:11] op_sel_hi:[0,1,1]
	s_mov_b32 s10, 0xd762b0a7
	s_mov_b32 s11, 0x5ae20a0c
	v_pk_fma_f32 v[26:27], v[16:17], v[26:27], s[10:11] op_sel_hi:[0,1,1]
	;; [unrolled: 3-line block ×3, first 2 shown]
	s_mov_b32 s10, 0xc0b90fdc
	s_mov_b32 s11, 0xc1f3c525
	v_pk_add_f32 v[28:29], v[16:17], s[10:11] op_sel_hi:[0,1]
	v_mul_f32_e32 v3, v28, v29
	v_mul_f32_e32 v3, v3, v26
	v_div_scale_f32 v5, s[10:11], v27, v27, v3
	v_rcp_f32_e32 v17, v5
	s_nop 0
	v_fma_f32 v25, -v5, v17, 1.0
	v_fmac_f32_e32 v17, v25, v17
	v_div_scale_f32 v25, vcc, v3, v27, v3
	v_mul_f32_e32 v26, v25, v17
	v_fma_f32 v28, -v5, v26, v25
	v_fmac_f32_e32 v26, v28, v17
	v_fma_f32 v5, -v5, v26, v25
	v_div_fmas_f32 v5, v5, v17, v26
	v_div_fixup_f32 v3, v5, v27, v3
.LBB18_85:
	s_andn2_saveexec_b64 s[0:1], s[0:1]
; %bb.86:
	v_mov_b32_e32 v3, 1.0
	v_fmamk_f32 v3, v16, 0xbe800000, v3
; %bb.87:
	s_or_b64 exec, exec, s[0:1]
	v_add_f32_e32 v5, 0x4673a1bf, v24
	v_fmaak_f32 v5, v16, v5, 0xcb5fc0fa
	v_add_f32_e32 v17, 0x44822913, v24
	v_fmaak_f32 v5, v16, v5, 0x4fa1fbc8
	v_fmaak_f32 v17, v16, v17, 0x4918dbb5
	;; [unrolled: 1-line block ×12, first 2 shown]
	v_div_scale_f32 v16, s[0:1], v17, v17, v5
	v_rcp_f32_e32 v24, v16
	s_mov_b32 s0, 0x800000
	v_cmp_gt_f32_e64 s[0:1], s0, v20
	s_mov_b32 s10, 0x3f317217
	v_fma_f32 v25, -v16, v24, 1.0
	v_fmac_f32_e32 v24, v25, v24
	v_div_scale_f32 v25, vcc, v5, v17, v5
	v_mul_f32_e32 v26, v25, v24
	v_fma_f32 v27, -v16, v26, v25
	v_fmac_f32_e32 v26, v27, v24
	v_fma_f32 v16, -v16, v26, v25
	v_mov_b32_e32 v25, 0x4f800000
	v_cndmask_b32_e64 v25, 1.0, v25, s[0:1]
	v_mul_f32_e32 v25, v20, v25
	v_log_f32_e32 v25, v25
	v_div_fmas_f32 v16, v16, v24, v26
	v_div_fixup_f32 v16, v16, v17, v5
	v_mul_f32_e32 v5, 0x3f317217, v25
	v_fma_f32 v17, v25, s10, -v5
	v_fmamk_f32 v17, v25, 0x3377d1cf, v17
	s_mov_b32 s10, 0x7f800000
	v_add_f32_e32 v5, v5, v17
	v_cmp_lt_f32_e64 vcc, |v25|, s10
	v_mov_b32_e32 v17, 0x41b17218
	v_cndmask_b32_e64 v17, 0, v17, s[0:1]
	v_cndmask_b32_e32 v5, v25, v5, vcc
	v_sub_f32_e32 v5, v5, v17
	v_mul_f32_e32 v5, 0x3f22f983, v5
	v_fmac_f32_e32 v16, v5, v3
.LBB18_88:
	s_or_b64 exec, exec, s[8:9]
.LBB18_89:
	s_or_b64 exec, exec, s[4:5]
.LBB18_90:
	s_andn2_saveexec_b64 s[8:9], s[2:3]
	s_cbranch_execz .LBB18_100
; %bb.91:
	v_add_f32_e32 v3, 0xbf490fdb, v20
	v_and_b32_e32 v5, 0x7fffffff, v3
	s_brev_b32 s0, 18
	v_cmp_nlt_f32_e64 s[10:11], |v3|, s0
	v_lshrrev_b32_e32 v26, 23, v5
                                        ; implicit-def: $vgpr16
                                        ; implicit-def: $vgpr17
	s_and_saveexec_b64 s[0:1], s[10:11]
	s_xor_b64 s[12:13], exec, s[0:1]
	s_cbranch_execz .LBB18_93
; %bb.92:
	v_add_u32_e32 v16, 0xffffff88, v26
	v_not_b32_e32 v24, 63
	v_cmp_lt_u32_e32 vcc, 63, v16
	s_mov_b32 s4, 0xfe5163ab
	v_mov_b32_e32 v17, 0
	v_cndmask_b32_e32 v24, 0, v24, vcc
	v_add_u32_e32 v16, v24, v16
	v_not_b32_e32 v24, 31
	v_cmp_lt_u32_e64 s[0:1], 31, v16
	s_nop 1
	v_cndmask_b32_e64 v25, 0, v24, s[0:1]
	v_add_u32_e32 v16, v25, v16
	v_cmp_lt_u32_e64 s[2:3], 31, v16
	s_nop 1
	v_cndmask_b32_e64 v24, 0, v24, s[2:3]
	v_add_u32_e32 v27, v24, v16
	v_and_b32_e32 v16, 0x7fffff, v5
	v_or_b32_e32 v38, 0x800000, v16
	v_mad_u64_u32 v[24:25], s[4:5], v38, s4, 0
	v_mov_b32_e32 v16, v25
	s_mov_b32 s4, 0x3c439041
	v_mad_u64_u32 v[28:29], s[4:5], v38, s4, v[16:17]
	v_mov_b32_e32 v16, v29
	s_mov_b32 s4, 0xdb629599
	;; [unrolled: 3-line block ×6, first 2 shown]
	v_mad_u64_u32 v[16:17], s[4:5], v38, s4, v[16:17]
	v_cndmask_b32_e32 v25, v36, v32, vcc
	v_cndmask_b32_e32 v16, v16, v34, vcc
	;; [unrolled: 1-line block ×3, first 2 shown]
	v_cndmask_b32_e64 v29, v16, v25, s[0:1]
	v_cndmask_b32_e64 v16, v17, v16, s[0:1]
	v_cndmask_b32_e32 v17, v34, v30, vcc
	v_cndmask_b32_e64 v25, v25, v17, s[0:1]
	v_sub_u32_e32 v31, 32, v27
	v_cmp_eq_u32_e64 s[4:5], 0, v27
	v_cndmask_b32_e32 v27, v32, v28, vcc
	v_cndmask_b32_e64 v16, v16, v29, s[2:3]
	v_cndmask_b32_e64 v29, v29, v25, s[2:3]
	;; [unrolled: 1-line block ×3, first 2 shown]
	v_alignbit_b32 v33, v16, v29, v31
	v_cndmask_b32_e64 v25, v25, v17, s[2:3]
	v_cndmask_b32_e64 v16, v33, v16, s[4:5]
	v_alignbit_b32 v28, v29, v25, v31
	v_cndmask_b32_e64 v28, v28, v29, s[4:5]
	v_bfe_u32 v33, v16, 29, 1
	v_cndmask_b32_e32 v24, v30, v24, vcc
	v_alignbit_b32 v29, v16, v28, 30
	v_sub_u32_e32 v34, 0, v33
	v_cndmask_b32_e64 v24, v27, v24, s[0:1]
	v_xor_b32_e32 v35, v29, v34
	v_cndmask_b32_e64 v17, v17, v24, s[2:3]
	v_alignbit_b32 v24, v25, v17, v31
	v_ffbh_u32_e32 v27, v35
	v_cndmask_b32_e64 v24, v24, v25, s[4:5]
	v_add_u32_e32 v27, 1, v27
	v_cmp_ne_u32_e32 vcc, v29, v34
	v_alignbit_b32 v25, v28, v24, 30
	v_alignbit_b32 v17, v24, v17, 30
	v_cndmask_b32_e32 v27, 33, v27, vcc
	v_xor_b32_e32 v25, v25, v34
	v_sub_u32_e32 v28, 32, v27
	v_xor_b32_e32 v17, v17, v34
	v_alignbit_b32 v29, v35, v25, v28
	v_alignbit_b32 v17, v25, v17, v28
	;; [unrolled: 1-line block ×3, first 2 shown]
	v_ffbh_u32_e32 v25, v24
	v_min_u32_e32 v25, 32, v25
	v_lshrrev_b32_e32 v32, 29, v16
	v_sub_u32_e32 v28, 31, v25
	v_alignbit_b32 v17, v24, v17, v28
	v_lshlrev_b32_e32 v24, 31, v32
	v_or_b32_e32 v28, 0x33800000, v24
	v_add_lshl_u32 v25, v25, v27, 23
	v_lshrrev_b32_e32 v17, 9, v17
	v_sub_u32_e32 v25, v28, v25
	v_or_b32_e32 v17, v25, v17
	v_alignbit_b32 v25, v27, v29, 9
	v_or_b32_e32 v24, v25, v24
	v_xor_b32_e32 v24, 1.0, v24
	s_mov_b32 s0, 0x3fc90fda
	v_mul_f32_e32 v25, 0x3fc90fda, v24
	v_fma_f32 v27, v24, s0, -v25
	v_fmamk_f32 v24, v24, 0x33a22168, v27
	v_fmac_f32_e32 v24, 0x3fc90fda, v17
	v_lshrrev_b32_e32 v16, 30, v16
	v_add_f32_e32 v17, v25, v24
	v_add_u32_e32 v16, v33, v16
	s_andn2_saveexec_b64 s[0:1], s[12:13]
	s_branch .LBB18_94
.LBB18_93:
	s_andn2_saveexec_b64 s[0:1], s[12:13]
.LBB18_94:
	s_mov_b32 s2, 0x3f22f983
	v_mul_f32_e64 v16, |v3|, s2
	v_rndne_f32_e32 v17, v16
	s_mov_b32 s2, 0xbfc90fda
	v_cvt_i32_f32_e32 v16, v17
	v_fma_f32 v24, v17, s2, |v3|
	v_fmamk_f32 v24, v17, 0xb3a22168, v24
	v_fmamk_f32 v17, v17, 0xa7c234c4, v24
; %bb.95:
	s_or_b64 exec, exec, s[0:1]
                                        ; implicit-def: $vgpr24
                                        ; implicit-def: $vgpr25
	s_and_saveexec_b64 s[0:1], s[10:11]
	s_xor_b64 s[10:11], exec, s[0:1]
	s_cbranch_execz .LBB18_97
; %bb.96:
	v_add_u32_e32 v24, 0xffffff88, v26
	v_not_b32_e32 v26, 63
	v_cmp_lt_u32_e32 vcc, 63, v24
	s_mov_b32 s4, 0xfe5163ab
	v_mov_b32_e32 v25, 0
	v_cndmask_b32_e32 v26, 0, v26, vcc
	v_add_u32_e32 v24, v26, v24
	v_not_b32_e32 v26, 31
	v_cmp_lt_u32_e64 s[0:1], 31, v24
	s_nop 1
	v_cndmask_b32_e64 v27, 0, v26, s[0:1]
	v_add_u32_e32 v24, v27, v24
	v_cmp_lt_u32_e64 s[2:3], 31, v24
	s_nop 1
	v_cndmask_b32_e64 v26, 0, v26, s[2:3]
	v_add_u32_e32 v38, v26, v24
	v_and_b32_e32 v24, 0x7fffff, v5
	v_or_b32_e32 v39, 0x800000, v24
	v_mad_u64_u32 v[26:27], s[4:5], v39, s4, 0
	v_mov_b32_e32 v24, v27
	s_mov_b32 s4, 0x3c439041
	v_mad_u64_u32 v[28:29], s[4:5], v39, s4, v[24:25]
	v_mov_b32_e32 v24, v29
	s_mov_b32 s4, 0xdb629599
	;; [unrolled: 3-line block ×6, first 2 shown]
	v_mad_u64_u32 v[24:25], s[4:5], v39, s4, v[24:25]
	v_cndmask_b32_e32 v27, v36, v32, vcc
	v_cndmask_b32_e32 v24, v24, v34, vcc
	;; [unrolled: 1-line block ×3, first 2 shown]
	v_cndmask_b32_e64 v29, v24, v27, s[0:1]
	v_cndmask_b32_e64 v24, v25, v24, s[0:1]
	v_cndmask_b32_e32 v25, v34, v30, vcc
	v_cndmask_b32_e64 v27, v27, v25, s[0:1]
	v_cndmask_b32_e32 v28, v32, v28, vcc
	v_cndmask_b32_e64 v24, v24, v29, s[2:3]
	v_cndmask_b32_e64 v29, v29, v27, s[2:3]
	v_sub_u32_e32 v31, 32, v38
	v_cndmask_b32_e64 v25, v25, v28, s[0:1]
	v_alignbit_b32 v33, v24, v29, v31
	v_cmp_eq_u32_e64 s[4:5], 0, v38
	v_cndmask_b32_e64 v27, v27, v25, s[2:3]
	v_alignbit_b32 v32, v29, v27, v31
	v_cndmask_b32_e64 v24, v33, v24, s[4:5]
	v_cndmask_b32_e64 v29, v32, v29, s[4:5]
	v_bfe_u32 v34, v24, 29, 1
	v_cndmask_b32_e32 v26, v30, v26, vcc
	v_alignbit_b32 v32, v24, v29, 30
	v_sub_u32_e32 v35, 0, v34
	v_cndmask_b32_e64 v26, v28, v26, s[0:1]
	v_xor_b32_e32 v36, v32, v35
	v_cndmask_b32_e64 v25, v25, v26, s[2:3]
	v_alignbit_b32 v26, v27, v25, v31
	v_ffbh_u32_e32 v28, v36
	v_cndmask_b32_e64 v26, v26, v27, s[4:5]
	v_add_u32_e32 v28, 1, v28
	v_cmp_ne_u32_e32 vcc, v32, v35
	v_alignbit_b32 v27, v29, v26, 30
	v_alignbit_b32 v25, v26, v25, 30
	v_cndmask_b32_e32 v28, 33, v28, vcc
	v_xor_b32_e32 v27, v27, v35
	v_sub_u32_e32 v29, 32, v28
	v_xor_b32_e32 v25, v25, v35
	v_alignbit_b32 v30, v36, v27, v29
	v_alignbit_b32 v25, v27, v25, v29
	;; [unrolled: 1-line block ×3, first 2 shown]
	v_ffbh_u32_e32 v27, v26
	v_min_u32_e32 v27, 32, v27
	v_lshrrev_b32_e32 v33, 29, v24
	v_sub_u32_e32 v29, 31, v27
	v_alignbit_b32 v25, v26, v25, v29
	v_lshlrev_b32_e32 v26, 31, v33
	v_or_b32_e32 v29, 0x33800000, v26
	v_add_lshl_u32 v27, v27, v28, 23
	v_lshrrev_b32_e32 v25, 9, v25
	v_sub_u32_e32 v27, v29, v27
	v_or_b32_e32 v25, v27, v25
	v_alignbit_b32 v27, v28, v30, 9
	v_or_b32_e32 v26, v27, v26
	v_xor_b32_e32 v26, 1.0, v26
	s_mov_b32 s0, 0x3fc90fda
	v_mul_f32_e32 v27, 0x3fc90fda, v26
	v_fma_f32 v28, v26, s0, -v27
	v_fmamk_f32 v26, v26, 0x33a22168, v28
	v_fmac_f32_e32 v26, 0x3fc90fda, v25
	v_lshrrev_b32_e32 v24, 30, v24
	v_add_f32_e32 v25, v27, v26
	v_add_u32_e32 v24, v34, v24
	s_andn2_saveexec_b64 s[0:1], s[10:11]
	s_cbranch_execnz .LBB18_98
	s_branch .LBB18_99
.LBB18_97:
	s_andn2_saveexec_b64 s[0:1], s[10:11]
.LBB18_98:
	s_mov_b32 s2, 0x3f22f983
	v_mul_f32_e64 v24, |v3|, s2
	v_rndne_f32_e32 v25, v24
	s_mov_b32 s2, 0xbfc90fda
	v_cvt_i32_f32_e32 v24, v25
	v_fma_f32 v26, v25, s2, |v3|
	v_fmamk_f32 v26, v25, 0xb3a22168, v26
	v_fmamk_f32 v25, v25, 0xa7c234c4, v26
.LBB18_99:
	s_or_b64 exec, exec, s[0:1]
	v_mul_f32_e32 v26, v20, v20
	s_mov_b32 s2, 0x41c80000
	v_div_scale_f32 v27, s[0:1], v26, v26, s2
	v_rcp_f32_e32 v28, v27
	v_xor_b32_e32 v5, v5, v3
	s_mov_b32 s4, 0x40a00000
	v_mov_b32_e32 v35, 0xbf000004
	v_fma_f32 v29, -v27, v28, 1.0
	v_fmac_f32_e32 v28, v29, v28
	v_div_scale_f32 v29, vcc, s2, v26, s2
	v_mul_f32_e32 v30, v29, v28
	v_fma_f32 v31, -v27, v30, v29
	v_fmac_f32_e32 v30, v31, v28
	v_fma_f32 v27, -v27, v30, v29
	v_div_fmas_f32 v27, v27, v28, v30
	v_div_fixup_f32 v26, v27, v26, s2
	v_mov_b32_e32 v27, 0x3a50e985
	v_mov_b32_e32 v28, 0x3a725406
	v_fmac_f32_e32 v27, 0, v26
	v_fmac_f32_e32 v28, 0, v26
	v_fmaak_f32 v27, v26, v27, 0x3da9a586
	v_fmaak_f32 v28, v26, v28, 0x3daf5e2d
	;; [unrolled: 1-line block ×8, first 2 shown]
	v_mov_b32_e32 v29, 0xbc3a3a12
	v_fmaak_f32 v27, v26, v27, 0x40a9b425
	v_fmaak_f32 v28, v26, v28, 0x40a9cb2f
	v_fmac_f32_e32 v29, 0, v26
	v_mov_b32_e32 v30, 0x4280a2ba
	v_fma_f32 v28, v26, v28, 1.0
	v_fmaak_f32 v29, v26, v29, 0xbfa429da
	v_fmac_f32_e32 v30, 0, v26
	v_fma_f32 v27, v26, v27, 1.0
	v_fmaak_f32 v29, v26, v29, 0xc19c6e80
	v_fmaak_f32 v30, v26, v30, 0x44561b86
	v_div_scale_f32 v31, s[0:1], v28, v28, v27
	v_fmaak_f32 v29, v26, v29, 0xc2ba697b
	v_fmaak_f32 v30, v26, v30, 0x4572a66e
	v_rcp_f32_e32 v32, v31
	v_fmaak_f32 v29, v26, v29, 0xc331ae61
	v_fmaak_f32 v30, v26, v30, 0x45e243be
	;; [unrolled: 1-line block ×8, first 2 shown]
	v_fma_f32 v30, -v31, v32, 1.0
	v_fmac_f32_e32 v32, v30, v32
	v_div_scale_f32 v30, vcc, v27, v28, v27
	v_mul_f32_e32 v33, v30, v32
	v_fma_f32 v34, -v31, v33, v30
	v_fmac_f32_e32 v33, v34, v32
	v_fma_f32 v30, -v31, v33, v30
	v_div_fmas_f32 v30, v30, v32, v33
	v_div_fixup_f32 v27, v30, v28, v27
	v_mul_f32_e32 v28, v17, v17
	v_mov_b32_e32 v30, 0x3c0881c4
	v_fmamk_f32 v31, v28, 0xb94c1982, v30
	v_fmaak_f32 v31, v28, v31, 0xbe2aaa9d
	v_mul_f32_e32 v31, v28, v31
	v_fmac_f32_e32 v17, v17, v31
	v_mov_b32_e32 v31, 0xbab64f3b
	v_fmamk_f32 v33, v28, 0x37d75334, v31
	v_fmaak_f32 v33, v28, v33, 0x3d2aabf7
	v_fmaak_f32 v33, v28, v33, 0xbf000004
	v_fma_f32 v28, v28, v33, 1.0
	v_and_b32_e32 v33, 1, v16
	v_lshlrev_b32_e32 v16, 30, v16
	v_cmp_eq_u32_e32 vcc, 0, v33
	v_and_b32_e32 v16, 0x80000000, v16
	v_xor_b32_e32 v5, v5, v16
	v_cndmask_b32_e32 v17, v28, v17, vcc
	v_div_scale_f32 v16, s[0:1], v20, v20, s4
	v_xor_b32_e32 v5, v5, v17
	v_rcp_f32_e32 v17, v16
	s_movk_i32 s2, 0x1f8
	v_mov_b32_e32 v28, 0x7fc00000
	v_cmp_class_f32_e64 s[0:1], v3, s2
	v_mov_b32_e32 v32, 0xbe2aaa9d
	v_mov_b32_e32 v34, 0x3d2aabf7
	v_cndmask_b32_e64 v3, v28, v5, s[0:1]
	v_fma_f32 v5, -v16, v17, 1.0
	v_fmac_f32_e32 v17, v5, v17
	v_div_scale_f32 v5, vcc, s4, v20, s4
	v_mul_f32_e32 v33, v5, v17
	v_fma_f32 v36, -v16, v33, v5
	v_fmac_f32_e32 v33, v36, v17
	v_fma_f32 v5, -v16, v33, v5
	v_div_scale_f32 v16, s[2:3], v26, v26, v29
	v_rcp_f32_e32 v36, v16
	v_div_fmas_f32 v5, v5, v17, v33
	v_div_fixup_f32 v5, v5, v20, s4
	v_fma_f32 v17, -v16, v36, 1.0
	v_fmac_f32_e32 v36, v17, v36
	v_div_scale_f32 v17, vcc, v29, v26, v29
	v_mul_f32_e32 v33, v17, v36
	v_fma_f32 v37, -v16, v33, v17
	v_fmac_f32_e32 v33, v37, v36
	v_fma_f32 v16, -v16, v33, v17
	v_div_fmas_f32 v16, v16, v36, v33
	v_div_fixup_f32 v16, v16, v26, v29
	v_mul_f32_e32 v5, v5, v16
	v_mul_f32_e32 v16, v25, v25
	v_fmac_f32_e32 v30, 0xb94c1982, v16
	v_fmac_f32_e32 v32, v16, v30
	;; [unrolled: 1-line block ×3, first 2 shown]
	v_mul_f32_e32 v17, v16, v32
	v_fmac_f32_e32 v34, v16, v31
	v_fmac_f32_e32 v25, v25, v17
	;; [unrolled: 1-line block ×3, first 2 shown]
	v_and_b32_e32 v17, 1, v24
	v_fma_f32 v16, v16, v35, 1.0
	v_cmp_eq_u32_e32 vcc, 0, v17
	v_lshlrev_b32_e32 v17, 30, v24
	v_and_b32_e32 v17, 0x80000000, v17
	v_cndmask_b32_e64 v16, -v25, v16, vcc
	v_xor_b32_e32 v16, v17, v16
	v_cndmask_b32_e64 v16, v28, v16, s[0:1]
	s_mov_b32 s0, 0xf800000
	v_mul_f32_e32 v17, 0x4f800000, v20
	v_cmp_gt_f32_e32 vcc, s0, v20
	v_mul_f32_e32 v5, v5, v16
	v_fmac_f32_e32 v5, v27, v3
	v_cndmask_b32_e32 v17, v20, v17, vcc
	v_sqrt_f32_e32 v20, v17
	v_mul_f32_e32 v3, 0x3f4c422a, v5
	v_add_u32_e32 v5, -1, v20
	v_fma_f32 v16, -v5, v20, v17
	v_cmp_ge_f32_e64 s[0:1], 0, v16
	v_add_u32_e32 v16, 1, v20
	s_nop 0
	v_cndmask_b32_e64 v5, v20, v5, s[0:1]
	v_fma_f32 v20, -v16, v20, v17
	v_cmp_lt_f32_e64 s[0:1], 0, v20
	s_nop 1
	v_cndmask_b32_e64 v5, v5, v16, s[0:1]
	v_mul_f32_e32 v16, 0x37800000, v5
	v_cndmask_b32_e32 v5, v5, v16, vcc
	v_mov_b32_e32 v16, 0x260
	v_cmp_class_f32_e32 vcc, v17, v16
	s_nop 1
	v_cndmask_b32_e32 v5, v5, v17, vcc
	v_div_scale_f32 v16, s[0:1], v5, v5, v3
	v_rcp_f32_e32 v17, v16
	s_nop 0
	v_fma_f32 v20, -v16, v17, 1.0
	v_fmac_f32_e32 v17, v20, v17
	v_div_scale_f32 v20, vcc, v3, v5, v3
	v_mul_f32_e32 v24, v20, v17
	v_fma_f32 v25, -v16, v24, v20
	v_fmac_f32_e32 v24, v25, v17
	v_fma_f32 v16, -v16, v24, v20
	v_div_fmas_f32 v16, v16, v17, v24
	v_div_fixup_f32 v16, v16, v5, v3
.LBB18_100:
	s_or_b64 exec, exec, s[8:9]
	s_mov_b32 s0, 0x40a00000
	v_cmp_ge_f32_e32 vcc, s0, v21
	s_and_saveexec_b64 s[0:1], vcc
	s_xor_b64 s[2:3], exec, s[0:1]
	s_cbranch_execz .LBB18_110
; %bb.101:
	v_cmp_neq_f32_e32 vcc, 0, v21
	v_mov_b32_e32 v17, 0xff800000
	s_and_saveexec_b64 s[4:5], vcc
	s_cbranch_execz .LBB18_109
; %bb.102:
	v_cmp_ngt_f32_e32 vcc, 0, v21
	v_mov_b32_e32 v17, 0x7fc00000
	s_and_saveexec_b64 s[8:9], vcc
	s_cbranch_execz .LBB18_108
; %bb.103:
	v_mul_f32_e32 v20, v21, v21
	s_mov_b32 s0, 0x3727c5ac
	v_mul_f32_e32 v24, 0, v20
	v_cmp_ngt_f32_e32 vcc, s0, v21
                                        ; implicit-def: $vgpr3
	s_and_saveexec_b64 s[0:1], vcc
	s_xor_b64 s[0:1], exec, s[0:1]
	s_cbranch_execz .LBB18_105
; %bb.104:
	v_add_f32_e32 v3, 0x43f9c815, v24
	v_fmaak_f32 v3, v20, v3, 0x4829b65a
	v_fmaak_f32 v3, v20, v3, 0x4c38c9a1
	;; [unrolled: 1-line block ×3, first 2 shown]
	s_mov_b32 s10, 0xcf8ee29d
	v_mul_f32_e32 v25, v20, v3
	s_mov_b32 s11, 0x53f5f59c
	v_pk_add_f32 v[26:27], v[24:25], s[10:11]
	s_mov_b32 s10, 0x53e3ba8e
	s_mov_b32 s11, 0x578d3514
	v_pk_fma_f32 v[26:27], v[20:21], v[26:27], s[10:11] op_sel_hi:[0,1,1]
	s_mov_b32 s10, 0xd762b0a7
	s_mov_b32 s11, 0x5ae20a0c
	v_pk_fma_f32 v[26:27], v[20:21], v[26:27], s[10:11] op_sel_hi:[0,1,1]
	;; [unrolled: 3-line block ×3, first 2 shown]
	s_mov_b32 s10, 0xc0b90fdc
	s_mov_b32 s11, 0xc1f3c525
	v_pk_add_f32 v[28:29], v[20:21], s[10:11] op_sel_hi:[0,1]
	v_mul_f32_e32 v3, v28, v29
	v_mul_f32_e32 v3, v3, v26
	v_div_scale_f32 v5, s[10:11], v27, v27, v3
	v_rcp_f32_e32 v17, v5
	s_nop 0
	v_fma_f32 v25, -v5, v17, 1.0
	v_fmac_f32_e32 v17, v25, v17
	v_div_scale_f32 v25, vcc, v3, v27, v3
	v_mul_f32_e32 v26, v25, v17
	v_fma_f32 v28, -v5, v26, v25
	v_fmac_f32_e32 v26, v28, v17
	v_fma_f32 v5, -v5, v26, v25
	v_div_fmas_f32 v5, v5, v17, v26
	v_div_fixup_f32 v3, v5, v27, v3
.LBB18_105:
	s_andn2_saveexec_b64 s[0:1], s[0:1]
; %bb.106:
	v_mov_b32_e32 v3, 1.0
	v_fmamk_f32 v3, v20, 0xbe800000, v3
; %bb.107:
	s_or_b64 exec, exec, s[0:1]
	v_add_f32_e32 v5, 0x4673a1bf, v24
	v_fmaak_f32 v5, v20, v5, 0xcb5fc0fa
	v_add_f32_e32 v17, 0x44822913, v24
	v_fmaak_f32 v5, v20, v5, 0x4fa1fbc8
	v_fmaak_f32 v17, v20, v17, 0x4918dbb5
	;; [unrolled: 1-line block ×12, first 2 shown]
	v_div_scale_f32 v20, s[0:1], v17, v17, v5
	v_rcp_f32_e32 v24, v20
	s_mov_b32 s0, 0x800000
	v_cmp_gt_f32_e64 s[0:1], s0, v21
	s_mov_b32 s10, 0x3f317217
	v_fma_f32 v25, -v20, v24, 1.0
	v_fmac_f32_e32 v24, v25, v24
	v_div_scale_f32 v25, vcc, v5, v17, v5
	v_mul_f32_e32 v26, v25, v24
	v_fma_f32 v27, -v20, v26, v25
	v_fmac_f32_e32 v26, v27, v24
	v_fma_f32 v20, -v20, v26, v25
	v_mov_b32_e32 v25, 0x4f800000
	v_cndmask_b32_e64 v25, 1.0, v25, s[0:1]
	v_mul_f32_e32 v21, v21, v25
	v_log_f32_e32 v21, v21
	v_div_fmas_f32 v20, v20, v24, v26
	v_div_fixup_f32 v17, v20, v17, v5
	v_mul_f32_e32 v5, 0x3f317217, v21
	v_fma_f32 v20, v21, s10, -v5
	v_fmamk_f32 v20, v21, 0x3377d1cf, v20
	s_mov_b32 s10, 0x7f800000
	v_add_f32_e32 v5, v5, v20
	v_cmp_lt_f32_e64 vcc, |v21|, s10
	v_mov_b32_e32 v20, 0x41b17218
	v_cndmask_b32_e64 v20, 0, v20, s[0:1]
	v_cndmask_b32_e32 v5, v21, v5, vcc
	v_sub_f32_e32 v5, v5, v20
	v_mul_f32_e32 v5, 0x3f22f983, v5
	v_fmac_f32_e32 v17, v5, v3
.LBB18_108:
	s_or_b64 exec, exec, s[8:9]
.LBB18_109:
	s_or_b64 exec, exec, s[4:5]
                                        ; implicit-def: $vgpr20_vgpr21
.LBB18_110:
	s_andn2_saveexec_b64 s[8:9], s[2:3]
	s_cbranch_execz .LBB18_120
; %bb.111:
	v_add_f32_e32 v3, 0xbf490fdb, v21
	v_and_b32_e32 v5, 0x7fffffff, v3
	s_brev_b32 s0, 18
	v_cmp_nlt_f32_e64 s[10:11], |v3|, s0
	v_lshrrev_b32_e32 v26, 23, v5
                                        ; implicit-def: $vgpr17
                                        ; implicit-def: $vgpr20
	s_and_saveexec_b64 s[0:1], s[10:11]
	s_xor_b64 s[12:13], exec, s[0:1]
	s_cbranch_execz .LBB18_113
; %bb.112:
	v_add_u32_e32 v17, 0xffffff88, v26
	v_not_b32_e32 v20, 63
	v_cmp_lt_u32_e32 vcc, 63, v17
	s_mov_b32 s4, 0xfe5163ab
	v_mov_b32_e32 v25, 0
	v_cndmask_b32_e32 v20, 0, v20, vcc
	v_add_u32_e32 v17, v20, v17
	v_not_b32_e32 v20, 31
	v_cmp_lt_u32_e64 s[0:1], 31, v17
	s_nop 1
	v_cndmask_b32_e64 v24, 0, v20, s[0:1]
	v_add_u32_e32 v17, v24, v17
	v_cmp_lt_u32_e64 s[2:3], 31, v17
	s_nop 1
	v_cndmask_b32_e64 v20, 0, v20, s[2:3]
	v_add_u32_e32 v17, v20, v17
	v_and_b32_e32 v20, 0x7fffff, v5
	v_or_b32_e32 v20, 0x800000, v20
	v_mad_u64_u32 v[28:29], s[4:5], v20, s4, 0
	v_mov_b32_e32 v24, v29
	s_mov_b32 s4, 0x3c439041
	v_mad_u64_u32 v[30:31], s[4:5], v20, s4, v[24:25]
	v_mov_b32_e32 v24, v31
	s_mov_b32 s4, 0xdb629599
	;; [unrolled: 3-line block ×6, first 2 shown]
	v_mad_u64_u32 v[24:25], s[4:5], v20, s4, v[24:25]
	v_cndmask_b32_e32 v27, v38, v34, vcc
	v_cndmask_b32_e32 v20, v24, v36, vcc
	v_cndmask_b32_e32 v25, v25, v38, vcc
	v_cndmask_b32_e64 v24, v20, v27, s[0:1]
	v_cndmask_b32_e64 v20, v25, v20, s[0:1]
	v_cndmask_b32_e32 v25, v36, v32, vcc
	v_cndmask_b32_e64 v27, v27, v25, s[0:1]
	v_cndmask_b32_e64 v20, v20, v24, s[2:3]
	;; [unrolled: 1-line block ×3, first 2 shown]
	v_sub_u32_e32 v29, 32, v17
	v_alignbit_b32 v31, v20, v24, v29
	v_cmp_eq_u32_e64 s[4:5], 0, v17
	v_cndmask_b32_e32 v28, v32, v28, vcc
	s_nop 0
	v_cndmask_b32_e64 v17, v31, v20, s[4:5]
	v_cndmask_b32_e32 v20, v34, v30, vcc
	v_cndmask_b32_e64 v25, v25, v20, s[0:1]
	v_cndmask_b32_e64 v27, v27, v25, s[2:3]
	v_alignbit_b32 v30, v24, v27, v29
	v_cndmask_b32_e64 v24, v30, v24, s[4:5]
	v_bfe_u32 v33, v17, 29, 1
	v_cndmask_b32_e64 v20, v20, v28, s[0:1]
	v_alignbit_b32 v30, v17, v24, 30
	v_sub_u32_e32 v34, 0, v33
	v_cndmask_b32_e64 v20, v25, v20, s[2:3]
	v_xor_b32_e32 v35, v30, v34
	v_alignbit_b32 v25, v27, v20, v29
	v_cndmask_b32_e64 v25, v25, v27, s[4:5]
	v_ffbh_u32_e32 v27, v35
	v_add_u32_e32 v27, 1, v27
	v_cmp_ne_u32_e32 vcc, v30, v34
	v_alignbit_b32 v24, v24, v25, 30
	v_alignbit_b32 v20, v25, v20, 30
	v_cndmask_b32_e32 v27, 33, v27, vcc
	v_xor_b32_e32 v24, v24, v34
	v_sub_u32_e32 v28, 32, v27
	v_xor_b32_e32 v20, v20, v34
	v_alignbit_b32 v29, v35, v24, v28
	v_alignbit_b32 v20, v24, v20, v28
	;; [unrolled: 1-line block ×3, first 2 shown]
	v_ffbh_u32_e32 v25, v24
	v_min_u32_e32 v25, 32, v25
	v_lshrrev_b32_e32 v31, 29, v17
	v_sub_u32_e32 v28, 31, v25
	v_alignbit_b32 v20, v24, v20, v28
	v_lshlrev_b32_e32 v24, 31, v31
	v_or_b32_e32 v28, 0x33800000, v24
	v_add_lshl_u32 v25, v25, v27, 23
	v_lshrrev_b32_e32 v20, 9, v20
	v_sub_u32_e32 v25, v28, v25
	v_or_b32_e32 v20, v25, v20
	v_alignbit_b32 v25, v27, v29, 9
	v_or_b32_e32 v24, v25, v24
	v_xor_b32_e32 v24, 1.0, v24
	s_mov_b32 s0, 0x3fc90fda
	v_mul_f32_e32 v25, 0x3fc90fda, v24
	v_fma_f32 v27, v24, s0, -v25
	v_fmamk_f32 v24, v24, 0x33a22168, v27
	v_fmac_f32_e32 v24, 0x3fc90fda, v20
	v_lshrrev_b32_e32 v17, 30, v17
	v_add_f32_e32 v20, v25, v24
	v_add_u32_e32 v17, v33, v17
	s_andn2_saveexec_b64 s[0:1], s[12:13]
	s_branch .LBB18_114
.LBB18_113:
	s_andn2_saveexec_b64 s[0:1], s[12:13]
.LBB18_114:
	s_mov_b32 s2, 0x3f22f983
	v_mul_f32_e64 v17, |v3|, s2
	v_rndne_f32_e32 v20, v17
	s_mov_b32 s2, 0xbfc90fda
	v_cvt_i32_f32_e32 v17, v20
	v_fma_f32 v24, v20, s2, |v3|
	v_fmamk_f32 v24, v20, 0xb3a22168, v24
	v_fmamk_f32 v20, v20, 0xa7c234c4, v24
; %bb.115:
	s_or_b64 exec, exec, s[0:1]
                                        ; implicit-def: $vgpr24
                                        ; implicit-def: $vgpr25
	s_and_saveexec_b64 s[0:1], s[10:11]
	s_xor_b64 s[10:11], exec, s[0:1]
	s_cbranch_execz .LBB18_117
; %bb.116:
	v_add_u32_e32 v24, 0xffffff88, v26
	v_not_b32_e32 v26, 63
	v_cmp_lt_u32_e32 vcc, 63, v24
	s_mov_b32 s4, 0xfe5163ab
	v_mov_b32_e32 v25, 0
	v_cndmask_b32_e32 v26, 0, v26, vcc
	v_add_u32_e32 v24, v26, v24
	v_not_b32_e32 v26, 31
	v_cmp_lt_u32_e64 s[0:1], 31, v24
	s_nop 1
	v_cndmask_b32_e64 v27, 0, v26, s[0:1]
	v_add_u32_e32 v24, v27, v24
	v_cmp_lt_u32_e64 s[2:3], 31, v24
	s_nop 1
	v_cndmask_b32_e64 v26, 0, v26, s[2:3]
	v_add_u32_e32 v38, v26, v24
	v_and_b32_e32 v24, 0x7fffff, v5
	v_or_b32_e32 v39, 0x800000, v24
	v_mad_u64_u32 v[26:27], s[4:5], v39, s4, 0
	v_mov_b32_e32 v24, v27
	s_mov_b32 s4, 0x3c439041
	v_mad_u64_u32 v[28:29], s[4:5], v39, s4, v[24:25]
	v_mov_b32_e32 v24, v29
	s_mov_b32 s4, 0xdb629599
	;; [unrolled: 3-line block ×6, first 2 shown]
	v_mad_u64_u32 v[24:25], s[4:5], v39, s4, v[24:25]
	v_cndmask_b32_e32 v27, v36, v32, vcc
	v_cndmask_b32_e32 v24, v24, v34, vcc
	;; [unrolled: 1-line block ×3, first 2 shown]
	v_cndmask_b32_e64 v29, v24, v27, s[0:1]
	v_cndmask_b32_e64 v24, v25, v24, s[0:1]
	v_cndmask_b32_e32 v25, v34, v30, vcc
	v_cndmask_b32_e64 v27, v27, v25, s[0:1]
	v_cndmask_b32_e32 v28, v32, v28, vcc
	v_cndmask_b32_e64 v24, v24, v29, s[2:3]
	v_cndmask_b32_e64 v29, v29, v27, s[2:3]
	v_sub_u32_e32 v31, 32, v38
	v_cndmask_b32_e64 v25, v25, v28, s[0:1]
	v_alignbit_b32 v33, v24, v29, v31
	v_cmp_eq_u32_e64 s[4:5], 0, v38
	v_cndmask_b32_e64 v27, v27, v25, s[2:3]
	v_alignbit_b32 v32, v29, v27, v31
	v_cndmask_b32_e64 v24, v33, v24, s[4:5]
	v_cndmask_b32_e64 v29, v32, v29, s[4:5]
	v_bfe_u32 v34, v24, 29, 1
	v_cndmask_b32_e32 v26, v30, v26, vcc
	v_alignbit_b32 v32, v24, v29, 30
	v_sub_u32_e32 v35, 0, v34
	v_cndmask_b32_e64 v26, v28, v26, s[0:1]
	v_xor_b32_e32 v36, v32, v35
	v_cndmask_b32_e64 v25, v25, v26, s[2:3]
	v_alignbit_b32 v26, v27, v25, v31
	v_ffbh_u32_e32 v28, v36
	v_cndmask_b32_e64 v26, v26, v27, s[4:5]
	v_add_u32_e32 v28, 1, v28
	v_cmp_ne_u32_e32 vcc, v32, v35
	v_alignbit_b32 v27, v29, v26, 30
	v_alignbit_b32 v25, v26, v25, 30
	v_cndmask_b32_e32 v28, 33, v28, vcc
	v_xor_b32_e32 v27, v27, v35
	v_sub_u32_e32 v29, 32, v28
	v_xor_b32_e32 v25, v25, v35
	v_alignbit_b32 v30, v36, v27, v29
	v_alignbit_b32 v25, v27, v25, v29
	;; [unrolled: 1-line block ×3, first 2 shown]
	v_ffbh_u32_e32 v27, v26
	v_min_u32_e32 v27, 32, v27
	v_lshrrev_b32_e32 v33, 29, v24
	v_sub_u32_e32 v29, 31, v27
	v_alignbit_b32 v25, v26, v25, v29
	v_lshlrev_b32_e32 v26, 31, v33
	v_or_b32_e32 v29, 0x33800000, v26
	v_add_lshl_u32 v27, v27, v28, 23
	v_lshrrev_b32_e32 v25, 9, v25
	v_sub_u32_e32 v27, v29, v27
	v_or_b32_e32 v25, v27, v25
	v_alignbit_b32 v27, v28, v30, 9
	v_or_b32_e32 v26, v27, v26
	v_xor_b32_e32 v26, 1.0, v26
	s_mov_b32 s0, 0x3fc90fda
	v_mul_f32_e32 v27, 0x3fc90fda, v26
	v_fma_f32 v28, v26, s0, -v27
	v_fmamk_f32 v26, v26, 0x33a22168, v28
	v_fmac_f32_e32 v26, 0x3fc90fda, v25
	v_lshrrev_b32_e32 v24, 30, v24
	v_add_f32_e32 v25, v27, v26
	v_add_u32_e32 v24, v34, v24
	s_andn2_saveexec_b64 s[0:1], s[10:11]
	s_cbranch_execnz .LBB18_118
	s_branch .LBB18_119
.LBB18_117:
	s_andn2_saveexec_b64 s[0:1], s[10:11]
.LBB18_118:
	s_mov_b32 s2, 0x3f22f983
	v_mul_f32_e64 v24, |v3|, s2
	v_rndne_f32_e32 v25, v24
	s_mov_b32 s2, 0xbfc90fda
	v_cvt_i32_f32_e32 v24, v25
	v_fma_f32 v26, v25, s2, |v3|
	v_fmamk_f32 v26, v25, 0xb3a22168, v26
	v_fmamk_f32 v25, v25, 0xa7c234c4, v26
.LBB18_119:
	s_or_b64 exec, exec, s[0:1]
	v_mul_f32_e32 v26, v21, v21
	s_mov_b32 s2, 0x41c80000
	v_div_scale_f32 v27, s[0:1], v26, v26, s2
	v_rcp_f32_e32 v28, v27
	v_xor_b32_e32 v5, v5, v3
	s_mov_b32 s4, 0x40a00000
	v_mov_b32_e32 v35, 0xbf000004
	v_fma_f32 v29, -v27, v28, 1.0
	v_fmac_f32_e32 v28, v29, v28
	v_div_scale_f32 v29, vcc, s2, v26, s2
	v_mul_f32_e32 v30, v29, v28
	v_fma_f32 v31, -v27, v30, v29
	v_fmac_f32_e32 v30, v31, v28
	v_fma_f32 v27, -v27, v30, v29
	v_div_fmas_f32 v27, v27, v28, v30
	v_div_fixup_f32 v26, v27, v26, s2
	v_mov_b32_e32 v27, 0x3a50e985
	v_mov_b32_e32 v28, 0x3a725406
	v_fmac_f32_e32 v27, 0, v26
	v_fmac_f32_e32 v28, 0, v26
	v_fmaak_f32 v27, v26, v27, 0x3da9a586
	v_fmaak_f32 v28, v26, v28, 0x3daf5e2d
	;; [unrolled: 1-line block ×8, first 2 shown]
	v_mov_b32_e32 v29, 0xbc3a3a12
	v_fmaak_f32 v27, v26, v27, 0x40a9b425
	v_fmaak_f32 v28, v26, v28, 0x40a9cb2f
	v_fmac_f32_e32 v29, 0, v26
	v_mov_b32_e32 v30, 0x4280a2ba
	v_fma_f32 v28, v26, v28, 1.0
	v_fmaak_f32 v29, v26, v29, 0xbfa429da
	v_fmac_f32_e32 v30, 0, v26
	v_fma_f32 v27, v26, v27, 1.0
	v_fmaak_f32 v29, v26, v29, 0xc19c6e80
	v_fmaak_f32 v30, v26, v30, 0x44561b86
	v_div_scale_f32 v31, s[0:1], v28, v28, v27
	v_fmaak_f32 v29, v26, v29, 0xc2ba697b
	v_fmaak_f32 v30, v26, v30, 0x4572a66e
	v_rcp_f32_e32 v32, v31
	v_fmaak_f32 v29, v26, v29, 0xc331ae61
	v_fmaak_f32 v30, v26, v30, 0x45e243be
	;; [unrolled: 1-line block ×8, first 2 shown]
	v_fma_f32 v30, -v31, v32, 1.0
	v_fmac_f32_e32 v32, v30, v32
	v_div_scale_f32 v30, vcc, v27, v28, v27
	v_mul_f32_e32 v33, v30, v32
	v_fma_f32 v34, -v31, v33, v30
	v_fmac_f32_e32 v33, v34, v32
	v_fma_f32 v30, -v31, v33, v30
	v_div_fmas_f32 v30, v30, v32, v33
	v_div_fixup_f32 v27, v30, v28, v27
	v_mul_f32_e32 v28, v20, v20
	v_mov_b32_e32 v30, 0x3c0881c4
	v_fmamk_f32 v31, v28, 0xb94c1982, v30
	v_fmaak_f32 v31, v28, v31, 0xbe2aaa9d
	v_mul_f32_e32 v31, v28, v31
	v_fmac_f32_e32 v20, v20, v31
	v_mov_b32_e32 v31, 0xbab64f3b
	v_fmamk_f32 v33, v28, 0x37d75334, v31
	v_fmaak_f32 v33, v28, v33, 0x3d2aabf7
	v_fmaak_f32 v33, v28, v33, 0xbf000004
	v_fma_f32 v28, v28, v33, 1.0
	v_and_b32_e32 v33, 1, v17
	v_lshlrev_b32_e32 v17, 30, v17
	v_cmp_eq_u32_e32 vcc, 0, v33
	v_and_b32_e32 v17, 0x80000000, v17
	v_xor_b32_e32 v5, v5, v17
	v_cndmask_b32_e32 v20, v28, v20, vcc
	v_div_scale_f32 v17, s[0:1], v21, v21, s4
	v_xor_b32_e32 v5, v5, v20
	v_rcp_f32_e32 v20, v17
	s_movk_i32 s2, 0x1f8
	v_mov_b32_e32 v28, 0x7fc00000
	v_cmp_class_f32_e64 s[0:1], v3, s2
	v_mov_b32_e32 v32, 0xbe2aaa9d
	v_mov_b32_e32 v34, 0x3d2aabf7
	v_cndmask_b32_e64 v3, v28, v5, s[0:1]
	v_fma_f32 v5, -v17, v20, 1.0
	v_fmac_f32_e32 v20, v5, v20
	v_div_scale_f32 v5, vcc, s4, v21, s4
	v_mul_f32_e32 v33, v5, v20
	v_fma_f32 v36, -v17, v33, v5
	v_fmac_f32_e32 v33, v36, v20
	v_fma_f32 v5, -v17, v33, v5
	v_div_scale_f32 v17, s[2:3], v26, v26, v29
	v_rcp_f32_e32 v36, v17
	v_div_fmas_f32 v5, v5, v20, v33
	v_div_fixup_f32 v5, v5, v21, s4
	v_fma_f32 v20, -v17, v36, 1.0
	v_fmac_f32_e32 v36, v20, v36
	v_div_scale_f32 v20, vcc, v29, v26, v29
	v_mul_f32_e32 v33, v20, v36
	v_fma_f32 v37, -v17, v33, v20
	v_fmac_f32_e32 v33, v37, v36
	v_fma_f32 v17, -v17, v33, v20
	v_div_fmas_f32 v17, v17, v36, v33
	v_div_fixup_f32 v17, v17, v26, v29
	v_mul_f32_e32 v5, v5, v17
	v_mul_f32_e32 v17, v25, v25
	v_fmac_f32_e32 v30, 0xb94c1982, v17
	v_fmac_f32_e32 v32, v17, v30
	;; [unrolled: 1-line block ×3, first 2 shown]
	v_mul_f32_e32 v20, v17, v32
	v_fmac_f32_e32 v34, v17, v31
	v_fmac_f32_e32 v25, v25, v20
	v_fmac_f32_e32 v35, v17, v34
	v_and_b32_e32 v20, 1, v24
	v_fma_f32 v17, v17, v35, 1.0
	v_cmp_eq_u32_e32 vcc, 0, v20
	v_lshlrev_b32_e32 v20, 30, v24
	v_and_b32_e32 v20, 0x80000000, v20
	v_cndmask_b32_e64 v17, -v25, v17, vcc
	v_xor_b32_e32 v17, v20, v17
	v_cndmask_b32_e64 v17, v28, v17, s[0:1]
	s_mov_b32 s0, 0xf800000
	v_mul_f32_e32 v20, 0x4f800000, v21
	v_cmp_gt_f32_e32 vcc, s0, v21
	v_mul_f32_e32 v5, v5, v17
	v_fmac_f32_e32 v5, v27, v3
	v_cndmask_b32_e32 v20, v21, v20, vcc
	v_sqrt_f32_e32 v21, v20
	v_mul_f32_e32 v3, 0x3f4c422a, v5
	v_add_u32_e32 v5, -1, v21
	v_fma_f32 v17, -v5, v21, v20
	v_cmp_ge_f32_e64 s[0:1], 0, v17
	v_add_u32_e32 v17, 1, v21
	s_nop 0
	v_cndmask_b32_e64 v5, v21, v5, s[0:1]
	v_fma_f32 v21, -v17, v21, v20
	v_cmp_lt_f32_e64 s[0:1], 0, v21
	s_nop 1
	v_cndmask_b32_e64 v5, v5, v17, s[0:1]
	v_mul_f32_e32 v17, 0x37800000, v5
	v_cndmask_b32_e32 v5, v5, v17, vcc
	v_mov_b32_e32 v17, 0x260
	v_cmp_class_f32_e32 vcc, v20, v17
	s_nop 1
	v_cndmask_b32_e32 v5, v5, v20, vcc
	v_div_scale_f32 v17, s[0:1], v5, v5, v3
	v_rcp_f32_e32 v20, v17
	s_nop 0
	v_fma_f32 v21, -v17, v20, 1.0
	v_fmac_f32_e32 v20, v21, v20
	v_div_scale_f32 v21, vcc, v3, v5, v3
	v_mul_f32_e32 v24, v21, v20
	v_fma_f32 v25, -v17, v24, v21
	v_fmac_f32_e32 v24, v25, v20
	v_fma_f32 v17, -v17, v24, v21
	v_div_fmas_f32 v17, v17, v20, v24
	v_div_fixup_f32 v17, v17, v5, v3
.LBB18_120:
	s_or_b64 exec, exec, s[8:9]
	s_mov_b32 s0, 0x40a00000
	v_cmp_ge_f32_e32 vcc, s0, v22
                                        ; implicit-def: $vgpr20
	s_and_saveexec_b64 s[0:1], vcc
	s_xor_b64 s[2:3], exec, s[0:1]
	s_cbranch_execz .LBB18_130
; %bb.121:
	v_cmp_neq_f32_e32 vcc, 0, v22
	v_mov_b32_e32 v20, 0xff800000
	s_and_saveexec_b64 s[4:5], vcc
	s_cbranch_execz .LBB18_129
; %bb.122:
	v_cmp_ngt_f32_e32 vcc, 0, v22
	v_mov_b32_e32 v20, 0x7fc00000
	s_and_saveexec_b64 s[8:9], vcc
	s_cbranch_execz .LBB18_128
; %bb.123:
	v_mul_f32_e32 v20, v22, v22
	s_mov_b32 s0, 0x3727c5ac
	v_mul_f32_e32 v24, 0, v20
	v_cmp_ngt_f32_e32 vcc, s0, v22
                                        ; implicit-def: $vgpr3
	s_and_saveexec_b64 s[0:1], vcc
	s_xor_b64 s[0:1], exec, s[0:1]
	s_cbranch_execz .LBB18_125
; %bb.124:
	v_add_f32_e32 v3, 0x43f9c815, v24
	v_fmaak_f32 v3, v20, v3, 0x4829b65a
	v_fmaak_f32 v3, v20, v3, 0x4c38c9a1
	;; [unrolled: 1-line block ×3, first 2 shown]
	s_mov_b32 s10, 0xcf8ee29d
	v_mul_f32_e32 v25, v20, v3
	s_mov_b32 s11, 0x53f5f59c
	v_pk_add_f32 v[26:27], v[24:25], s[10:11]
	s_mov_b32 s10, 0x53e3ba8e
	s_mov_b32 s11, 0x578d3514
	v_pk_fma_f32 v[26:27], v[20:21], v[26:27], s[10:11] op_sel_hi:[0,1,1]
	s_mov_b32 s10, 0xd762b0a7
	s_mov_b32 s11, 0x5ae20a0c
	v_pk_fma_f32 v[26:27], v[20:21], v[26:27], s[10:11] op_sel_hi:[0,1,1]
	s_mov_b32 s10, 0x5a09f7c3
	s_mov_b32 s11, 0x5dbdf1a6
	v_pk_fma_f32 v[26:27], v[20:21], v[26:27], s[10:11] op_sel_hi:[0,1,1]
	s_mov_b32 s10, 0xc0b90fdc
	s_mov_b32 s11, 0xc1f3c525
	v_pk_add_f32 v[28:29], v[20:21], s[10:11] op_sel_hi:[0,1]
	v_mul_f32_e32 v3, v28, v29
	v_mul_f32_e32 v3, v3, v26
	v_div_scale_f32 v5, s[10:11], v27, v27, v3
	v_rcp_f32_e32 v21, v5
	s_nop 0
	v_fma_f32 v25, -v5, v21, 1.0
	v_fmac_f32_e32 v21, v25, v21
	v_div_scale_f32 v25, vcc, v3, v27, v3
	v_mul_f32_e32 v26, v25, v21
	v_fma_f32 v28, -v5, v26, v25
	v_fmac_f32_e32 v26, v28, v21
	v_fma_f32 v5, -v5, v26, v25
	v_div_fmas_f32 v5, v5, v21, v26
	v_div_fixup_f32 v3, v5, v27, v3
.LBB18_125:
	s_andn2_saveexec_b64 s[0:1], s[0:1]
; %bb.126:
	v_mov_b32_e32 v3, 1.0
	v_fmamk_f32 v3, v20, 0xbe800000, v3
; %bb.127:
	s_or_b64 exec, exec, s[0:1]
	v_add_f32_e32 v5, 0x4673a1bf, v24
	v_fmaak_f32 v5, v20, v5, 0xcb5fc0fa
	v_add_f32_e32 v21, 0x44822913, v24
	v_fmaak_f32 v5, v20, v5, 0x4fa1fbc8
	v_fmaak_f32 v21, v20, v21, 0x4918dbb5
	;; [unrolled: 1-line block ×12, first 2 shown]
	v_div_scale_f32 v20, s[0:1], v21, v21, v5
	v_rcp_f32_e32 v24, v20
	s_mov_b32 s0, 0x800000
	v_cmp_gt_f32_e64 s[0:1], s0, v22
	s_mov_b32 s10, 0x3f317217
	v_fma_f32 v25, -v20, v24, 1.0
	v_fmac_f32_e32 v24, v25, v24
	v_div_scale_f32 v25, vcc, v5, v21, v5
	v_mul_f32_e32 v26, v25, v24
	v_fma_f32 v27, -v20, v26, v25
	v_fmac_f32_e32 v26, v27, v24
	v_fma_f32 v20, -v20, v26, v25
	v_mov_b32_e32 v25, 0x4f800000
	v_cndmask_b32_e64 v25, 1.0, v25, s[0:1]
	v_mul_f32_e32 v25, v22, v25
	v_log_f32_e32 v25, v25
	v_div_fmas_f32 v20, v20, v24, v26
	v_div_fixup_f32 v20, v20, v21, v5
	v_mul_f32_e32 v5, 0x3f317217, v25
	v_fma_f32 v21, v25, s10, -v5
	v_fmamk_f32 v21, v25, 0x3377d1cf, v21
	s_mov_b32 s10, 0x7f800000
	v_add_f32_e32 v5, v5, v21
	v_cmp_lt_f32_e64 vcc, |v25|, s10
	v_mov_b32_e32 v21, 0x41b17218
	v_cndmask_b32_e64 v21, 0, v21, s[0:1]
	v_cndmask_b32_e32 v5, v25, v5, vcc
	v_sub_f32_e32 v5, v5, v21
	v_mul_f32_e32 v5, 0x3f22f983, v5
	v_fmac_f32_e32 v20, v5, v3
.LBB18_128:
	s_or_b64 exec, exec, s[8:9]
.LBB18_129:
	s_or_b64 exec, exec, s[4:5]
.LBB18_130:
	s_andn2_saveexec_b64 s[8:9], s[2:3]
	s_cbranch_execz .LBB18_140
; %bb.131:
	v_add_f32_e32 v3, 0xbf490fdb, v22
	v_and_b32_e32 v5, 0x7fffffff, v3
	s_brev_b32 s0, 18
	v_cmp_nlt_f32_e64 s[10:11], |v3|, s0
	v_lshrrev_b32_e32 v26, 23, v5
                                        ; implicit-def: $vgpr20
                                        ; implicit-def: $vgpr21
	s_and_saveexec_b64 s[0:1], s[10:11]
	s_xor_b64 s[12:13], exec, s[0:1]
	s_cbranch_execz .LBB18_133
; %bb.132:
	v_add_u32_e32 v20, 0xffffff88, v26
	v_not_b32_e32 v24, 63
	v_cmp_lt_u32_e32 vcc, 63, v20
	s_mov_b32 s4, 0xfe5163ab
	v_mov_b32_e32 v21, 0
	v_cndmask_b32_e32 v24, 0, v24, vcc
	v_add_u32_e32 v20, v24, v20
	v_not_b32_e32 v24, 31
	v_cmp_lt_u32_e64 s[0:1], 31, v20
	s_nop 1
	v_cndmask_b32_e64 v25, 0, v24, s[0:1]
	v_add_u32_e32 v20, v25, v20
	v_cmp_lt_u32_e64 s[2:3], 31, v20
	s_nop 1
	v_cndmask_b32_e64 v24, 0, v24, s[2:3]
	v_add_u32_e32 v27, v24, v20
	v_and_b32_e32 v20, 0x7fffff, v5
	v_or_b32_e32 v38, 0x800000, v20
	v_mad_u64_u32 v[24:25], s[4:5], v38, s4, 0
	v_mov_b32_e32 v20, v25
	s_mov_b32 s4, 0x3c439041
	v_mad_u64_u32 v[28:29], s[4:5], v38, s4, v[20:21]
	v_mov_b32_e32 v20, v29
	s_mov_b32 s4, 0xdb629599
	;; [unrolled: 3-line block ×6, first 2 shown]
	v_mad_u64_u32 v[20:21], s[4:5], v38, s4, v[20:21]
	v_cndmask_b32_e32 v25, v36, v32, vcc
	v_cndmask_b32_e32 v20, v20, v34, vcc
	;; [unrolled: 1-line block ×3, first 2 shown]
	v_cndmask_b32_e64 v29, v20, v25, s[0:1]
	v_cndmask_b32_e64 v20, v21, v20, s[0:1]
	v_cndmask_b32_e32 v21, v34, v30, vcc
	v_cndmask_b32_e64 v25, v25, v21, s[0:1]
	v_sub_u32_e32 v31, 32, v27
	v_cmp_eq_u32_e64 s[4:5], 0, v27
	v_cndmask_b32_e32 v27, v32, v28, vcc
	v_cndmask_b32_e64 v20, v20, v29, s[2:3]
	v_cndmask_b32_e64 v29, v29, v25, s[2:3]
	;; [unrolled: 1-line block ×3, first 2 shown]
	v_alignbit_b32 v33, v20, v29, v31
	v_cndmask_b32_e64 v25, v25, v21, s[2:3]
	v_cndmask_b32_e64 v20, v33, v20, s[4:5]
	v_alignbit_b32 v28, v29, v25, v31
	v_cndmask_b32_e64 v28, v28, v29, s[4:5]
	v_bfe_u32 v33, v20, 29, 1
	v_cndmask_b32_e32 v24, v30, v24, vcc
	v_alignbit_b32 v29, v20, v28, 30
	v_sub_u32_e32 v34, 0, v33
	v_cndmask_b32_e64 v24, v27, v24, s[0:1]
	v_xor_b32_e32 v35, v29, v34
	v_cndmask_b32_e64 v21, v21, v24, s[2:3]
	v_alignbit_b32 v24, v25, v21, v31
	v_ffbh_u32_e32 v27, v35
	v_cndmask_b32_e64 v24, v24, v25, s[4:5]
	v_add_u32_e32 v27, 1, v27
	v_cmp_ne_u32_e32 vcc, v29, v34
	v_alignbit_b32 v25, v28, v24, 30
	v_alignbit_b32 v21, v24, v21, 30
	v_cndmask_b32_e32 v27, 33, v27, vcc
	v_xor_b32_e32 v25, v25, v34
	v_sub_u32_e32 v28, 32, v27
	v_xor_b32_e32 v21, v21, v34
	v_alignbit_b32 v29, v35, v25, v28
	v_alignbit_b32 v21, v25, v21, v28
	;; [unrolled: 1-line block ×3, first 2 shown]
	v_ffbh_u32_e32 v25, v24
	v_min_u32_e32 v25, 32, v25
	v_lshrrev_b32_e32 v32, 29, v20
	v_sub_u32_e32 v28, 31, v25
	v_alignbit_b32 v21, v24, v21, v28
	v_lshlrev_b32_e32 v24, 31, v32
	v_or_b32_e32 v28, 0x33800000, v24
	v_add_lshl_u32 v25, v25, v27, 23
	v_lshrrev_b32_e32 v21, 9, v21
	v_sub_u32_e32 v25, v28, v25
	v_or_b32_e32 v21, v25, v21
	v_alignbit_b32 v25, v27, v29, 9
	v_or_b32_e32 v24, v25, v24
	v_xor_b32_e32 v24, 1.0, v24
	s_mov_b32 s0, 0x3fc90fda
	v_mul_f32_e32 v25, 0x3fc90fda, v24
	v_fma_f32 v27, v24, s0, -v25
	v_fmamk_f32 v24, v24, 0x33a22168, v27
	v_fmac_f32_e32 v24, 0x3fc90fda, v21
	v_lshrrev_b32_e32 v20, 30, v20
	v_add_f32_e32 v21, v25, v24
	v_add_u32_e32 v20, v33, v20
	s_andn2_saveexec_b64 s[0:1], s[12:13]
	s_branch .LBB18_134
.LBB18_133:
	s_andn2_saveexec_b64 s[0:1], s[12:13]
.LBB18_134:
	s_mov_b32 s2, 0x3f22f983
	v_mul_f32_e64 v20, |v3|, s2
	v_rndne_f32_e32 v21, v20
	s_mov_b32 s2, 0xbfc90fda
	v_cvt_i32_f32_e32 v20, v21
	v_fma_f32 v24, v21, s2, |v3|
	v_fmamk_f32 v24, v21, 0xb3a22168, v24
	v_fmamk_f32 v21, v21, 0xa7c234c4, v24
; %bb.135:
	s_or_b64 exec, exec, s[0:1]
                                        ; implicit-def: $vgpr24
                                        ; implicit-def: $vgpr25
	s_and_saveexec_b64 s[0:1], s[10:11]
	s_xor_b64 s[10:11], exec, s[0:1]
	s_cbranch_execz .LBB18_137
; %bb.136:
	v_add_u32_e32 v24, 0xffffff88, v26
	v_not_b32_e32 v26, 63
	v_cmp_lt_u32_e32 vcc, 63, v24
	s_mov_b32 s4, 0xfe5163ab
	v_mov_b32_e32 v25, 0
	v_cndmask_b32_e32 v26, 0, v26, vcc
	v_add_u32_e32 v24, v26, v24
	v_not_b32_e32 v26, 31
	v_cmp_lt_u32_e64 s[0:1], 31, v24
	s_nop 1
	v_cndmask_b32_e64 v27, 0, v26, s[0:1]
	v_add_u32_e32 v24, v27, v24
	v_cmp_lt_u32_e64 s[2:3], 31, v24
	s_nop 1
	v_cndmask_b32_e64 v26, 0, v26, s[2:3]
	v_add_u32_e32 v38, v26, v24
	v_and_b32_e32 v24, 0x7fffff, v5
	v_or_b32_e32 v39, 0x800000, v24
	v_mad_u64_u32 v[26:27], s[4:5], v39, s4, 0
	v_mov_b32_e32 v24, v27
	s_mov_b32 s4, 0x3c439041
	v_mad_u64_u32 v[28:29], s[4:5], v39, s4, v[24:25]
	v_mov_b32_e32 v24, v29
	s_mov_b32 s4, 0xdb629599
	;; [unrolled: 3-line block ×6, first 2 shown]
	v_mad_u64_u32 v[24:25], s[4:5], v39, s4, v[24:25]
	v_cndmask_b32_e32 v27, v36, v32, vcc
	v_cndmask_b32_e32 v24, v24, v34, vcc
	;; [unrolled: 1-line block ×3, first 2 shown]
	v_cndmask_b32_e64 v29, v24, v27, s[0:1]
	v_cndmask_b32_e64 v24, v25, v24, s[0:1]
	v_cndmask_b32_e32 v25, v34, v30, vcc
	v_cndmask_b32_e64 v27, v27, v25, s[0:1]
	v_cndmask_b32_e32 v28, v32, v28, vcc
	v_cndmask_b32_e64 v24, v24, v29, s[2:3]
	v_cndmask_b32_e64 v29, v29, v27, s[2:3]
	v_sub_u32_e32 v31, 32, v38
	v_cndmask_b32_e64 v25, v25, v28, s[0:1]
	v_alignbit_b32 v33, v24, v29, v31
	v_cmp_eq_u32_e64 s[4:5], 0, v38
	v_cndmask_b32_e64 v27, v27, v25, s[2:3]
	v_alignbit_b32 v32, v29, v27, v31
	v_cndmask_b32_e64 v24, v33, v24, s[4:5]
	v_cndmask_b32_e64 v29, v32, v29, s[4:5]
	v_bfe_u32 v34, v24, 29, 1
	v_cndmask_b32_e32 v26, v30, v26, vcc
	v_alignbit_b32 v32, v24, v29, 30
	v_sub_u32_e32 v35, 0, v34
	v_cndmask_b32_e64 v26, v28, v26, s[0:1]
	v_xor_b32_e32 v36, v32, v35
	v_cndmask_b32_e64 v25, v25, v26, s[2:3]
	v_alignbit_b32 v26, v27, v25, v31
	v_ffbh_u32_e32 v28, v36
	v_cndmask_b32_e64 v26, v26, v27, s[4:5]
	v_add_u32_e32 v28, 1, v28
	v_cmp_ne_u32_e32 vcc, v32, v35
	v_alignbit_b32 v27, v29, v26, 30
	v_alignbit_b32 v25, v26, v25, 30
	v_cndmask_b32_e32 v28, 33, v28, vcc
	v_xor_b32_e32 v27, v27, v35
	v_sub_u32_e32 v29, 32, v28
	v_xor_b32_e32 v25, v25, v35
	v_alignbit_b32 v30, v36, v27, v29
	v_alignbit_b32 v25, v27, v25, v29
	v_alignbit_b32 v26, v30, v25, 9
	v_ffbh_u32_e32 v27, v26
	v_min_u32_e32 v27, 32, v27
	v_lshrrev_b32_e32 v33, 29, v24
	v_sub_u32_e32 v29, 31, v27
	v_alignbit_b32 v25, v26, v25, v29
	v_lshlrev_b32_e32 v26, 31, v33
	v_or_b32_e32 v29, 0x33800000, v26
	v_add_lshl_u32 v27, v27, v28, 23
	v_lshrrev_b32_e32 v25, 9, v25
	v_sub_u32_e32 v27, v29, v27
	v_or_b32_e32 v25, v27, v25
	v_alignbit_b32 v27, v28, v30, 9
	v_or_b32_e32 v26, v27, v26
	v_xor_b32_e32 v26, 1.0, v26
	s_mov_b32 s0, 0x3fc90fda
	v_mul_f32_e32 v27, 0x3fc90fda, v26
	v_fma_f32 v28, v26, s0, -v27
	v_fmamk_f32 v26, v26, 0x33a22168, v28
	v_fmac_f32_e32 v26, 0x3fc90fda, v25
	v_lshrrev_b32_e32 v24, 30, v24
	v_add_f32_e32 v25, v27, v26
	v_add_u32_e32 v24, v34, v24
	s_andn2_saveexec_b64 s[0:1], s[10:11]
	s_cbranch_execnz .LBB18_138
	s_branch .LBB18_139
.LBB18_137:
	s_andn2_saveexec_b64 s[0:1], s[10:11]
.LBB18_138:
	s_mov_b32 s2, 0x3f22f983
	v_mul_f32_e64 v24, |v3|, s2
	v_rndne_f32_e32 v25, v24
	s_mov_b32 s2, 0xbfc90fda
	v_cvt_i32_f32_e32 v24, v25
	v_fma_f32 v26, v25, s2, |v3|
	v_fmamk_f32 v26, v25, 0xb3a22168, v26
	v_fmamk_f32 v25, v25, 0xa7c234c4, v26
.LBB18_139:
	s_or_b64 exec, exec, s[0:1]
	v_mul_f32_e32 v26, v22, v22
	s_mov_b32 s2, 0x41c80000
	v_div_scale_f32 v27, s[0:1], v26, v26, s2
	v_rcp_f32_e32 v28, v27
	v_xor_b32_e32 v5, v5, v3
	s_mov_b32 s4, 0x40a00000
	v_mov_b32_e32 v35, 0xbf000004
	v_fma_f32 v29, -v27, v28, 1.0
	v_fmac_f32_e32 v28, v29, v28
	v_div_scale_f32 v29, vcc, s2, v26, s2
	v_mul_f32_e32 v30, v29, v28
	v_fma_f32 v31, -v27, v30, v29
	v_fmac_f32_e32 v30, v31, v28
	v_fma_f32 v27, -v27, v30, v29
	v_div_fmas_f32 v27, v27, v28, v30
	v_div_fixup_f32 v26, v27, v26, s2
	v_mov_b32_e32 v27, 0x3a50e985
	v_mov_b32_e32 v28, 0x3a725406
	v_fmac_f32_e32 v27, 0, v26
	v_fmac_f32_e32 v28, 0, v26
	v_fmaak_f32 v27, v26, v27, 0x3da9a586
	v_fmaak_f32 v28, v26, v28, 0x3daf5e2d
	;; [unrolled: 1-line block ×8, first 2 shown]
	v_mov_b32_e32 v29, 0xbc3a3a12
	v_fmaak_f32 v27, v26, v27, 0x40a9b425
	v_fmaak_f32 v28, v26, v28, 0x40a9cb2f
	v_fmac_f32_e32 v29, 0, v26
	v_mov_b32_e32 v30, 0x4280a2ba
	v_fma_f32 v28, v26, v28, 1.0
	v_fmaak_f32 v29, v26, v29, 0xbfa429da
	v_fmac_f32_e32 v30, 0, v26
	v_fma_f32 v27, v26, v27, 1.0
	v_fmaak_f32 v29, v26, v29, 0xc19c6e80
	v_fmaak_f32 v30, v26, v30, 0x44561b86
	v_div_scale_f32 v31, s[0:1], v28, v28, v27
	v_fmaak_f32 v29, v26, v29, 0xc2ba697b
	v_fmaak_f32 v30, v26, v30, 0x4572a66e
	v_rcp_f32_e32 v32, v31
	v_fmaak_f32 v29, v26, v29, 0xc331ae61
	v_fmaak_f32 v30, v26, v30, 0x45e243be
	;; [unrolled: 1-line block ×8, first 2 shown]
	v_fma_f32 v30, -v31, v32, 1.0
	v_fmac_f32_e32 v32, v30, v32
	v_div_scale_f32 v30, vcc, v27, v28, v27
	v_mul_f32_e32 v33, v30, v32
	v_fma_f32 v34, -v31, v33, v30
	v_fmac_f32_e32 v33, v34, v32
	v_fma_f32 v30, -v31, v33, v30
	v_div_fmas_f32 v30, v30, v32, v33
	v_div_fixup_f32 v27, v30, v28, v27
	v_mul_f32_e32 v28, v21, v21
	v_mov_b32_e32 v30, 0x3c0881c4
	v_fmamk_f32 v31, v28, 0xb94c1982, v30
	v_fmaak_f32 v31, v28, v31, 0xbe2aaa9d
	v_mul_f32_e32 v31, v28, v31
	v_fmac_f32_e32 v21, v21, v31
	v_mov_b32_e32 v31, 0xbab64f3b
	v_fmamk_f32 v33, v28, 0x37d75334, v31
	v_fmaak_f32 v33, v28, v33, 0x3d2aabf7
	v_fmaak_f32 v33, v28, v33, 0xbf000004
	v_fma_f32 v28, v28, v33, 1.0
	v_and_b32_e32 v33, 1, v20
	v_lshlrev_b32_e32 v20, 30, v20
	v_cmp_eq_u32_e32 vcc, 0, v33
	v_and_b32_e32 v20, 0x80000000, v20
	v_xor_b32_e32 v5, v5, v20
	v_cndmask_b32_e32 v21, v28, v21, vcc
	v_div_scale_f32 v20, s[0:1], v22, v22, s4
	v_xor_b32_e32 v5, v5, v21
	v_rcp_f32_e32 v21, v20
	s_movk_i32 s2, 0x1f8
	v_mov_b32_e32 v28, 0x7fc00000
	v_cmp_class_f32_e64 s[0:1], v3, s2
	v_mov_b32_e32 v32, 0xbe2aaa9d
	v_mov_b32_e32 v34, 0x3d2aabf7
	v_cndmask_b32_e64 v3, v28, v5, s[0:1]
	v_fma_f32 v5, -v20, v21, 1.0
	v_fmac_f32_e32 v21, v5, v21
	v_div_scale_f32 v5, vcc, s4, v22, s4
	v_mul_f32_e32 v33, v5, v21
	v_fma_f32 v36, -v20, v33, v5
	v_fmac_f32_e32 v33, v36, v21
	v_fma_f32 v5, -v20, v33, v5
	v_div_scale_f32 v20, s[2:3], v26, v26, v29
	v_rcp_f32_e32 v36, v20
	v_div_fmas_f32 v5, v5, v21, v33
	v_div_fixup_f32 v5, v5, v22, s4
	v_fma_f32 v21, -v20, v36, 1.0
	v_fmac_f32_e32 v36, v21, v36
	v_div_scale_f32 v21, vcc, v29, v26, v29
	v_mul_f32_e32 v33, v21, v36
	v_fma_f32 v37, -v20, v33, v21
	v_fmac_f32_e32 v33, v37, v36
	v_fma_f32 v20, -v20, v33, v21
	v_div_fmas_f32 v20, v20, v36, v33
	v_div_fixup_f32 v20, v20, v26, v29
	v_mul_f32_e32 v5, v5, v20
	v_mul_f32_e32 v20, v25, v25
	v_fmac_f32_e32 v30, 0xb94c1982, v20
	v_fmac_f32_e32 v32, v20, v30
	;; [unrolled: 1-line block ×3, first 2 shown]
	v_mul_f32_e32 v21, v20, v32
	v_fmac_f32_e32 v34, v20, v31
	v_fmac_f32_e32 v25, v25, v21
	;; [unrolled: 1-line block ×3, first 2 shown]
	v_and_b32_e32 v21, 1, v24
	v_fma_f32 v20, v20, v35, 1.0
	v_cmp_eq_u32_e32 vcc, 0, v21
	v_lshlrev_b32_e32 v21, 30, v24
	v_and_b32_e32 v21, 0x80000000, v21
	v_cndmask_b32_e64 v20, -v25, v20, vcc
	v_xor_b32_e32 v20, v21, v20
	v_cndmask_b32_e64 v20, v28, v20, s[0:1]
	s_mov_b32 s0, 0xf800000
	v_mul_f32_e32 v21, 0x4f800000, v22
	v_cmp_gt_f32_e32 vcc, s0, v22
	v_mul_f32_e32 v5, v5, v20
	v_fmac_f32_e32 v5, v27, v3
	v_cndmask_b32_e32 v21, v22, v21, vcc
	v_sqrt_f32_e32 v22, v21
	v_mul_f32_e32 v3, 0x3f4c422a, v5
	v_add_u32_e32 v5, -1, v22
	v_fma_f32 v20, -v5, v22, v21
	v_cmp_ge_f32_e64 s[0:1], 0, v20
	v_add_u32_e32 v20, 1, v22
	s_nop 0
	v_cndmask_b32_e64 v5, v22, v5, s[0:1]
	v_fma_f32 v22, -v20, v22, v21
	v_cmp_lt_f32_e64 s[0:1], 0, v22
	s_nop 1
	v_cndmask_b32_e64 v5, v5, v20, s[0:1]
	v_mul_f32_e32 v20, 0x37800000, v5
	v_cndmask_b32_e32 v5, v5, v20, vcc
	v_mov_b32_e32 v20, 0x260
	v_cmp_class_f32_e32 vcc, v21, v20
	s_nop 1
	v_cndmask_b32_e32 v5, v5, v21, vcc
	v_div_scale_f32 v20, s[0:1], v5, v5, v3
	v_rcp_f32_e32 v21, v20
	s_nop 0
	v_fma_f32 v22, -v20, v21, 1.0
	v_fmac_f32_e32 v21, v22, v21
	v_div_scale_f32 v22, vcc, v3, v5, v3
	v_mul_f32_e32 v24, v22, v21
	v_fma_f32 v25, -v20, v24, v22
	v_fmac_f32_e32 v24, v25, v21
	v_fma_f32 v20, -v20, v24, v22
	v_div_fmas_f32 v20, v20, v21, v24
	v_div_fixup_f32 v20, v20, v5, v3
.LBB18_140:
	s_or_b64 exec, exec, s[8:9]
	s_mov_b32 s0, 0x40a00000
	v_cmp_ge_f32_e32 vcc, s0, v23
	s_and_saveexec_b64 s[0:1], vcc
	s_xor_b64 s[2:3], exec, s[0:1]
	s_cbranch_execz .LBB18_150
; %bb.141:
	v_cmp_neq_f32_e32 vcc, 0, v23
	v_mov_b32_e32 v21, 0xff800000
	s_and_saveexec_b64 s[4:5], vcc
	s_cbranch_execz .LBB18_149
; %bb.142:
	v_cmp_ngt_f32_e32 vcc, 0, v23
	v_mov_b32_e32 v21, 0x7fc00000
	s_and_saveexec_b64 s[8:9], vcc
	s_cbranch_execz .LBB18_148
; %bb.143:
	v_mul_f32_e32 v22, v23, v23
	s_mov_b32 s0, 0x3727c5ac
	v_mul_f32_e32 v24, 0, v22
	v_cmp_ngt_f32_e32 vcc, s0, v23
                                        ; implicit-def: $vgpr3
	s_and_saveexec_b64 s[0:1], vcc
	s_xor_b64 s[0:1], exec, s[0:1]
	s_cbranch_execz .LBB18_145
; %bb.144:
	v_add_f32_e32 v3, 0x43f9c815, v24
	v_fmaak_f32 v3, v22, v3, 0x4829b65a
	v_fmaak_f32 v3, v22, v3, 0x4c38c9a1
	;; [unrolled: 1-line block ×3, first 2 shown]
	s_mov_b32 s10, 0xcf8ee29d
	v_mul_f32_e32 v25, v22, v3
	s_mov_b32 s11, 0x53f5f59c
	v_pk_add_f32 v[26:27], v[24:25], s[10:11]
	s_mov_b32 s10, 0x53e3ba8e
	s_mov_b32 s11, 0x578d3514
	v_pk_fma_f32 v[26:27], v[22:23], v[26:27], s[10:11] op_sel_hi:[0,1,1]
	s_mov_b32 s10, 0xd762b0a7
	s_mov_b32 s11, 0x5ae20a0c
	v_pk_fma_f32 v[26:27], v[22:23], v[26:27], s[10:11] op_sel_hi:[0,1,1]
	;; [unrolled: 3-line block ×3, first 2 shown]
	s_mov_b32 s10, 0xc0b90fdc
	s_mov_b32 s11, 0xc1f3c525
	v_pk_add_f32 v[28:29], v[22:23], s[10:11] op_sel_hi:[0,1]
	v_mul_f32_e32 v3, v28, v29
	v_mul_f32_e32 v3, v3, v26
	v_div_scale_f32 v5, s[10:11], v27, v27, v3
	v_rcp_f32_e32 v21, v5
	s_nop 0
	v_fma_f32 v25, -v5, v21, 1.0
	v_fmac_f32_e32 v21, v25, v21
	v_div_scale_f32 v25, vcc, v3, v27, v3
	v_mul_f32_e32 v26, v25, v21
	v_fma_f32 v28, -v5, v26, v25
	v_fmac_f32_e32 v26, v28, v21
	v_fma_f32 v5, -v5, v26, v25
	v_div_fmas_f32 v5, v5, v21, v26
	v_div_fixup_f32 v3, v5, v27, v3
.LBB18_145:
	s_andn2_saveexec_b64 s[0:1], s[0:1]
; %bb.146:
	v_mov_b32_e32 v3, 1.0
	v_fmamk_f32 v3, v22, 0xbe800000, v3
; %bb.147:
	s_or_b64 exec, exec, s[0:1]
	v_add_f32_e32 v5, 0x4673a1bf, v24
	v_fmaak_f32 v5, v22, v5, 0xcb5fc0fa
	v_add_f32_e32 v21, 0x44822913, v24
	v_fmaak_f32 v5, v22, v5, 0x4fa1fbc8
	v_fmaak_f32 v21, v22, v21, 0x4918dbb5
	;; [unrolled: 1-line block ×12, first 2 shown]
	v_div_scale_f32 v22, s[0:1], v21, v21, v5
	v_rcp_f32_e32 v24, v22
	s_mov_b32 s0, 0x800000
	v_cmp_gt_f32_e64 s[0:1], s0, v23
	s_mov_b32 s10, 0x3f317217
	v_fma_f32 v25, -v22, v24, 1.0
	v_fmac_f32_e32 v24, v25, v24
	v_div_scale_f32 v25, vcc, v5, v21, v5
	v_mul_f32_e32 v26, v25, v24
	v_fma_f32 v27, -v22, v26, v25
	v_fmac_f32_e32 v26, v27, v24
	v_fma_f32 v22, -v22, v26, v25
	v_mov_b32_e32 v25, 0x4f800000
	v_cndmask_b32_e64 v25, 1.0, v25, s[0:1]
	v_mul_f32_e32 v23, v23, v25
	v_log_f32_e32 v23, v23
	v_div_fmas_f32 v22, v22, v24, v26
	v_div_fixup_f32 v21, v22, v21, v5
	v_mul_f32_e32 v5, 0x3f317217, v23
	v_fma_f32 v22, v23, s10, -v5
	v_fmamk_f32 v22, v23, 0x3377d1cf, v22
	s_mov_b32 s10, 0x7f800000
	v_add_f32_e32 v5, v5, v22
	v_cmp_lt_f32_e64 vcc, |v23|, s10
	v_mov_b32_e32 v22, 0x41b17218
	v_cndmask_b32_e64 v22, 0, v22, s[0:1]
	v_cndmask_b32_e32 v5, v23, v5, vcc
	v_sub_f32_e32 v5, v5, v22
	v_mul_f32_e32 v5, 0x3f22f983, v5
	v_fmac_f32_e32 v21, v5, v3
.LBB18_148:
	s_or_b64 exec, exec, s[8:9]
.LBB18_149:
	s_or_b64 exec, exec, s[4:5]
                                        ; implicit-def: $vgpr22_vgpr23
.LBB18_150:
	s_andn2_saveexec_b64 s[8:9], s[2:3]
	s_cbranch_execz .LBB18_160
; %bb.151:
	v_add_f32_e32 v3, 0xbf490fdb, v23
	v_and_b32_e32 v5, 0x7fffffff, v3
	s_brev_b32 s0, 18
	v_cmp_nlt_f32_e64 s[10:11], |v3|, s0
	v_lshrrev_b32_e32 v26, 23, v5
                                        ; implicit-def: $vgpr21
                                        ; implicit-def: $vgpr22
	s_and_saveexec_b64 s[0:1], s[10:11]
	s_xor_b64 s[12:13], exec, s[0:1]
	s_cbranch_execz .LBB18_153
; %bb.152:
	v_add_u32_e32 v21, 0xffffff88, v26
	v_not_b32_e32 v22, 63
	v_cmp_lt_u32_e32 vcc, 63, v21
	s_mov_b32 s4, 0xfe5163ab
	v_mov_b32_e32 v25, 0
	v_cndmask_b32_e32 v22, 0, v22, vcc
	v_add_u32_e32 v21, v22, v21
	v_not_b32_e32 v22, 31
	v_cmp_lt_u32_e64 s[0:1], 31, v21
	s_nop 1
	v_cndmask_b32_e64 v24, 0, v22, s[0:1]
	v_add_u32_e32 v21, v24, v21
	v_cmp_lt_u32_e64 s[2:3], 31, v21
	s_nop 1
	v_cndmask_b32_e64 v22, 0, v22, s[2:3]
	v_add_u32_e32 v21, v22, v21
	v_and_b32_e32 v22, 0x7fffff, v5
	v_or_b32_e32 v22, 0x800000, v22
	v_mad_u64_u32 v[28:29], s[4:5], v22, s4, 0
	v_mov_b32_e32 v24, v29
	s_mov_b32 s4, 0x3c439041
	v_mad_u64_u32 v[30:31], s[4:5], v22, s4, v[24:25]
	v_mov_b32_e32 v24, v31
	s_mov_b32 s4, 0xdb629599
	;; [unrolled: 3-line block ×6, first 2 shown]
	v_mad_u64_u32 v[24:25], s[4:5], v22, s4, v[24:25]
	v_cndmask_b32_e32 v27, v38, v34, vcc
	v_cndmask_b32_e32 v22, v24, v36, vcc
	;; [unrolled: 1-line block ×3, first 2 shown]
	v_cndmask_b32_e64 v24, v22, v27, s[0:1]
	v_cndmask_b32_e64 v22, v25, v22, s[0:1]
	v_cndmask_b32_e32 v25, v36, v32, vcc
	v_cndmask_b32_e64 v27, v27, v25, s[0:1]
	v_cndmask_b32_e64 v22, v22, v24, s[2:3]
	;; [unrolled: 1-line block ×3, first 2 shown]
	v_sub_u32_e32 v29, 32, v21
	v_alignbit_b32 v31, v22, v24, v29
	v_cmp_eq_u32_e64 s[4:5], 0, v21
	v_cndmask_b32_e32 v28, v32, v28, vcc
	s_nop 0
	v_cndmask_b32_e64 v21, v31, v22, s[4:5]
	v_cndmask_b32_e32 v22, v34, v30, vcc
	v_cndmask_b32_e64 v25, v25, v22, s[0:1]
	v_cndmask_b32_e64 v27, v27, v25, s[2:3]
	v_alignbit_b32 v30, v24, v27, v29
	v_cndmask_b32_e64 v24, v30, v24, s[4:5]
	v_bfe_u32 v33, v21, 29, 1
	v_cndmask_b32_e64 v22, v22, v28, s[0:1]
	v_alignbit_b32 v30, v21, v24, 30
	v_sub_u32_e32 v34, 0, v33
	v_cndmask_b32_e64 v22, v25, v22, s[2:3]
	v_xor_b32_e32 v35, v30, v34
	v_alignbit_b32 v25, v27, v22, v29
	v_cndmask_b32_e64 v25, v25, v27, s[4:5]
	v_ffbh_u32_e32 v27, v35
	v_add_u32_e32 v27, 1, v27
	v_cmp_ne_u32_e32 vcc, v30, v34
	v_alignbit_b32 v24, v24, v25, 30
	v_alignbit_b32 v22, v25, v22, 30
	v_cndmask_b32_e32 v27, 33, v27, vcc
	v_xor_b32_e32 v24, v24, v34
	v_sub_u32_e32 v28, 32, v27
	v_xor_b32_e32 v22, v22, v34
	v_alignbit_b32 v29, v35, v24, v28
	v_alignbit_b32 v22, v24, v22, v28
	;; [unrolled: 1-line block ×3, first 2 shown]
	v_ffbh_u32_e32 v25, v24
	v_min_u32_e32 v25, 32, v25
	v_lshrrev_b32_e32 v31, 29, v21
	v_sub_u32_e32 v28, 31, v25
	v_alignbit_b32 v22, v24, v22, v28
	v_lshlrev_b32_e32 v24, 31, v31
	v_or_b32_e32 v28, 0x33800000, v24
	v_add_lshl_u32 v25, v25, v27, 23
	v_lshrrev_b32_e32 v22, 9, v22
	v_sub_u32_e32 v25, v28, v25
	v_or_b32_e32 v22, v25, v22
	v_alignbit_b32 v25, v27, v29, 9
	v_or_b32_e32 v24, v25, v24
	v_xor_b32_e32 v24, 1.0, v24
	s_mov_b32 s0, 0x3fc90fda
	v_mul_f32_e32 v25, 0x3fc90fda, v24
	v_fma_f32 v27, v24, s0, -v25
	v_fmamk_f32 v24, v24, 0x33a22168, v27
	v_fmac_f32_e32 v24, 0x3fc90fda, v22
	v_lshrrev_b32_e32 v21, 30, v21
	v_add_f32_e32 v22, v25, v24
	v_add_u32_e32 v21, v33, v21
	s_andn2_saveexec_b64 s[0:1], s[12:13]
	s_branch .LBB18_154
.LBB18_153:
	s_andn2_saveexec_b64 s[0:1], s[12:13]
.LBB18_154:
	s_mov_b32 s2, 0x3f22f983
	v_mul_f32_e64 v21, |v3|, s2
	v_rndne_f32_e32 v22, v21
	s_mov_b32 s2, 0xbfc90fda
	v_cvt_i32_f32_e32 v21, v22
	v_fma_f32 v24, v22, s2, |v3|
	v_fmamk_f32 v24, v22, 0xb3a22168, v24
	v_fmamk_f32 v22, v22, 0xa7c234c4, v24
; %bb.155:
	s_or_b64 exec, exec, s[0:1]
                                        ; implicit-def: $vgpr24
                                        ; implicit-def: $vgpr25
	s_and_saveexec_b64 s[0:1], s[10:11]
	s_xor_b64 s[10:11], exec, s[0:1]
	s_cbranch_execz .LBB18_157
; %bb.156:
	v_add_u32_e32 v24, 0xffffff88, v26
	v_not_b32_e32 v26, 63
	v_cmp_lt_u32_e32 vcc, 63, v24
	s_mov_b32 s4, 0xfe5163ab
	v_mov_b32_e32 v25, 0
	v_cndmask_b32_e32 v26, 0, v26, vcc
	v_add_u32_e32 v24, v26, v24
	v_not_b32_e32 v26, 31
	v_cmp_lt_u32_e64 s[0:1], 31, v24
	s_nop 1
	v_cndmask_b32_e64 v27, 0, v26, s[0:1]
	v_add_u32_e32 v24, v27, v24
	v_cmp_lt_u32_e64 s[2:3], 31, v24
	s_nop 1
	v_cndmask_b32_e64 v26, 0, v26, s[2:3]
	v_add_u32_e32 v38, v26, v24
	v_and_b32_e32 v24, 0x7fffff, v5
	v_or_b32_e32 v39, 0x800000, v24
	v_mad_u64_u32 v[26:27], s[4:5], v39, s4, 0
	v_mov_b32_e32 v24, v27
	s_mov_b32 s4, 0x3c439041
	v_mad_u64_u32 v[28:29], s[4:5], v39, s4, v[24:25]
	v_mov_b32_e32 v24, v29
	s_mov_b32 s4, 0xdb629599
	v_mad_u64_u32 v[30:31], s[4:5], v39, s4, v[24:25]
	v_mov_b32_e32 v24, v31
	s_mov_b32 s4, 0xf534ddc0
	v_mad_u64_u32 v[32:33], s[4:5], v39, s4, v[24:25]
	v_mov_b32_e32 v24, v33
	s_mov_b32 s4, 0xfc2757d1
	v_mad_u64_u32 v[34:35], s[4:5], v39, s4, v[24:25]
	v_mov_b32_e32 v24, v35
	s_mov_b32 s4, 0x4e441529
	v_mad_u64_u32 v[36:37], s[4:5], v39, s4, v[24:25]
	v_mov_b32_e32 v24, v37
	s_mov_b32 s4, 0xa2f9836e
	v_mad_u64_u32 v[24:25], s[4:5], v39, s4, v[24:25]
	v_cndmask_b32_e32 v27, v36, v32, vcc
	v_cndmask_b32_e32 v24, v24, v34, vcc
	;; [unrolled: 1-line block ×3, first 2 shown]
	v_cndmask_b32_e64 v29, v24, v27, s[0:1]
	v_cndmask_b32_e64 v24, v25, v24, s[0:1]
	v_cndmask_b32_e32 v25, v34, v30, vcc
	v_cndmask_b32_e64 v27, v27, v25, s[0:1]
	v_cndmask_b32_e32 v28, v32, v28, vcc
	v_cndmask_b32_e64 v24, v24, v29, s[2:3]
	v_cndmask_b32_e64 v29, v29, v27, s[2:3]
	v_sub_u32_e32 v31, 32, v38
	v_cndmask_b32_e64 v25, v25, v28, s[0:1]
	v_alignbit_b32 v33, v24, v29, v31
	v_cmp_eq_u32_e64 s[4:5], 0, v38
	v_cndmask_b32_e64 v27, v27, v25, s[2:3]
	v_alignbit_b32 v32, v29, v27, v31
	v_cndmask_b32_e64 v24, v33, v24, s[4:5]
	v_cndmask_b32_e64 v29, v32, v29, s[4:5]
	v_bfe_u32 v34, v24, 29, 1
	v_cndmask_b32_e32 v26, v30, v26, vcc
	v_alignbit_b32 v32, v24, v29, 30
	v_sub_u32_e32 v35, 0, v34
	v_cndmask_b32_e64 v26, v28, v26, s[0:1]
	v_xor_b32_e32 v36, v32, v35
	v_cndmask_b32_e64 v25, v25, v26, s[2:3]
	v_alignbit_b32 v26, v27, v25, v31
	v_ffbh_u32_e32 v28, v36
	v_cndmask_b32_e64 v26, v26, v27, s[4:5]
	v_add_u32_e32 v28, 1, v28
	v_cmp_ne_u32_e32 vcc, v32, v35
	v_alignbit_b32 v27, v29, v26, 30
	v_alignbit_b32 v25, v26, v25, 30
	v_cndmask_b32_e32 v28, 33, v28, vcc
	v_xor_b32_e32 v27, v27, v35
	v_sub_u32_e32 v29, 32, v28
	v_xor_b32_e32 v25, v25, v35
	v_alignbit_b32 v30, v36, v27, v29
	v_alignbit_b32 v25, v27, v25, v29
	;; [unrolled: 1-line block ×3, first 2 shown]
	v_ffbh_u32_e32 v27, v26
	v_min_u32_e32 v27, 32, v27
	v_lshrrev_b32_e32 v33, 29, v24
	v_sub_u32_e32 v29, 31, v27
	v_alignbit_b32 v25, v26, v25, v29
	v_lshlrev_b32_e32 v26, 31, v33
	v_or_b32_e32 v29, 0x33800000, v26
	v_add_lshl_u32 v27, v27, v28, 23
	v_lshrrev_b32_e32 v25, 9, v25
	v_sub_u32_e32 v27, v29, v27
	v_or_b32_e32 v25, v27, v25
	v_alignbit_b32 v27, v28, v30, 9
	v_or_b32_e32 v26, v27, v26
	v_xor_b32_e32 v26, 1.0, v26
	s_mov_b32 s0, 0x3fc90fda
	v_mul_f32_e32 v27, 0x3fc90fda, v26
	v_fma_f32 v28, v26, s0, -v27
	v_fmamk_f32 v26, v26, 0x33a22168, v28
	v_fmac_f32_e32 v26, 0x3fc90fda, v25
	v_lshrrev_b32_e32 v24, 30, v24
	v_add_f32_e32 v25, v27, v26
	v_add_u32_e32 v24, v34, v24
	s_andn2_saveexec_b64 s[0:1], s[10:11]
	s_cbranch_execnz .LBB18_158
	s_branch .LBB18_159
.LBB18_157:
	s_andn2_saveexec_b64 s[0:1], s[10:11]
.LBB18_158:
	s_mov_b32 s2, 0x3f22f983
	v_mul_f32_e64 v24, |v3|, s2
	v_rndne_f32_e32 v25, v24
	s_mov_b32 s2, 0xbfc90fda
	v_cvt_i32_f32_e32 v24, v25
	v_fma_f32 v26, v25, s2, |v3|
	v_fmamk_f32 v26, v25, 0xb3a22168, v26
	v_fmamk_f32 v25, v25, 0xa7c234c4, v26
.LBB18_159:
	s_or_b64 exec, exec, s[0:1]
	v_mul_f32_e32 v26, v23, v23
	s_mov_b32 s2, 0x41c80000
	v_div_scale_f32 v27, s[0:1], v26, v26, s2
	v_rcp_f32_e32 v28, v27
	v_xor_b32_e32 v5, v5, v3
	s_mov_b32 s4, 0x40a00000
	v_mov_b32_e32 v35, 0xbf000004
	v_fma_f32 v29, -v27, v28, 1.0
	v_fmac_f32_e32 v28, v29, v28
	v_div_scale_f32 v29, vcc, s2, v26, s2
	v_mul_f32_e32 v30, v29, v28
	v_fma_f32 v31, -v27, v30, v29
	v_fmac_f32_e32 v30, v31, v28
	v_fma_f32 v27, -v27, v30, v29
	v_div_fmas_f32 v27, v27, v28, v30
	v_div_fixup_f32 v26, v27, v26, s2
	v_mov_b32_e32 v27, 0x3a50e985
	v_mov_b32_e32 v28, 0x3a725406
	v_fmac_f32_e32 v27, 0, v26
	v_fmac_f32_e32 v28, 0, v26
	v_fmaak_f32 v27, v26, v27, 0x3da9a586
	v_fmaak_f32 v28, v26, v28, 0x3daf5e2d
	;; [unrolled: 1-line block ×8, first 2 shown]
	v_mov_b32_e32 v29, 0xbc3a3a12
	v_fmaak_f32 v27, v26, v27, 0x40a9b425
	v_fmaak_f32 v28, v26, v28, 0x40a9cb2f
	v_fmac_f32_e32 v29, 0, v26
	v_mov_b32_e32 v30, 0x4280a2ba
	v_fma_f32 v28, v26, v28, 1.0
	v_fmaak_f32 v29, v26, v29, 0xbfa429da
	v_fmac_f32_e32 v30, 0, v26
	v_fma_f32 v27, v26, v27, 1.0
	v_fmaak_f32 v29, v26, v29, 0xc19c6e80
	v_fmaak_f32 v30, v26, v30, 0x44561b86
	v_div_scale_f32 v31, s[0:1], v28, v28, v27
	v_fmaak_f32 v29, v26, v29, 0xc2ba697b
	v_fmaak_f32 v30, v26, v30, 0x4572a66e
	v_rcp_f32_e32 v32, v31
	v_fmaak_f32 v29, v26, v29, 0xc331ae61
	v_fmaak_f32 v30, v26, v30, 0x45e243be
	;; [unrolled: 1-line block ×8, first 2 shown]
	v_fma_f32 v30, -v31, v32, 1.0
	v_fmac_f32_e32 v32, v30, v32
	v_div_scale_f32 v30, vcc, v27, v28, v27
	v_mul_f32_e32 v33, v30, v32
	v_fma_f32 v34, -v31, v33, v30
	v_fmac_f32_e32 v33, v34, v32
	v_fma_f32 v30, -v31, v33, v30
	v_div_fmas_f32 v30, v30, v32, v33
	v_div_fixup_f32 v27, v30, v28, v27
	v_mul_f32_e32 v28, v22, v22
	v_mov_b32_e32 v30, 0x3c0881c4
	v_fmamk_f32 v31, v28, 0xb94c1982, v30
	v_fmaak_f32 v31, v28, v31, 0xbe2aaa9d
	v_mul_f32_e32 v31, v28, v31
	v_fmac_f32_e32 v22, v22, v31
	v_mov_b32_e32 v31, 0xbab64f3b
	v_fmamk_f32 v33, v28, 0x37d75334, v31
	v_fmaak_f32 v33, v28, v33, 0x3d2aabf7
	v_fmaak_f32 v33, v28, v33, 0xbf000004
	v_fma_f32 v28, v28, v33, 1.0
	v_and_b32_e32 v33, 1, v21
	v_lshlrev_b32_e32 v21, 30, v21
	v_cmp_eq_u32_e32 vcc, 0, v33
	v_and_b32_e32 v21, 0x80000000, v21
	v_xor_b32_e32 v5, v5, v21
	v_cndmask_b32_e32 v22, v28, v22, vcc
	v_div_scale_f32 v21, s[0:1], v23, v23, s4
	v_xor_b32_e32 v5, v5, v22
	v_rcp_f32_e32 v22, v21
	s_movk_i32 s2, 0x1f8
	v_mov_b32_e32 v28, 0x7fc00000
	v_cmp_class_f32_e64 s[0:1], v3, s2
	v_mov_b32_e32 v32, 0xbe2aaa9d
	v_mov_b32_e32 v34, 0x3d2aabf7
	v_cndmask_b32_e64 v3, v28, v5, s[0:1]
	v_fma_f32 v5, -v21, v22, 1.0
	v_fmac_f32_e32 v22, v5, v22
	v_div_scale_f32 v5, vcc, s4, v23, s4
	v_mul_f32_e32 v33, v5, v22
	v_fma_f32 v36, -v21, v33, v5
	v_fmac_f32_e32 v33, v36, v22
	v_fma_f32 v5, -v21, v33, v5
	v_div_scale_f32 v21, s[2:3], v26, v26, v29
	v_rcp_f32_e32 v36, v21
	v_div_fmas_f32 v5, v5, v22, v33
	v_div_fixup_f32 v5, v5, v23, s4
	v_fma_f32 v22, -v21, v36, 1.0
	v_fmac_f32_e32 v36, v22, v36
	v_div_scale_f32 v22, vcc, v29, v26, v29
	v_mul_f32_e32 v33, v22, v36
	v_fma_f32 v37, -v21, v33, v22
	v_fmac_f32_e32 v33, v37, v36
	v_fma_f32 v21, -v21, v33, v22
	v_div_fmas_f32 v21, v21, v36, v33
	v_div_fixup_f32 v21, v21, v26, v29
	v_mul_f32_e32 v5, v5, v21
	v_mul_f32_e32 v21, v25, v25
	v_fmac_f32_e32 v30, 0xb94c1982, v21
	v_fmac_f32_e32 v32, v21, v30
	;; [unrolled: 1-line block ×3, first 2 shown]
	v_mul_f32_e32 v22, v21, v32
	v_fmac_f32_e32 v34, v21, v31
	v_fmac_f32_e32 v25, v25, v22
	v_fmac_f32_e32 v35, v21, v34
	v_and_b32_e32 v22, 1, v24
	v_fma_f32 v21, v21, v35, 1.0
	v_cmp_eq_u32_e32 vcc, 0, v22
	v_lshlrev_b32_e32 v22, 30, v24
	v_and_b32_e32 v22, 0x80000000, v22
	v_cndmask_b32_e64 v21, -v25, v21, vcc
	v_xor_b32_e32 v21, v22, v21
	v_cndmask_b32_e64 v21, v28, v21, s[0:1]
	s_mov_b32 s0, 0xf800000
	v_mul_f32_e32 v22, 0x4f800000, v23
	v_cmp_gt_f32_e32 vcc, s0, v23
	v_mul_f32_e32 v5, v5, v21
	v_fmac_f32_e32 v5, v27, v3
	v_cndmask_b32_e32 v22, v23, v22, vcc
	v_sqrt_f32_e32 v23, v22
	v_mul_f32_e32 v3, 0x3f4c422a, v5
	v_add_u32_e32 v5, -1, v23
	v_fma_f32 v21, -v5, v23, v22
	v_cmp_ge_f32_e64 s[0:1], 0, v21
	v_add_u32_e32 v21, 1, v23
	s_nop 0
	v_cndmask_b32_e64 v5, v23, v5, s[0:1]
	v_fma_f32 v23, -v21, v23, v22
	v_cmp_lt_f32_e64 s[0:1], 0, v23
	s_nop 1
	v_cndmask_b32_e64 v5, v5, v21, s[0:1]
	v_mul_f32_e32 v21, 0x37800000, v5
	v_cndmask_b32_e32 v5, v5, v21, vcc
	v_mov_b32_e32 v21, 0x260
	v_cmp_class_f32_e32 vcc, v22, v21
	s_nop 1
	v_cndmask_b32_e32 v5, v5, v22, vcc
	v_div_scale_f32 v21, s[0:1], v5, v5, v3
	v_rcp_f32_e32 v22, v21
	s_nop 0
	v_fma_f32 v23, -v21, v22, 1.0
	v_fmac_f32_e32 v22, v23, v22
	v_div_scale_f32 v23, vcc, v3, v5, v3
	v_mul_f32_e32 v24, v23, v22
	v_fma_f32 v25, -v21, v24, v23
	v_fmac_f32_e32 v24, v25, v22
	v_fma_f32 v21, -v21, v24, v23
	v_div_fmas_f32 v21, v21, v22, v24
	v_div_fixup_f32 v21, v21, v5, v3
.LBB18_160:
	s_or_b64 exec, exec, s[8:9]
	s_mov_b32 s0, 0x40a00000
	v_cmp_ge_f32_e32 vcc, s0, v18
                                        ; implicit-def: $vgpr22
	s_and_saveexec_b64 s[0:1], vcc
	s_xor_b64 s[2:3], exec, s[0:1]
	s_cbranch_execz .LBB18_170
; %bb.161:
	v_cmp_neq_f32_e32 vcc, 0, v18
	v_mov_b32_e32 v22, 0xff800000
	s_and_saveexec_b64 s[4:5], vcc
	s_cbranch_execz .LBB18_169
; %bb.162:
	v_cmp_ngt_f32_e32 vcc, 0, v18
	v_mov_b32_e32 v22, 0x7fc00000
	s_and_saveexec_b64 s[8:9], vcc
	s_cbranch_execz .LBB18_168
; %bb.163:
	v_mul_f32_e32 v22, v18, v18
	s_mov_b32 s0, 0x3727c5ac
	v_mul_f32_e32 v24, 0, v22
	v_cmp_ngt_f32_e32 vcc, s0, v18
                                        ; implicit-def: $vgpr3
	s_and_saveexec_b64 s[0:1], vcc
	s_xor_b64 s[0:1], exec, s[0:1]
	s_cbranch_execz .LBB18_165
; %bb.164:
	v_add_f32_e32 v3, 0x43f9c815, v24
	v_fmaak_f32 v3, v22, v3, 0x4829b65a
	v_fmaak_f32 v3, v22, v3, 0x4c38c9a1
	;; [unrolled: 1-line block ×3, first 2 shown]
	s_mov_b32 s10, 0xcf8ee29d
	v_mul_f32_e32 v25, v22, v3
	s_mov_b32 s11, 0x53f5f59c
	v_pk_add_f32 v[26:27], v[24:25], s[10:11]
	s_mov_b32 s10, 0x53e3ba8e
	s_mov_b32 s11, 0x578d3514
	v_pk_fma_f32 v[26:27], v[22:23], v[26:27], s[10:11] op_sel_hi:[0,1,1]
	s_mov_b32 s10, 0xd762b0a7
	s_mov_b32 s11, 0x5ae20a0c
	v_pk_fma_f32 v[26:27], v[22:23], v[26:27], s[10:11] op_sel_hi:[0,1,1]
	;; [unrolled: 3-line block ×3, first 2 shown]
	s_mov_b32 s10, 0xc0b90fdc
	s_mov_b32 s11, 0xc1f3c525
	v_pk_add_f32 v[28:29], v[22:23], s[10:11] op_sel_hi:[0,1]
	v_mul_f32_e32 v3, v28, v29
	v_mul_f32_e32 v3, v3, v26
	v_div_scale_f32 v5, s[10:11], v27, v27, v3
	v_rcp_f32_e32 v23, v5
	s_nop 0
	v_fma_f32 v25, -v5, v23, 1.0
	v_fmac_f32_e32 v23, v25, v23
	v_div_scale_f32 v25, vcc, v3, v27, v3
	v_mul_f32_e32 v26, v25, v23
	v_fma_f32 v28, -v5, v26, v25
	v_fmac_f32_e32 v26, v28, v23
	v_fma_f32 v5, -v5, v26, v25
	v_div_fmas_f32 v5, v5, v23, v26
	v_div_fixup_f32 v3, v5, v27, v3
.LBB18_165:
	s_andn2_saveexec_b64 s[0:1], s[0:1]
; %bb.166:
	v_mov_b32_e32 v3, 1.0
	v_fmamk_f32 v3, v22, 0xbe800000, v3
; %bb.167:
	s_or_b64 exec, exec, s[0:1]
	v_add_f32_e32 v5, 0x4673a1bf, v24
	v_fmaak_f32 v5, v22, v5, 0xcb5fc0fa
	v_add_f32_e32 v23, 0x44822913, v24
	v_fmaak_f32 v5, v22, v5, 0x4fa1fbc8
	v_fmaak_f32 v23, v22, v23, 0x4918dbb5
	;; [unrolled: 1-line block ×12, first 2 shown]
	v_div_scale_f32 v22, s[0:1], v23, v23, v5
	v_rcp_f32_e32 v24, v22
	s_mov_b32 s0, 0x800000
	v_cmp_gt_f32_e64 s[0:1], s0, v18
	s_mov_b32 s10, 0x3f317217
	v_fma_f32 v25, -v22, v24, 1.0
	v_fmac_f32_e32 v24, v25, v24
	v_div_scale_f32 v25, vcc, v5, v23, v5
	v_mul_f32_e32 v26, v25, v24
	v_fma_f32 v27, -v22, v26, v25
	v_fmac_f32_e32 v26, v27, v24
	v_fma_f32 v22, -v22, v26, v25
	v_mov_b32_e32 v25, 0x4f800000
	v_cndmask_b32_e64 v25, 1.0, v25, s[0:1]
	v_mul_f32_e32 v25, v18, v25
	v_log_f32_e32 v25, v25
	v_div_fmas_f32 v22, v22, v24, v26
	v_div_fixup_f32 v22, v22, v23, v5
	v_mul_f32_e32 v5, 0x3f317217, v25
	v_fma_f32 v23, v25, s10, -v5
	v_fmamk_f32 v23, v25, 0x3377d1cf, v23
	s_mov_b32 s10, 0x7f800000
	v_add_f32_e32 v5, v5, v23
	v_cmp_lt_f32_e64 vcc, |v25|, s10
	v_mov_b32_e32 v23, 0x41b17218
	v_cndmask_b32_e64 v23, 0, v23, s[0:1]
	v_cndmask_b32_e32 v5, v25, v5, vcc
	v_sub_f32_e32 v5, v5, v23
	v_mul_f32_e32 v5, 0x3f22f983, v5
	v_fmac_f32_e32 v22, v5, v3
.LBB18_168:
	s_or_b64 exec, exec, s[8:9]
.LBB18_169:
	s_or_b64 exec, exec, s[4:5]
.LBB18_170:
	s_andn2_saveexec_b64 s[8:9], s[2:3]
	s_cbranch_execz .LBB18_180
; %bb.171:
	v_add_f32_e32 v3, 0xbf490fdb, v18
	v_and_b32_e32 v5, 0x7fffffff, v3
	s_brev_b32 s0, 18
	v_cmp_nlt_f32_e64 s[10:11], |v3|, s0
	v_lshrrev_b32_e32 v26, 23, v5
                                        ; implicit-def: $vgpr22
                                        ; implicit-def: $vgpr23
	s_and_saveexec_b64 s[0:1], s[10:11]
	s_xor_b64 s[12:13], exec, s[0:1]
	s_cbranch_execz .LBB18_173
; %bb.172:
	v_add_u32_e32 v22, 0xffffff88, v26
	v_not_b32_e32 v24, 63
	v_cmp_lt_u32_e32 vcc, 63, v22
	s_mov_b32 s4, 0xfe5163ab
	v_mov_b32_e32 v23, 0
	v_cndmask_b32_e32 v24, 0, v24, vcc
	v_add_u32_e32 v22, v24, v22
	v_not_b32_e32 v24, 31
	v_cmp_lt_u32_e64 s[0:1], 31, v22
	s_nop 1
	v_cndmask_b32_e64 v25, 0, v24, s[0:1]
	v_add_u32_e32 v22, v25, v22
	v_cmp_lt_u32_e64 s[2:3], 31, v22
	s_nop 1
	v_cndmask_b32_e64 v24, 0, v24, s[2:3]
	v_add_u32_e32 v27, v24, v22
	v_and_b32_e32 v22, 0x7fffff, v5
	v_or_b32_e32 v38, 0x800000, v22
	v_mad_u64_u32 v[24:25], s[4:5], v38, s4, 0
	v_mov_b32_e32 v22, v25
	s_mov_b32 s4, 0x3c439041
	v_mad_u64_u32 v[28:29], s[4:5], v38, s4, v[22:23]
	v_mov_b32_e32 v22, v29
	s_mov_b32 s4, 0xdb629599
	;; [unrolled: 3-line block ×6, first 2 shown]
	v_mad_u64_u32 v[22:23], s[4:5], v38, s4, v[22:23]
	v_cndmask_b32_e32 v25, v36, v32, vcc
	v_cndmask_b32_e32 v22, v22, v34, vcc
	v_cndmask_b32_e32 v23, v23, v36, vcc
	v_cndmask_b32_e64 v29, v22, v25, s[0:1]
	v_cndmask_b32_e64 v22, v23, v22, s[0:1]
	v_cndmask_b32_e32 v23, v34, v30, vcc
	v_cndmask_b32_e64 v25, v25, v23, s[0:1]
	v_sub_u32_e32 v31, 32, v27
	v_cmp_eq_u32_e64 s[4:5], 0, v27
	v_cndmask_b32_e32 v27, v32, v28, vcc
	v_cndmask_b32_e64 v22, v22, v29, s[2:3]
	v_cndmask_b32_e64 v29, v29, v25, s[2:3]
	;; [unrolled: 1-line block ×3, first 2 shown]
	v_alignbit_b32 v33, v22, v29, v31
	v_cndmask_b32_e64 v25, v25, v23, s[2:3]
	v_cndmask_b32_e64 v22, v33, v22, s[4:5]
	v_alignbit_b32 v28, v29, v25, v31
	v_cndmask_b32_e64 v28, v28, v29, s[4:5]
	v_bfe_u32 v33, v22, 29, 1
	v_cndmask_b32_e32 v24, v30, v24, vcc
	v_alignbit_b32 v29, v22, v28, 30
	v_sub_u32_e32 v34, 0, v33
	v_cndmask_b32_e64 v24, v27, v24, s[0:1]
	v_xor_b32_e32 v35, v29, v34
	v_cndmask_b32_e64 v23, v23, v24, s[2:3]
	v_alignbit_b32 v24, v25, v23, v31
	v_ffbh_u32_e32 v27, v35
	v_cndmask_b32_e64 v24, v24, v25, s[4:5]
	v_add_u32_e32 v27, 1, v27
	v_cmp_ne_u32_e32 vcc, v29, v34
	v_alignbit_b32 v25, v28, v24, 30
	v_alignbit_b32 v23, v24, v23, 30
	v_cndmask_b32_e32 v27, 33, v27, vcc
	v_xor_b32_e32 v25, v25, v34
	v_sub_u32_e32 v28, 32, v27
	v_xor_b32_e32 v23, v23, v34
	v_alignbit_b32 v29, v35, v25, v28
	v_alignbit_b32 v23, v25, v23, v28
	;; [unrolled: 1-line block ×3, first 2 shown]
	v_ffbh_u32_e32 v25, v24
	v_min_u32_e32 v25, 32, v25
	v_lshrrev_b32_e32 v32, 29, v22
	v_sub_u32_e32 v28, 31, v25
	v_alignbit_b32 v23, v24, v23, v28
	v_lshlrev_b32_e32 v24, 31, v32
	v_or_b32_e32 v28, 0x33800000, v24
	v_add_lshl_u32 v25, v25, v27, 23
	v_lshrrev_b32_e32 v23, 9, v23
	v_sub_u32_e32 v25, v28, v25
	v_or_b32_e32 v23, v25, v23
	v_alignbit_b32 v25, v27, v29, 9
	v_or_b32_e32 v24, v25, v24
	v_xor_b32_e32 v24, 1.0, v24
	s_mov_b32 s0, 0x3fc90fda
	v_mul_f32_e32 v25, 0x3fc90fda, v24
	v_fma_f32 v27, v24, s0, -v25
	v_fmamk_f32 v24, v24, 0x33a22168, v27
	v_fmac_f32_e32 v24, 0x3fc90fda, v23
	v_lshrrev_b32_e32 v22, 30, v22
	v_add_f32_e32 v23, v25, v24
	v_add_u32_e32 v22, v33, v22
	s_andn2_saveexec_b64 s[0:1], s[12:13]
	s_branch .LBB18_174
.LBB18_173:
	s_andn2_saveexec_b64 s[0:1], s[12:13]
.LBB18_174:
	s_mov_b32 s2, 0x3f22f983
	v_mul_f32_e64 v22, |v3|, s2
	v_rndne_f32_e32 v23, v22
	s_mov_b32 s2, 0xbfc90fda
	v_cvt_i32_f32_e32 v22, v23
	v_fma_f32 v24, v23, s2, |v3|
	v_fmamk_f32 v24, v23, 0xb3a22168, v24
	v_fmamk_f32 v23, v23, 0xa7c234c4, v24
; %bb.175:
	s_or_b64 exec, exec, s[0:1]
                                        ; implicit-def: $vgpr24
                                        ; implicit-def: $vgpr25
	s_and_saveexec_b64 s[0:1], s[10:11]
	s_xor_b64 s[10:11], exec, s[0:1]
	s_cbranch_execz .LBB18_177
; %bb.176:
	v_add_u32_e32 v24, 0xffffff88, v26
	v_not_b32_e32 v26, 63
	v_cmp_lt_u32_e32 vcc, 63, v24
	s_mov_b32 s4, 0xfe5163ab
	v_mov_b32_e32 v25, 0
	v_cndmask_b32_e32 v26, 0, v26, vcc
	v_add_u32_e32 v24, v26, v24
	v_not_b32_e32 v26, 31
	v_cmp_lt_u32_e64 s[0:1], 31, v24
	s_nop 1
	v_cndmask_b32_e64 v27, 0, v26, s[0:1]
	v_add_u32_e32 v24, v27, v24
	v_cmp_lt_u32_e64 s[2:3], 31, v24
	s_nop 1
	v_cndmask_b32_e64 v26, 0, v26, s[2:3]
	v_add_u32_e32 v38, v26, v24
	v_and_b32_e32 v24, 0x7fffff, v5
	v_or_b32_e32 v39, 0x800000, v24
	v_mad_u64_u32 v[26:27], s[4:5], v39, s4, 0
	v_mov_b32_e32 v24, v27
	s_mov_b32 s4, 0x3c439041
	v_mad_u64_u32 v[28:29], s[4:5], v39, s4, v[24:25]
	v_mov_b32_e32 v24, v29
	s_mov_b32 s4, 0xdb629599
	;; [unrolled: 3-line block ×6, first 2 shown]
	v_mad_u64_u32 v[24:25], s[4:5], v39, s4, v[24:25]
	v_cndmask_b32_e32 v27, v36, v32, vcc
	v_cndmask_b32_e32 v24, v24, v34, vcc
	;; [unrolled: 1-line block ×3, first 2 shown]
	v_cndmask_b32_e64 v29, v24, v27, s[0:1]
	v_cndmask_b32_e64 v24, v25, v24, s[0:1]
	v_cndmask_b32_e32 v25, v34, v30, vcc
	v_cndmask_b32_e64 v27, v27, v25, s[0:1]
	v_cndmask_b32_e32 v28, v32, v28, vcc
	v_cndmask_b32_e64 v24, v24, v29, s[2:3]
	v_cndmask_b32_e64 v29, v29, v27, s[2:3]
	v_sub_u32_e32 v31, 32, v38
	v_cndmask_b32_e64 v25, v25, v28, s[0:1]
	v_alignbit_b32 v33, v24, v29, v31
	v_cmp_eq_u32_e64 s[4:5], 0, v38
	v_cndmask_b32_e64 v27, v27, v25, s[2:3]
	v_alignbit_b32 v32, v29, v27, v31
	v_cndmask_b32_e64 v24, v33, v24, s[4:5]
	v_cndmask_b32_e64 v29, v32, v29, s[4:5]
	v_bfe_u32 v34, v24, 29, 1
	v_cndmask_b32_e32 v26, v30, v26, vcc
	v_alignbit_b32 v32, v24, v29, 30
	v_sub_u32_e32 v35, 0, v34
	v_cndmask_b32_e64 v26, v28, v26, s[0:1]
	v_xor_b32_e32 v36, v32, v35
	v_cndmask_b32_e64 v25, v25, v26, s[2:3]
	v_alignbit_b32 v26, v27, v25, v31
	v_ffbh_u32_e32 v28, v36
	v_cndmask_b32_e64 v26, v26, v27, s[4:5]
	v_add_u32_e32 v28, 1, v28
	v_cmp_ne_u32_e32 vcc, v32, v35
	v_alignbit_b32 v27, v29, v26, 30
	v_alignbit_b32 v25, v26, v25, 30
	v_cndmask_b32_e32 v28, 33, v28, vcc
	v_xor_b32_e32 v27, v27, v35
	v_sub_u32_e32 v29, 32, v28
	v_xor_b32_e32 v25, v25, v35
	v_alignbit_b32 v30, v36, v27, v29
	v_alignbit_b32 v25, v27, v25, v29
	;; [unrolled: 1-line block ×3, first 2 shown]
	v_ffbh_u32_e32 v27, v26
	v_min_u32_e32 v27, 32, v27
	v_lshrrev_b32_e32 v33, 29, v24
	v_sub_u32_e32 v29, 31, v27
	v_alignbit_b32 v25, v26, v25, v29
	v_lshlrev_b32_e32 v26, 31, v33
	v_or_b32_e32 v29, 0x33800000, v26
	v_add_lshl_u32 v27, v27, v28, 23
	v_lshrrev_b32_e32 v25, 9, v25
	v_sub_u32_e32 v27, v29, v27
	v_or_b32_e32 v25, v27, v25
	v_alignbit_b32 v27, v28, v30, 9
	v_or_b32_e32 v26, v27, v26
	v_xor_b32_e32 v26, 1.0, v26
	s_mov_b32 s0, 0x3fc90fda
	v_mul_f32_e32 v27, 0x3fc90fda, v26
	v_fma_f32 v28, v26, s0, -v27
	v_fmamk_f32 v26, v26, 0x33a22168, v28
	v_fmac_f32_e32 v26, 0x3fc90fda, v25
	v_lshrrev_b32_e32 v24, 30, v24
	v_add_f32_e32 v25, v27, v26
	v_add_u32_e32 v24, v34, v24
	s_andn2_saveexec_b64 s[0:1], s[10:11]
	s_cbranch_execnz .LBB18_178
	s_branch .LBB18_179
.LBB18_177:
	s_andn2_saveexec_b64 s[0:1], s[10:11]
.LBB18_178:
	s_mov_b32 s2, 0x3f22f983
	v_mul_f32_e64 v24, |v3|, s2
	v_rndne_f32_e32 v25, v24
	s_mov_b32 s2, 0xbfc90fda
	v_cvt_i32_f32_e32 v24, v25
	v_fma_f32 v26, v25, s2, |v3|
	v_fmamk_f32 v26, v25, 0xb3a22168, v26
	v_fmamk_f32 v25, v25, 0xa7c234c4, v26
.LBB18_179:
	s_or_b64 exec, exec, s[0:1]
	v_mul_f32_e32 v26, v18, v18
	s_mov_b32 s2, 0x41c80000
	v_div_scale_f32 v27, s[0:1], v26, v26, s2
	v_rcp_f32_e32 v28, v27
	v_xor_b32_e32 v5, v5, v3
	s_mov_b32 s4, 0x40a00000
	v_mov_b32_e32 v35, 0xbf000004
	v_fma_f32 v29, -v27, v28, 1.0
	v_fmac_f32_e32 v28, v29, v28
	v_div_scale_f32 v29, vcc, s2, v26, s2
	v_mul_f32_e32 v30, v29, v28
	v_fma_f32 v31, -v27, v30, v29
	v_fmac_f32_e32 v30, v31, v28
	v_fma_f32 v27, -v27, v30, v29
	v_div_fmas_f32 v27, v27, v28, v30
	v_div_fixup_f32 v26, v27, v26, s2
	v_mov_b32_e32 v27, 0x3a50e985
	v_mov_b32_e32 v28, 0x3a725406
	v_fmac_f32_e32 v27, 0, v26
	v_fmac_f32_e32 v28, 0, v26
	v_fmaak_f32 v27, v26, v27, 0x3da9a586
	v_fmaak_f32 v28, v26, v28, 0x3daf5e2d
	;; [unrolled: 1-line block ×8, first 2 shown]
	v_mov_b32_e32 v29, 0xbc3a3a12
	v_fmaak_f32 v27, v26, v27, 0x40a9b425
	v_fmaak_f32 v28, v26, v28, 0x40a9cb2f
	v_fmac_f32_e32 v29, 0, v26
	v_mov_b32_e32 v30, 0x4280a2ba
	v_fma_f32 v28, v26, v28, 1.0
	v_fmaak_f32 v29, v26, v29, 0xbfa429da
	v_fmac_f32_e32 v30, 0, v26
	v_fma_f32 v27, v26, v27, 1.0
	v_fmaak_f32 v29, v26, v29, 0xc19c6e80
	v_fmaak_f32 v30, v26, v30, 0x44561b86
	v_div_scale_f32 v31, s[0:1], v28, v28, v27
	v_fmaak_f32 v29, v26, v29, 0xc2ba697b
	v_fmaak_f32 v30, v26, v30, 0x4572a66e
	v_rcp_f32_e32 v32, v31
	v_fmaak_f32 v29, v26, v29, 0xc331ae61
	v_fmaak_f32 v30, v26, v30, 0x45e243be
	;; [unrolled: 1-line block ×8, first 2 shown]
	v_fma_f32 v30, -v31, v32, 1.0
	v_fmac_f32_e32 v32, v30, v32
	v_div_scale_f32 v30, vcc, v27, v28, v27
	v_mul_f32_e32 v33, v30, v32
	v_fma_f32 v34, -v31, v33, v30
	v_fmac_f32_e32 v33, v34, v32
	v_fma_f32 v30, -v31, v33, v30
	v_div_fmas_f32 v30, v30, v32, v33
	v_div_fixup_f32 v27, v30, v28, v27
	v_mul_f32_e32 v28, v23, v23
	v_mov_b32_e32 v30, 0x3c0881c4
	v_fmamk_f32 v31, v28, 0xb94c1982, v30
	v_fmaak_f32 v31, v28, v31, 0xbe2aaa9d
	v_mul_f32_e32 v31, v28, v31
	v_fmac_f32_e32 v23, v23, v31
	v_mov_b32_e32 v31, 0xbab64f3b
	v_fmamk_f32 v33, v28, 0x37d75334, v31
	v_fmaak_f32 v33, v28, v33, 0x3d2aabf7
	v_fmaak_f32 v33, v28, v33, 0xbf000004
	v_fma_f32 v28, v28, v33, 1.0
	v_and_b32_e32 v33, 1, v22
	v_lshlrev_b32_e32 v22, 30, v22
	v_cmp_eq_u32_e32 vcc, 0, v33
	v_and_b32_e32 v22, 0x80000000, v22
	v_xor_b32_e32 v5, v5, v22
	v_cndmask_b32_e32 v23, v28, v23, vcc
	v_div_scale_f32 v22, s[0:1], v18, v18, s4
	v_xor_b32_e32 v5, v5, v23
	v_rcp_f32_e32 v23, v22
	s_movk_i32 s2, 0x1f8
	v_mov_b32_e32 v28, 0x7fc00000
	v_cmp_class_f32_e64 s[0:1], v3, s2
	v_mov_b32_e32 v32, 0xbe2aaa9d
	v_mov_b32_e32 v34, 0x3d2aabf7
	v_cndmask_b32_e64 v3, v28, v5, s[0:1]
	v_fma_f32 v5, -v22, v23, 1.0
	v_fmac_f32_e32 v23, v5, v23
	v_div_scale_f32 v5, vcc, s4, v18, s4
	v_mul_f32_e32 v33, v5, v23
	v_fma_f32 v36, -v22, v33, v5
	v_fmac_f32_e32 v33, v36, v23
	v_fma_f32 v5, -v22, v33, v5
	v_div_scale_f32 v22, s[2:3], v26, v26, v29
	v_rcp_f32_e32 v36, v22
	v_div_fmas_f32 v5, v5, v23, v33
	v_div_fixup_f32 v5, v5, v18, s4
	v_fma_f32 v23, -v22, v36, 1.0
	v_fmac_f32_e32 v36, v23, v36
	v_div_scale_f32 v23, vcc, v29, v26, v29
	v_mul_f32_e32 v33, v23, v36
	v_fma_f32 v37, -v22, v33, v23
	v_fmac_f32_e32 v33, v37, v36
	v_fma_f32 v22, -v22, v33, v23
	v_div_fmas_f32 v22, v22, v36, v33
	v_div_fixup_f32 v22, v22, v26, v29
	v_mul_f32_e32 v5, v5, v22
	v_mul_f32_e32 v22, v25, v25
	v_fmac_f32_e32 v30, 0xb94c1982, v22
	v_fmac_f32_e32 v32, v22, v30
	;; [unrolled: 1-line block ×3, first 2 shown]
	v_mul_f32_e32 v23, v22, v32
	v_fmac_f32_e32 v34, v22, v31
	v_fmac_f32_e32 v25, v25, v23
	;; [unrolled: 1-line block ×3, first 2 shown]
	v_and_b32_e32 v23, 1, v24
	v_fma_f32 v22, v22, v35, 1.0
	v_cmp_eq_u32_e32 vcc, 0, v23
	v_lshlrev_b32_e32 v23, 30, v24
	v_and_b32_e32 v23, 0x80000000, v23
	v_cndmask_b32_e64 v22, -v25, v22, vcc
	v_xor_b32_e32 v22, v23, v22
	v_cndmask_b32_e64 v22, v28, v22, s[0:1]
	s_mov_b32 s0, 0xf800000
	v_mul_f32_e32 v23, 0x4f800000, v18
	v_cmp_gt_f32_e32 vcc, s0, v18
	v_mul_f32_e32 v5, v5, v22
	v_fmac_f32_e32 v5, v27, v3
	v_cndmask_b32_e32 v18, v18, v23, vcc
	v_sqrt_f32_e32 v23, v18
	v_mul_f32_e32 v3, 0x3f4c422a, v5
	v_add_u32_e32 v5, -1, v23
	v_fma_f32 v22, -v5, v23, v18
	v_cmp_ge_f32_e64 s[0:1], 0, v22
	v_add_u32_e32 v22, 1, v23
	s_nop 0
	v_cndmask_b32_e64 v5, v23, v5, s[0:1]
	v_fma_f32 v23, -v22, v23, v18
	v_cmp_lt_f32_e64 s[0:1], 0, v23
	s_nop 1
	v_cndmask_b32_e64 v5, v5, v22, s[0:1]
	v_mul_f32_e32 v22, 0x37800000, v5
	v_cndmask_b32_e32 v5, v5, v22, vcc
	v_mov_b32_e32 v22, 0x260
	v_cmp_class_f32_e32 vcc, v18, v22
	s_nop 1
	v_cndmask_b32_e32 v5, v5, v18, vcc
	v_div_scale_f32 v18, s[0:1], v5, v5, v3
	v_rcp_f32_e32 v22, v18
	s_nop 0
	v_fma_f32 v23, -v18, v22, 1.0
	v_fmac_f32_e32 v22, v23, v22
	v_div_scale_f32 v23, vcc, v3, v5, v3
	v_mul_f32_e32 v24, v23, v22
	v_fma_f32 v25, -v18, v24, v23
	v_fmac_f32_e32 v24, v25, v22
	v_fma_f32 v18, -v18, v24, v23
	v_div_fmas_f32 v18, v18, v22, v24
	v_div_fixup_f32 v22, v18, v5, v3
.LBB18_180:
	s_or_b64 exec, exec, s[8:9]
	s_mov_b32 s0, 0x40a00000
	v_cmp_ge_f32_e32 vcc, s0, v19
	s_and_saveexec_b64 s[0:1], vcc
	s_xor_b64 s[2:3], exec, s[0:1]
	s_cbranch_execz .LBB18_190
; %bb.181:
	v_cmp_neq_f32_e32 vcc, 0, v19
	v_mov_b32_e32 v23, 0xff800000
	s_and_saveexec_b64 s[4:5], vcc
	s_cbranch_execz .LBB18_189
; %bb.182:
	v_cmp_ngt_f32_e32 vcc, 0, v19
	v_mov_b32_e32 v23, 0x7fc00000
	s_and_saveexec_b64 s[8:9], vcc
	s_cbranch_execz .LBB18_188
; %bb.183:
	v_mul_f32_e32 v18, v19, v19
	s_mov_b32 s0, 0x3727c5ac
	v_mul_f32_e32 v24, 0, v18
	v_cmp_ngt_f32_e32 vcc, s0, v19
                                        ; implicit-def: $vgpr3
	s_and_saveexec_b64 s[0:1], vcc
	s_xor_b64 s[0:1], exec, s[0:1]
	s_cbranch_execz .LBB18_185
; %bb.184:
	v_add_f32_e32 v3, 0x43f9c815, v24
	v_fmaak_f32 v3, v18, v3, 0x4829b65a
	v_fmaak_f32 v3, v18, v3, 0x4c38c9a1
	;; [unrolled: 1-line block ×3, first 2 shown]
	s_mov_b32 s10, 0xcf8ee29d
	v_mul_f32_e32 v25, v18, v3
	s_mov_b32 s11, 0x53f5f59c
	v_pk_add_f32 v[26:27], v[24:25], s[10:11]
	s_mov_b32 s10, 0x53e3ba8e
	s_mov_b32 s11, 0x578d3514
	v_pk_fma_f32 v[26:27], v[18:19], v[26:27], s[10:11] op_sel_hi:[0,1,1]
	s_mov_b32 s10, 0xd762b0a7
	s_mov_b32 s11, 0x5ae20a0c
	v_pk_fma_f32 v[26:27], v[18:19], v[26:27], s[10:11] op_sel_hi:[0,1,1]
	;; [unrolled: 3-line block ×3, first 2 shown]
	s_mov_b32 s10, 0xc0b90fdc
	s_mov_b32 s11, 0xc1f3c525
	v_pk_add_f32 v[28:29], v[18:19], s[10:11] op_sel_hi:[0,1]
	v_mul_f32_e32 v3, v28, v29
	v_mul_f32_e32 v3, v3, v26
	v_div_scale_f32 v5, s[10:11], v27, v27, v3
	v_rcp_f32_e32 v23, v5
	s_nop 0
	v_fma_f32 v25, -v5, v23, 1.0
	v_fmac_f32_e32 v23, v25, v23
	v_div_scale_f32 v25, vcc, v3, v27, v3
	v_mul_f32_e32 v26, v25, v23
	v_fma_f32 v28, -v5, v26, v25
	v_fmac_f32_e32 v26, v28, v23
	v_fma_f32 v5, -v5, v26, v25
	v_div_fmas_f32 v5, v5, v23, v26
	v_div_fixup_f32 v3, v5, v27, v3
.LBB18_185:
	s_andn2_saveexec_b64 s[0:1], s[0:1]
; %bb.186:
	v_mov_b32_e32 v3, 1.0
	v_fmamk_f32 v3, v18, 0xbe800000, v3
; %bb.187:
	s_or_b64 exec, exec, s[0:1]
	v_add_f32_e32 v5, 0x4673a1bf, v24
	v_fmaak_f32 v5, v18, v5, 0xcb5fc0fa
	v_add_f32_e32 v23, 0x44822913, v24
	v_fmaak_f32 v5, v18, v5, 0x4fa1fbc8
	v_fmaak_f32 v23, v18, v23, 0x4918dbb5
	;; [unrolled: 1-line block ×12, first 2 shown]
	v_div_scale_f32 v18, s[0:1], v23, v23, v5
	v_rcp_f32_e32 v24, v18
	s_mov_b32 s0, 0x800000
	v_cmp_gt_f32_e64 s[0:1], s0, v19
	s_mov_b32 s10, 0x3f317217
	v_fma_f32 v25, -v18, v24, 1.0
	v_fmac_f32_e32 v24, v25, v24
	v_div_scale_f32 v25, vcc, v5, v23, v5
	v_mul_f32_e32 v26, v25, v24
	v_fma_f32 v27, -v18, v26, v25
	v_fmac_f32_e32 v26, v27, v24
	v_fma_f32 v18, -v18, v26, v25
	v_mov_b32_e32 v25, 0x4f800000
	v_cndmask_b32_e64 v25, 1.0, v25, s[0:1]
	v_mul_f32_e32 v19, v19, v25
	v_log_f32_e32 v19, v19
	v_div_fmas_f32 v18, v18, v24, v26
	v_div_fixup_f32 v23, v18, v23, v5
	v_mul_f32_e32 v5, 0x3f317217, v19
	v_fma_f32 v18, v19, s10, -v5
	v_fmamk_f32 v18, v19, 0x3377d1cf, v18
	s_mov_b32 s10, 0x7f800000
	v_add_f32_e32 v5, v5, v18
	v_cmp_lt_f32_e64 vcc, |v19|, s10
	v_mov_b32_e32 v18, 0x41b17218
	v_cndmask_b32_e64 v18, 0, v18, s[0:1]
	v_cndmask_b32_e32 v5, v19, v5, vcc
	v_sub_f32_e32 v5, v5, v18
	v_mul_f32_e32 v5, 0x3f22f983, v5
	v_fmac_f32_e32 v23, v5, v3
.LBB18_188:
	s_or_b64 exec, exec, s[8:9]
.LBB18_189:
	s_or_b64 exec, exec, s[4:5]
                                        ; implicit-def: $vgpr18_vgpr19
.LBB18_190:
	s_andn2_saveexec_b64 s[8:9], s[2:3]
	s_cbranch_execz .LBB18_200
; %bb.191:
	v_add_f32_e32 v3, 0xbf490fdb, v19
	v_and_b32_e32 v5, 0x7fffffff, v3
	s_brev_b32 s0, 18
	v_cmp_nlt_f32_e64 s[10:11], |v3|, s0
	v_lshrrev_b32_e32 v26, 23, v5
                                        ; implicit-def: $vgpr18
                                        ; implicit-def: $vgpr23
	s_and_saveexec_b64 s[0:1], s[10:11]
	s_xor_b64 s[12:13], exec, s[0:1]
	s_cbranch_execz .LBB18_193
; %bb.192:
	v_add_u32_e32 v18, 0xffffff88, v26
	v_not_b32_e32 v23, 63
	v_cmp_lt_u32_e32 vcc, 63, v18
	s_mov_b32 s4, 0xfe5163ab
	v_mov_b32_e32 v25, 0
	v_cndmask_b32_e32 v23, 0, v23, vcc
	v_add_u32_e32 v18, v23, v18
	v_not_b32_e32 v23, 31
	v_cmp_lt_u32_e64 s[0:1], 31, v18
	s_nop 1
	v_cndmask_b32_e64 v24, 0, v23, s[0:1]
	v_add_u32_e32 v18, v24, v18
	v_cmp_lt_u32_e64 s[2:3], 31, v18
	s_nop 1
	v_cndmask_b32_e64 v23, 0, v23, s[2:3]
	v_add_u32_e32 v18, v23, v18
	v_and_b32_e32 v23, 0x7fffff, v5
	v_or_b32_e32 v23, 0x800000, v23
	v_mad_u64_u32 v[28:29], s[4:5], v23, s4, 0
	v_mov_b32_e32 v24, v29
	s_mov_b32 s4, 0x3c439041
	v_mad_u64_u32 v[30:31], s[4:5], v23, s4, v[24:25]
	v_mov_b32_e32 v24, v31
	s_mov_b32 s4, 0xdb629599
	;; [unrolled: 3-line block ×6, first 2 shown]
	v_mad_u64_u32 v[24:25], s[4:5], v23, s4, v[24:25]
	v_cndmask_b32_e32 v27, v38, v34, vcc
	v_cndmask_b32_e32 v23, v24, v36, vcc
	;; [unrolled: 1-line block ×3, first 2 shown]
	v_cndmask_b32_e64 v24, v23, v27, s[0:1]
	v_cndmask_b32_e64 v23, v25, v23, s[0:1]
	v_cndmask_b32_e32 v25, v36, v32, vcc
	v_cndmask_b32_e64 v27, v27, v25, s[0:1]
	v_cndmask_b32_e64 v23, v23, v24, s[2:3]
	;; [unrolled: 1-line block ×3, first 2 shown]
	v_sub_u32_e32 v29, 32, v18
	v_alignbit_b32 v31, v23, v24, v29
	v_cmp_eq_u32_e64 s[4:5], 0, v18
	v_cndmask_b32_e32 v28, v32, v28, vcc
	s_nop 0
	v_cndmask_b32_e64 v18, v31, v23, s[4:5]
	v_cndmask_b32_e32 v23, v34, v30, vcc
	v_cndmask_b32_e64 v25, v25, v23, s[0:1]
	v_cndmask_b32_e64 v27, v27, v25, s[2:3]
	v_alignbit_b32 v30, v24, v27, v29
	v_cndmask_b32_e64 v24, v30, v24, s[4:5]
	v_bfe_u32 v33, v18, 29, 1
	v_cndmask_b32_e64 v23, v23, v28, s[0:1]
	v_alignbit_b32 v30, v18, v24, 30
	v_sub_u32_e32 v34, 0, v33
	v_cndmask_b32_e64 v23, v25, v23, s[2:3]
	v_xor_b32_e32 v35, v30, v34
	v_alignbit_b32 v25, v27, v23, v29
	v_cndmask_b32_e64 v25, v25, v27, s[4:5]
	v_ffbh_u32_e32 v27, v35
	v_add_u32_e32 v27, 1, v27
	v_cmp_ne_u32_e32 vcc, v30, v34
	v_alignbit_b32 v24, v24, v25, 30
	v_alignbit_b32 v23, v25, v23, 30
	v_cndmask_b32_e32 v27, 33, v27, vcc
	v_xor_b32_e32 v24, v24, v34
	v_sub_u32_e32 v28, 32, v27
	v_xor_b32_e32 v23, v23, v34
	v_alignbit_b32 v29, v35, v24, v28
	v_alignbit_b32 v23, v24, v23, v28
	;; [unrolled: 1-line block ×3, first 2 shown]
	v_ffbh_u32_e32 v25, v24
	v_min_u32_e32 v25, 32, v25
	v_lshrrev_b32_e32 v31, 29, v18
	v_sub_u32_e32 v28, 31, v25
	v_alignbit_b32 v23, v24, v23, v28
	v_lshlrev_b32_e32 v24, 31, v31
	v_or_b32_e32 v28, 0x33800000, v24
	v_add_lshl_u32 v25, v25, v27, 23
	v_lshrrev_b32_e32 v23, 9, v23
	v_sub_u32_e32 v25, v28, v25
	v_or_b32_e32 v23, v25, v23
	v_alignbit_b32 v25, v27, v29, 9
	v_or_b32_e32 v24, v25, v24
	v_xor_b32_e32 v24, 1.0, v24
	s_mov_b32 s0, 0x3fc90fda
	v_mul_f32_e32 v25, 0x3fc90fda, v24
	v_fma_f32 v27, v24, s0, -v25
	v_fmamk_f32 v24, v24, 0x33a22168, v27
	v_fmac_f32_e32 v24, 0x3fc90fda, v23
	v_lshrrev_b32_e32 v18, 30, v18
	v_add_f32_e32 v23, v25, v24
	v_add_u32_e32 v18, v33, v18
	s_andn2_saveexec_b64 s[0:1], s[12:13]
	s_branch .LBB18_194
.LBB18_193:
	s_andn2_saveexec_b64 s[0:1], s[12:13]
.LBB18_194:
	s_mov_b32 s2, 0x3f22f983
	v_mul_f32_e64 v18, |v3|, s2
	v_rndne_f32_e32 v23, v18
	s_mov_b32 s2, 0xbfc90fda
	v_cvt_i32_f32_e32 v18, v23
	v_fma_f32 v24, v23, s2, |v3|
	v_fmamk_f32 v24, v23, 0xb3a22168, v24
	v_fmamk_f32 v23, v23, 0xa7c234c4, v24
; %bb.195:
	s_or_b64 exec, exec, s[0:1]
                                        ; implicit-def: $vgpr24
                                        ; implicit-def: $vgpr25
	s_and_saveexec_b64 s[0:1], s[10:11]
	s_xor_b64 s[10:11], exec, s[0:1]
	s_cbranch_execz .LBB18_197
; %bb.196:
	v_add_u32_e32 v24, 0xffffff88, v26
	v_not_b32_e32 v26, 63
	v_cmp_lt_u32_e32 vcc, 63, v24
	s_mov_b32 s4, 0xfe5163ab
	v_mov_b32_e32 v25, 0
	v_cndmask_b32_e32 v26, 0, v26, vcc
	v_add_u32_e32 v24, v26, v24
	v_not_b32_e32 v26, 31
	v_cmp_lt_u32_e64 s[0:1], 31, v24
	s_nop 1
	v_cndmask_b32_e64 v27, 0, v26, s[0:1]
	v_add_u32_e32 v24, v27, v24
	v_cmp_lt_u32_e64 s[2:3], 31, v24
	s_nop 1
	v_cndmask_b32_e64 v26, 0, v26, s[2:3]
	v_add_u32_e32 v38, v26, v24
	v_and_b32_e32 v24, 0x7fffff, v5
	v_or_b32_e32 v39, 0x800000, v24
	v_mad_u64_u32 v[26:27], s[4:5], v39, s4, 0
	v_mov_b32_e32 v24, v27
	s_mov_b32 s4, 0x3c439041
	v_mad_u64_u32 v[28:29], s[4:5], v39, s4, v[24:25]
	v_mov_b32_e32 v24, v29
	s_mov_b32 s4, 0xdb629599
	;; [unrolled: 3-line block ×6, first 2 shown]
	v_mad_u64_u32 v[24:25], s[4:5], v39, s4, v[24:25]
	v_cndmask_b32_e32 v27, v36, v32, vcc
	v_cndmask_b32_e32 v24, v24, v34, vcc
	;; [unrolled: 1-line block ×3, first 2 shown]
	v_cndmask_b32_e64 v29, v24, v27, s[0:1]
	v_cndmask_b32_e64 v24, v25, v24, s[0:1]
	v_cndmask_b32_e32 v25, v34, v30, vcc
	v_cndmask_b32_e64 v27, v27, v25, s[0:1]
	v_cndmask_b32_e32 v28, v32, v28, vcc
	v_cndmask_b32_e64 v24, v24, v29, s[2:3]
	v_cndmask_b32_e64 v29, v29, v27, s[2:3]
	v_sub_u32_e32 v31, 32, v38
	v_cndmask_b32_e64 v25, v25, v28, s[0:1]
	v_alignbit_b32 v33, v24, v29, v31
	v_cmp_eq_u32_e64 s[4:5], 0, v38
	v_cndmask_b32_e64 v27, v27, v25, s[2:3]
	v_alignbit_b32 v32, v29, v27, v31
	v_cndmask_b32_e64 v24, v33, v24, s[4:5]
	v_cndmask_b32_e64 v29, v32, v29, s[4:5]
	v_bfe_u32 v34, v24, 29, 1
	v_cndmask_b32_e32 v26, v30, v26, vcc
	v_alignbit_b32 v32, v24, v29, 30
	v_sub_u32_e32 v35, 0, v34
	v_cndmask_b32_e64 v26, v28, v26, s[0:1]
	v_xor_b32_e32 v36, v32, v35
	v_cndmask_b32_e64 v25, v25, v26, s[2:3]
	v_alignbit_b32 v26, v27, v25, v31
	v_ffbh_u32_e32 v28, v36
	v_cndmask_b32_e64 v26, v26, v27, s[4:5]
	v_add_u32_e32 v28, 1, v28
	v_cmp_ne_u32_e32 vcc, v32, v35
	v_alignbit_b32 v27, v29, v26, 30
	v_alignbit_b32 v25, v26, v25, 30
	v_cndmask_b32_e32 v28, 33, v28, vcc
	v_xor_b32_e32 v27, v27, v35
	v_sub_u32_e32 v29, 32, v28
	v_xor_b32_e32 v25, v25, v35
	v_alignbit_b32 v30, v36, v27, v29
	v_alignbit_b32 v25, v27, v25, v29
	;; [unrolled: 1-line block ×3, first 2 shown]
	v_ffbh_u32_e32 v27, v26
	v_min_u32_e32 v27, 32, v27
	v_lshrrev_b32_e32 v33, 29, v24
	v_sub_u32_e32 v29, 31, v27
	v_alignbit_b32 v25, v26, v25, v29
	v_lshlrev_b32_e32 v26, 31, v33
	v_or_b32_e32 v29, 0x33800000, v26
	v_add_lshl_u32 v27, v27, v28, 23
	v_lshrrev_b32_e32 v25, 9, v25
	v_sub_u32_e32 v27, v29, v27
	v_or_b32_e32 v25, v27, v25
	v_alignbit_b32 v27, v28, v30, 9
	v_or_b32_e32 v26, v27, v26
	v_xor_b32_e32 v26, 1.0, v26
	s_mov_b32 s0, 0x3fc90fda
	v_mul_f32_e32 v27, 0x3fc90fda, v26
	v_fma_f32 v28, v26, s0, -v27
	v_fmamk_f32 v26, v26, 0x33a22168, v28
	v_fmac_f32_e32 v26, 0x3fc90fda, v25
	v_lshrrev_b32_e32 v24, 30, v24
	v_add_f32_e32 v25, v27, v26
	v_add_u32_e32 v24, v34, v24
	s_andn2_saveexec_b64 s[0:1], s[10:11]
	s_cbranch_execnz .LBB18_198
	s_branch .LBB18_199
.LBB18_197:
	s_andn2_saveexec_b64 s[0:1], s[10:11]
.LBB18_198:
	s_mov_b32 s2, 0x3f22f983
	v_mul_f32_e64 v24, |v3|, s2
	v_rndne_f32_e32 v25, v24
	s_mov_b32 s2, 0xbfc90fda
	v_cvt_i32_f32_e32 v24, v25
	v_fma_f32 v26, v25, s2, |v3|
	v_fmamk_f32 v26, v25, 0xb3a22168, v26
	v_fmamk_f32 v25, v25, 0xa7c234c4, v26
.LBB18_199:
	s_or_b64 exec, exec, s[0:1]
	v_mul_f32_e32 v26, v19, v19
	s_mov_b32 s2, 0x41c80000
	v_div_scale_f32 v27, s[0:1], v26, v26, s2
	v_rcp_f32_e32 v28, v27
	v_xor_b32_e32 v5, v5, v3
	s_mov_b32 s4, 0x40a00000
	v_mov_b32_e32 v35, 0xbf000004
	v_fma_f32 v29, -v27, v28, 1.0
	v_fmac_f32_e32 v28, v29, v28
	v_div_scale_f32 v29, vcc, s2, v26, s2
	v_mul_f32_e32 v30, v29, v28
	v_fma_f32 v31, -v27, v30, v29
	v_fmac_f32_e32 v30, v31, v28
	v_fma_f32 v27, -v27, v30, v29
	v_div_fmas_f32 v27, v27, v28, v30
	v_div_fixup_f32 v26, v27, v26, s2
	v_mov_b32_e32 v27, 0x3a50e985
	v_mov_b32_e32 v28, 0x3a725406
	v_fmac_f32_e32 v27, 0, v26
	v_fmac_f32_e32 v28, 0, v26
	v_fmaak_f32 v27, v26, v27, 0x3da9a586
	v_fmaak_f32 v28, v26, v28, 0x3daf5e2d
	;; [unrolled: 1-line block ×8, first 2 shown]
	v_mov_b32_e32 v29, 0xbc3a3a12
	v_fmaak_f32 v27, v26, v27, 0x40a9b425
	v_fmaak_f32 v28, v26, v28, 0x40a9cb2f
	v_fmac_f32_e32 v29, 0, v26
	v_mov_b32_e32 v30, 0x4280a2ba
	v_fma_f32 v28, v26, v28, 1.0
	v_fmaak_f32 v29, v26, v29, 0xbfa429da
	v_fmac_f32_e32 v30, 0, v26
	v_fma_f32 v27, v26, v27, 1.0
	v_fmaak_f32 v29, v26, v29, 0xc19c6e80
	v_fmaak_f32 v30, v26, v30, 0x44561b86
	v_div_scale_f32 v31, s[0:1], v28, v28, v27
	v_fmaak_f32 v29, v26, v29, 0xc2ba697b
	v_fmaak_f32 v30, v26, v30, 0x4572a66e
	v_rcp_f32_e32 v32, v31
	v_fmaak_f32 v29, v26, v29, 0xc331ae61
	v_fmaak_f32 v30, v26, v30, 0x45e243be
	;; [unrolled: 1-line block ×8, first 2 shown]
	v_fma_f32 v30, -v31, v32, 1.0
	v_fmac_f32_e32 v32, v30, v32
	v_div_scale_f32 v30, vcc, v27, v28, v27
	v_mul_f32_e32 v33, v30, v32
	v_fma_f32 v34, -v31, v33, v30
	v_fmac_f32_e32 v33, v34, v32
	v_fma_f32 v30, -v31, v33, v30
	v_div_fmas_f32 v30, v30, v32, v33
	v_div_fixup_f32 v27, v30, v28, v27
	v_mul_f32_e32 v28, v23, v23
	v_mov_b32_e32 v30, 0x3c0881c4
	v_fmamk_f32 v31, v28, 0xb94c1982, v30
	v_fmaak_f32 v31, v28, v31, 0xbe2aaa9d
	v_mul_f32_e32 v31, v28, v31
	v_fmac_f32_e32 v23, v23, v31
	v_mov_b32_e32 v31, 0xbab64f3b
	v_fmamk_f32 v33, v28, 0x37d75334, v31
	v_fmaak_f32 v33, v28, v33, 0x3d2aabf7
	v_fmaak_f32 v33, v28, v33, 0xbf000004
	v_fma_f32 v28, v28, v33, 1.0
	v_and_b32_e32 v33, 1, v18
	v_lshlrev_b32_e32 v18, 30, v18
	v_cmp_eq_u32_e32 vcc, 0, v33
	v_and_b32_e32 v18, 0x80000000, v18
	v_xor_b32_e32 v5, v5, v18
	v_cndmask_b32_e32 v23, v28, v23, vcc
	v_div_scale_f32 v18, s[0:1], v19, v19, s4
	v_xor_b32_e32 v5, v5, v23
	v_rcp_f32_e32 v23, v18
	s_movk_i32 s2, 0x1f8
	v_mov_b32_e32 v28, 0x7fc00000
	v_cmp_class_f32_e64 s[0:1], v3, s2
	v_mov_b32_e32 v32, 0xbe2aaa9d
	v_mov_b32_e32 v34, 0x3d2aabf7
	v_cndmask_b32_e64 v3, v28, v5, s[0:1]
	v_fma_f32 v5, -v18, v23, 1.0
	v_fmac_f32_e32 v23, v5, v23
	v_div_scale_f32 v5, vcc, s4, v19, s4
	v_mul_f32_e32 v33, v5, v23
	v_fma_f32 v36, -v18, v33, v5
	v_fmac_f32_e32 v33, v36, v23
	v_fma_f32 v5, -v18, v33, v5
	v_div_scale_f32 v18, s[2:3], v26, v26, v29
	v_rcp_f32_e32 v36, v18
	v_div_fmas_f32 v5, v5, v23, v33
	v_div_fixup_f32 v5, v5, v19, s4
	v_fma_f32 v23, -v18, v36, 1.0
	v_fmac_f32_e32 v36, v23, v36
	v_div_scale_f32 v23, vcc, v29, v26, v29
	v_mul_f32_e32 v33, v23, v36
	v_fma_f32 v37, -v18, v33, v23
	v_fmac_f32_e32 v33, v37, v36
	v_fma_f32 v18, -v18, v33, v23
	v_div_fmas_f32 v18, v18, v36, v33
	v_div_fixup_f32 v18, v18, v26, v29
	v_mul_f32_e32 v5, v5, v18
	v_mul_f32_e32 v18, v25, v25
	v_fmac_f32_e32 v30, 0xb94c1982, v18
	v_fmac_f32_e32 v32, v18, v30
	;; [unrolled: 1-line block ×3, first 2 shown]
	v_mul_f32_e32 v23, v18, v32
	v_fmac_f32_e32 v34, v18, v31
	v_fmac_f32_e32 v25, v25, v23
	;; [unrolled: 1-line block ×3, first 2 shown]
	v_and_b32_e32 v23, 1, v24
	v_fma_f32 v18, v18, v35, 1.0
	v_cmp_eq_u32_e32 vcc, 0, v23
	v_lshlrev_b32_e32 v23, 30, v24
	v_and_b32_e32 v23, 0x80000000, v23
	v_cndmask_b32_e64 v18, -v25, v18, vcc
	v_xor_b32_e32 v18, v23, v18
	v_cndmask_b32_e64 v18, v28, v18, s[0:1]
	s_mov_b32 s0, 0xf800000
	v_mul_f32_e32 v23, 0x4f800000, v19
	v_cmp_gt_f32_e32 vcc, s0, v19
	v_mul_f32_e32 v5, v5, v18
	v_fmac_f32_e32 v5, v27, v3
	v_cndmask_b32_e32 v19, v19, v23, vcc
	v_sqrt_f32_e32 v23, v19
	v_mul_f32_e32 v3, 0x3f4c422a, v5
	v_add_u32_e32 v5, -1, v23
	v_fma_f32 v18, -v5, v23, v19
	v_cmp_ge_f32_e64 s[0:1], 0, v18
	v_add_u32_e32 v18, 1, v23
	s_nop 0
	v_cndmask_b32_e64 v5, v23, v5, s[0:1]
	v_fma_f32 v23, -v18, v23, v19
	v_cmp_lt_f32_e64 s[0:1], 0, v23
	s_nop 1
	v_cndmask_b32_e64 v5, v5, v18, s[0:1]
	v_mul_f32_e32 v18, 0x37800000, v5
	v_cndmask_b32_e32 v5, v5, v18, vcc
	v_mov_b32_e32 v18, 0x260
	v_cmp_class_f32_e32 vcc, v19, v18
	s_nop 1
	v_cndmask_b32_e32 v5, v5, v19, vcc
	v_div_scale_f32 v18, s[0:1], v5, v5, v3
	v_rcp_f32_e32 v19, v18
	s_nop 0
	v_fma_f32 v23, -v18, v19, 1.0
	v_fmac_f32_e32 v19, v23, v19
	v_div_scale_f32 v23, vcc, v3, v5, v3
	v_mul_f32_e32 v24, v23, v19
	v_fma_f32 v25, -v18, v24, v23
	v_fmac_f32_e32 v24, v25, v19
	v_fma_f32 v18, -v18, v24, v23
	v_div_fmas_f32 v18, v18, v19, v24
	v_div_fixup_f32 v23, v18, v5, v3
.LBB18_200:
	s_or_b64 exec, exec, s[8:9]
	s_mov_b32 s0, 0x40a00000
	v_cmp_ge_f32_e32 vcc, s0, v14
                                        ; implicit-def: $vgpr18
	s_and_saveexec_b64 s[0:1], vcc
	s_xor_b64 s[2:3], exec, s[0:1]
	s_cbranch_execz .LBB18_210
; %bb.201:
	v_cmp_neq_f32_e32 vcc, 0, v14
	v_mov_b32_e32 v18, 0xff800000
	s_and_saveexec_b64 s[4:5], vcc
	s_cbranch_execz .LBB18_209
; %bb.202:
	v_cmp_ngt_f32_e32 vcc, 0, v14
	v_mov_b32_e32 v18, 0x7fc00000
	s_and_saveexec_b64 s[8:9], vcc
	s_cbranch_execz .LBB18_208
; %bb.203:
	v_mul_f32_e32 v18, v14, v14
	s_mov_b32 s0, 0x3727c5ac
	v_mul_f32_e32 v24, 0, v18
	v_cmp_ngt_f32_e32 vcc, s0, v14
                                        ; implicit-def: $vgpr3
	s_and_saveexec_b64 s[0:1], vcc
	s_xor_b64 s[0:1], exec, s[0:1]
	s_cbranch_execz .LBB18_205
; %bb.204:
	v_add_f32_e32 v3, 0x43f9c815, v24
	v_fmaak_f32 v3, v18, v3, 0x4829b65a
	v_fmaak_f32 v3, v18, v3, 0x4c38c9a1
	;; [unrolled: 1-line block ×3, first 2 shown]
	s_mov_b32 s10, 0xcf8ee29d
	v_mul_f32_e32 v25, v18, v3
	s_mov_b32 s11, 0x53f5f59c
	v_pk_add_f32 v[26:27], v[24:25], s[10:11]
	s_mov_b32 s10, 0x53e3ba8e
	s_mov_b32 s11, 0x578d3514
	v_pk_fma_f32 v[26:27], v[18:19], v[26:27], s[10:11] op_sel_hi:[0,1,1]
	s_mov_b32 s10, 0xd762b0a7
	s_mov_b32 s11, 0x5ae20a0c
	v_pk_fma_f32 v[26:27], v[18:19], v[26:27], s[10:11] op_sel_hi:[0,1,1]
	;; [unrolled: 3-line block ×3, first 2 shown]
	s_mov_b32 s10, 0xc0b90fdc
	s_mov_b32 s11, 0xc1f3c525
	v_pk_add_f32 v[28:29], v[18:19], s[10:11] op_sel_hi:[0,1]
	v_mul_f32_e32 v3, v28, v29
	v_mul_f32_e32 v3, v3, v26
	v_div_scale_f32 v5, s[10:11], v27, v27, v3
	v_rcp_f32_e32 v19, v5
	s_nop 0
	v_fma_f32 v25, -v5, v19, 1.0
	v_fmac_f32_e32 v19, v25, v19
	v_div_scale_f32 v25, vcc, v3, v27, v3
	v_mul_f32_e32 v26, v25, v19
	v_fma_f32 v28, -v5, v26, v25
	v_fmac_f32_e32 v26, v28, v19
	v_fma_f32 v5, -v5, v26, v25
	v_div_fmas_f32 v5, v5, v19, v26
	v_div_fixup_f32 v3, v5, v27, v3
.LBB18_205:
	s_andn2_saveexec_b64 s[0:1], s[0:1]
; %bb.206:
	v_mov_b32_e32 v3, 1.0
	v_fmamk_f32 v3, v18, 0xbe800000, v3
; %bb.207:
	s_or_b64 exec, exec, s[0:1]
	v_add_f32_e32 v5, 0x4673a1bf, v24
	v_fmaak_f32 v5, v18, v5, 0xcb5fc0fa
	v_add_f32_e32 v19, 0x44822913, v24
	v_fmaak_f32 v5, v18, v5, 0x4fa1fbc8
	v_fmaak_f32 v19, v18, v19, 0x4918dbb5
	;; [unrolled: 1-line block ×12, first 2 shown]
	v_div_scale_f32 v18, s[0:1], v19, v19, v5
	v_rcp_f32_e32 v24, v18
	s_mov_b32 s0, 0x800000
	v_cmp_gt_f32_e64 s[0:1], s0, v14
	s_mov_b32 s10, 0x3f317217
	v_fma_f32 v25, -v18, v24, 1.0
	v_fmac_f32_e32 v24, v25, v24
	v_div_scale_f32 v25, vcc, v5, v19, v5
	v_mul_f32_e32 v26, v25, v24
	v_fma_f32 v27, -v18, v26, v25
	v_fmac_f32_e32 v26, v27, v24
	v_fma_f32 v18, -v18, v26, v25
	v_mov_b32_e32 v25, 0x4f800000
	v_cndmask_b32_e64 v25, 1.0, v25, s[0:1]
	v_mul_f32_e32 v25, v14, v25
	v_log_f32_e32 v25, v25
	v_div_fmas_f32 v18, v18, v24, v26
	v_div_fixup_f32 v18, v18, v19, v5
	v_mul_f32_e32 v5, 0x3f317217, v25
	v_fma_f32 v19, v25, s10, -v5
	v_fmamk_f32 v19, v25, 0x3377d1cf, v19
	s_mov_b32 s10, 0x7f800000
	v_add_f32_e32 v5, v5, v19
	v_cmp_lt_f32_e64 vcc, |v25|, s10
	v_mov_b32_e32 v19, 0x41b17218
	v_cndmask_b32_e64 v19, 0, v19, s[0:1]
	v_cndmask_b32_e32 v5, v25, v5, vcc
	v_sub_f32_e32 v5, v5, v19
	v_mul_f32_e32 v5, 0x3f22f983, v5
	v_fmac_f32_e32 v18, v5, v3
.LBB18_208:
	s_or_b64 exec, exec, s[8:9]
.LBB18_209:
	s_or_b64 exec, exec, s[4:5]
.LBB18_210:
	s_andn2_saveexec_b64 s[8:9], s[2:3]
	s_cbranch_execz .LBB18_220
; %bb.211:
	v_add_f32_e32 v3, 0xbf490fdb, v14
	v_and_b32_e32 v5, 0x7fffffff, v3
	s_brev_b32 s0, 18
	v_cmp_nlt_f32_e64 s[10:11], |v3|, s0
	v_lshrrev_b32_e32 v26, 23, v5
                                        ; implicit-def: $vgpr18
                                        ; implicit-def: $vgpr19
	s_and_saveexec_b64 s[0:1], s[10:11]
	s_xor_b64 s[12:13], exec, s[0:1]
	s_cbranch_execz .LBB18_213
; %bb.212:
	v_add_u32_e32 v18, 0xffffff88, v26
	v_not_b32_e32 v24, 63
	v_cmp_lt_u32_e32 vcc, 63, v18
	s_mov_b32 s4, 0xfe5163ab
	v_mov_b32_e32 v19, 0
	v_cndmask_b32_e32 v24, 0, v24, vcc
	v_add_u32_e32 v18, v24, v18
	v_not_b32_e32 v24, 31
	v_cmp_lt_u32_e64 s[0:1], 31, v18
	s_nop 1
	v_cndmask_b32_e64 v25, 0, v24, s[0:1]
	v_add_u32_e32 v18, v25, v18
	v_cmp_lt_u32_e64 s[2:3], 31, v18
	s_nop 1
	v_cndmask_b32_e64 v24, 0, v24, s[2:3]
	v_add_u32_e32 v27, v24, v18
	v_and_b32_e32 v18, 0x7fffff, v5
	v_or_b32_e32 v38, 0x800000, v18
	v_mad_u64_u32 v[24:25], s[4:5], v38, s4, 0
	v_mov_b32_e32 v18, v25
	s_mov_b32 s4, 0x3c439041
	v_mad_u64_u32 v[28:29], s[4:5], v38, s4, v[18:19]
	v_mov_b32_e32 v18, v29
	s_mov_b32 s4, 0xdb629599
	;; [unrolled: 3-line block ×6, first 2 shown]
	v_mad_u64_u32 v[18:19], s[4:5], v38, s4, v[18:19]
	v_cndmask_b32_e32 v25, v36, v32, vcc
	v_cndmask_b32_e32 v18, v18, v34, vcc
	;; [unrolled: 1-line block ×3, first 2 shown]
	v_cndmask_b32_e64 v29, v18, v25, s[0:1]
	v_cndmask_b32_e64 v18, v19, v18, s[0:1]
	v_cndmask_b32_e32 v19, v34, v30, vcc
	v_cndmask_b32_e64 v25, v25, v19, s[0:1]
	v_sub_u32_e32 v31, 32, v27
	v_cmp_eq_u32_e64 s[4:5], 0, v27
	v_cndmask_b32_e32 v27, v32, v28, vcc
	v_cndmask_b32_e64 v18, v18, v29, s[2:3]
	v_cndmask_b32_e64 v29, v29, v25, s[2:3]
	;; [unrolled: 1-line block ×3, first 2 shown]
	v_alignbit_b32 v33, v18, v29, v31
	v_cndmask_b32_e64 v25, v25, v19, s[2:3]
	v_cndmask_b32_e64 v18, v33, v18, s[4:5]
	v_alignbit_b32 v28, v29, v25, v31
	v_cndmask_b32_e64 v28, v28, v29, s[4:5]
	v_bfe_u32 v33, v18, 29, 1
	v_cndmask_b32_e32 v24, v30, v24, vcc
	v_alignbit_b32 v29, v18, v28, 30
	v_sub_u32_e32 v34, 0, v33
	v_cndmask_b32_e64 v24, v27, v24, s[0:1]
	v_xor_b32_e32 v35, v29, v34
	v_cndmask_b32_e64 v19, v19, v24, s[2:3]
	v_alignbit_b32 v24, v25, v19, v31
	v_ffbh_u32_e32 v27, v35
	v_cndmask_b32_e64 v24, v24, v25, s[4:5]
	v_add_u32_e32 v27, 1, v27
	v_cmp_ne_u32_e32 vcc, v29, v34
	v_alignbit_b32 v25, v28, v24, 30
	v_alignbit_b32 v19, v24, v19, 30
	v_cndmask_b32_e32 v27, 33, v27, vcc
	v_xor_b32_e32 v25, v25, v34
	v_sub_u32_e32 v28, 32, v27
	v_xor_b32_e32 v19, v19, v34
	v_alignbit_b32 v29, v35, v25, v28
	v_alignbit_b32 v19, v25, v19, v28
	v_alignbit_b32 v24, v29, v19, 9
	v_ffbh_u32_e32 v25, v24
	v_min_u32_e32 v25, 32, v25
	v_lshrrev_b32_e32 v32, 29, v18
	v_sub_u32_e32 v28, 31, v25
	v_alignbit_b32 v19, v24, v19, v28
	v_lshlrev_b32_e32 v24, 31, v32
	v_or_b32_e32 v28, 0x33800000, v24
	v_add_lshl_u32 v25, v25, v27, 23
	v_lshrrev_b32_e32 v19, 9, v19
	v_sub_u32_e32 v25, v28, v25
	v_or_b32_e32 v19, v25, v19
	v_alignbit_b32 v25, v27, v29, 9
	v_or_b32_e32 v24, v25, v24
	v_xor_b32_e32 v24, 1.0, v24
	s_mov_b32 s0, 0x3fc90fda
	v_mul_f32_e32 v25, 0x3fc90fda, v24
	v_fma_f32 v27, v24, s0, -v25
	v_fmamk_f32 v24, v24, 0x33a22168, v27
	v_fmac_f32_e32 v24, 0x3fc90fda, v19
	v_lshrrev_b32_e32 v18, 30, v18
	v_add_f32_e32 v19, v25, v24
	v_add_u32_e32 v18, v33, v18
	s_andn2_saveexec_b64 s[0:1], s[12:13]
	s_branch .LBB18_214
.LBB18_213:
	s_andn2_saveexec_b64 s[0:1], s[12:13]
.LBB18_214:
	s_mov_b32 s2, 0x3f22f983
	v_mul_f32_e64 v18, |v3|, s2
	v_rndne_f32_e32 v19, v18
	s_mov_b32 s2, 0xbfc90fda
	v_cvt_i32_f32_e32 v18, v19
	v_fma_f32 v24, v19, s2, |v3|
	v_fmamk_f32 v24, v19, 0xb3a22168, v24
	v_fmamk_f32 v19, v19, 0xa7c234c4, v24
; %bb.215:
	s_or_b64 exec, exec, s[0:1]
                                        ; implicit-def: $vgpr24
                                        ; implicit-def: $vgpr25
	s_and_saveexec_b64 s[0:1], s[10:11]
	s_xor_b64 s[10:11], exec, s[0:1]
	s_cbranch_execz .LBB18_217
; %bb.216:
	v_add_u32_e32 v24, 0xffffff88, v26
	v_not_b32_e32 v26, 63
	v_cmp_lt_u32_e32 vcc, 63, v24
	s_mov_b32 s4, 0xfe5163ab
	v_mov_b32_e32 v25, 0
	v_cndmask_b32_e32 v26, 0, v26, vcc
	v_add_u32_e32 v24, v26, v24
	v_not_b32_e32 v26, 31
	v_cmp_lt_u32_e64 s[0:1], 31, v24
	s_nop 1
	v_cndmask_b32_e64 v27, 0, v26, s[0:1]
	v_add_u32_e32 v24, v27, v24
	v_cmp_lt_u32_e64 s[2:3], 31, v24
	s_nop 1
	v_cndmask_b32_e64 v26, 0, v26, s[2:3]
	v_add_u32_e32 v38, v26, v24
	v_and_b32_e32 v24, 0x7fffff, v5
	v_or_b32_e32 v39, 0x800000, v24
	v_mad_u64_u32 v[26:27], s[4:5], v39, s4, 0
	v_mov_b32_e32 v24, v27
	s_mov_b32 s4, 0x3c439041
	v_mad_u64_u32 v[28:29], s[4:5], v39, s4, v[24:25]
	v_mov_b32_e32 v24, v29
	s_mov_b32 s4, 0xdb629599
	;; [unrolled: 3-line block ×6, first 2 shown]
	v_mad_u64_u32 v[24:25], s[4:5], v39, s4, v[24:25]
	v_cndmask_b32_e32 v27, v36, v32, vcc
	v_cndmask_b32_e32 v24, v24, v34, vcc
	;; [unrolled: 1-line block ×3, first 2 shown]
	v_cndmask_b32_e64 v29, v24, v27, s[0:1]
	v_cndmask_b32_e64 v24, v25, v24, s[0:1]
	v_cndmask_b32_e32 v25, v34, v30, vcc
	v_cndmask_b32_e64 v27, v27, v25, s[0:1]
	v_cndmask_b32_e32 v28, v32, v28, vcc
	v_cndmask_b32_e64 v24, v24, v29, s[2:3]
	v_cndmask_b32_e64 v29, v29, v27, s[2:3]
	v_sub_u32_e32 v31, 32, v38
	v_cndmask_b32_e64 v25, v25, v28, s[0:1]
	v_alignbit_b32 v33, v24, v29, v31
	v_cmp_eq_u32_e64 s[4:5], 0, v38
	v_cndmask_b32_e64 v27, v27, v25, s[2:3]
	v_alignbit_b32 v32, v29, v27, v31
	v_cndmask_b32_e64 v24, v33, v24, s[4:5]
	v_cndmask_b32_e64 v29, v32, v29, s[4:5]
	v_bfe_u32 v34, v24, 29, 1
	v_cndmask_b32_e32 v26, v30, v26, vcc
	v_alignbit_b32 v32, v24, v29, 30
	v_sub_u32_e32 v35, 0, v34
	v_cndmask_b32_e64 v26, v28, v26, s[0:1]
	v_xor_b32_e32 v36, v32, v35
	v_cndmask_b32_e64 v25, v25, v26, s[2:3]
	v_alignbit_b32 v26, v27, v25, v31
	v_ffbh_u32_e32 v28, v36
	v_cndmask_b32_e64 v26, v26, v27, s[4:5]
	v_add_u32_e32 v28, 1, v28
	v_cmp_ne_u32_e32 vcc, v32, v35
	v_alignbit_b32 v27, v29, v26, 30
	v_alignbit_b32 v25, v26, v25, 30
	v_cndmask_b32_e32 v28, 33, v28, vcc
	v_xor_b32_e32 v27, v27, v35
	v_sub_u32_e32 v29, 32, v28
	v_xor_b32_e32 v25, v25, v35
	v_alignbit_b32 v30, v36, v27, v29
	v_alignbit_b32 v25, v27, v25, v29
	;; [unrolled: 1-line block ×3, first 2 shown]
	v_ffbh_u32_e32 v27, v26
	v_min_u32_e32 v27, 32, v27
	v_lshrrev_b32_e32 v33, 29, v24
	v_sub_u32_e32 v29, 31, v27
	v_alignbit_b32 v25, v26, v25, v29
	v_lshlrev_b32_e32 v26, 31, v33
	v_or_b32_e32 v29, 0x33800000, v26
	v_add_lshl_u32 v27, v27, v28, 23
	v_lshrrev_b32_e32 v25, 9, v25
	v_sub_u32_e32 v27, v29, v27
	v_or_b32_e32 v25, v27, v25
	v_alignbit_b32 v27, v28, v30, 9
	v_or_b32_e32 v26, v27, v26
	v_xor_b32_e32 v26, 1.0, v26
	s_mov_b32 s0, 0x3fc90fda
	v_mul_f32_e32 v27, 0x3fc90fda, v26
	v_fma_f32 v28, v26, s0, -v27
	v_fmamk_f32 v26, v26, 0x33a22168, v28
	v_fmac_f32_e32 v26, 0x3fc90fda, v25
	v_lshrrev_b32_e32 v24, 30, v24
	v_add_f32_e32 v25, v27, v26
	v_add_u32_e32 v24, v34, v24
	s_andn2_saveexec_b64 s[0:1], s[10:11]
	s_cbranch_execnz .LBB18_218
	s_branch .LBB18_219
.LBB18_217:
	s_andn2_saveexec_b64 s[0:1], s[10:11]
.LBB18_218:
	s_mov_b32 s2, 0x3f22f983
	v_mul_f32_e64 v24, |v3|, s2
	v_rndne_f32_e32 v25, v24
	s_mov_b32 s2, 0xbfc90fda
	v_cvt_i32_f32_e32 v24, v25
	v_fma_f32 v26, v25, s2, |v3|
	v_fmamk_f32 v26, v25, 0xb3a22168, v26
	v_fmamk_f32 v25, v25, 0xa7c234c4, v26
.LBB18_219:
	s_or_b64 exec, exec, s[0:1]
	v_mul_f32_e32 v26, v14, v14
	s_mov_b32 s2, 0x41c80000
	v_div_scale_f32 v27, s[0:1], v26, v26, s2
	v_rcp_f32_e32 v28, v27
	v_xor_b32_e32 v5, v5, v3
	s_mov_b32 s4, 0x40a00000
	v_mov_b32_e32 v35, 0xbf000004
	v_fma_f32 v29, -v27, v28, 1.0
	v_fmac_f32_e32 v28, v29, v28
	v_div_scale_f32 v29, vcc, s2, v26, s2
	v_mul_f32_e32 v30, v29, v28
	v_fma_f32 v31, -v27, v30, v29
	v_fmac_f32_e32 v30, v31, v28
	v_fma_f32 v27, -v27, v30, v29
	v_div_fmas_f32 v27, v27, v28, v30
	v_div_fixup_f32 v26, v27, v26, s2
	v_mov_b32_e32 v27, 0x3a50e985
	v_mov_b32_e32 v28, 0x3a725406
	v_fmac_f32_e32 v27, 0, v26
	v_fmac_f32_e32 v28, 0, v26
	v_fmaak_f32 v27, v26, v27, 0x3da9a586
	v_fmaak_f32 v28, v26, v28, 0x3daf5e2d
	;; [unrolled: 1-line block ×8, first 2 shown]
	v_mov_b32_e32 v29, 0xbc3a3a12
	v_fmaak_f32 v27, v26, v27, 0x40a9b425
	v_fmaak_f32 v28, v26, v28, 0x40a9cb2f
	v_fmac_f32_e32 v29, 0, v26
	v_mov_b32_e32 v30, 0x4280a2ba
	v_fma_f32 v28, v26, v28, 1.0
	v_fmaak_f32 v29, v26, v29, 0xbfa429da
	v_fmac_f32_e32 v30, 0, v26
	v_fma_f32 v27, v26, v27, 1.0
	v_fmaak_f32 v29, v26, v29, 0xc19c6e80
	v_fmaak_f32 v30, v26, v30, 0x44561b86
	v_div_scale_f32 v31, s[0:1], v28, v28, v27
	v_fmaak_f32 v29, v26, v29, 0xc2ba697b
	v_fmaak_f32 v30, v26, v30, 0x4572a66e
	v_rcp_f32_e32 v32, v31
	v_fmaak_f32 v29, v26, v29, 0xc331ae61
	v_fmaak_f32 v30, v26, v30, 0x45e243be
	;; [unrolled: 1-line block ×8, first 2 shown]
	v_fma_f32 v30, -v31, v32, 1.0
	v_fmac_f32_e32 v32, v30, v32
	v_div_scale_f32 v30, vcc, v27, v28, v27
	v_mul_f32_e32 v33, v30, v32
	v_fma_f32 v34, -v31, v33, v30
	v_fmac_f32_e32 v33, v34, v32
	v_fma_f32 v30, -v31, v33, v30
	v_div_fmas_f32 v30, v30, v32, v33
	v_div_fixup_f32 v27, v30, v28, v27
	v_mul_f32_e32 v28, v19, v19
	v_mov_b32_e32 v30, 0x3c0881c4
	v_fmamk_f32 v31, v28, 0xb94c1982, v30
	v_fmaak_f32 v31, v28, v31, 0xbe2aaa9d
	v_mul_f32_e32 v31, v28, v31
	v_fmac_f32_e32 v19, v19, v31
	v_mov_b32_e32 v31, 0xbab64f3b
	v_fmamk_f32 v33, v28, 0x37d75334, v31
	v_fmaak_f32 v33, v28, v33, 0x3d2aabf7
	v_fmaak_f32 v33, v28, v33, 0xbf000004
	v_fma_f32 v28, v28, v33, 1.0
	v_and_b32_e32 v33, 1, v18
	v_lshlrev_b32_e32 v18, 30, v18
	v_cmp_eq_u32_e32 vcc, 0, v33
	v_and_b32_e32 v18, 0x80000000, v18
	v_xor_b32_e32 v5, v5, v18
	v_cndmask_b32_e32 v19, v28, v19, vcc
	v_div_scale_f32 v18, s[0:1], v14, v14, s4
	v_xor_b32_e32 v5, v5, v19
	v_rcp_f32_e32 v19, v18
	s_movk_i32 s2, 0x1f8
	v_mov_b32_e32 v28, 0x7fc00000
	v_cmp_class_f32_e64 s[0:1], v3, s2
	v_mov_b32_e32 v32, 0xbe2aaa9d
	v_mov_b32_e32 v34, 0x3d2aabf7
	v_cndmask_b32_e64 v3, v28, v5, s[0:1]
	v_fma_f32 v5, -v18, v19, 1.0
	v_fmac_f32_e32 v19, v5, v19
	v_div_scale_f32 v5, vcc, s4, v14, s4
	v_mul_f32_e32 v33, v5, v19
	v_fma_f32 v36, -v18, v33, v5
	v_fmac_f32_e32 v33, v36, v19
	v_fma_f32 v5, -v18, v33, v5
	v_div_scale_f32 v18, s[2:3], v26, v26, v29
	v_rcp_f32_e32 v36, v18
	v_div_fmas_f32 v5, v5, v19, v33
	v_div_fixup_f32 v5, v5, v14, s4
	v_fma_f32 v19, -v18, v36, 1.0
	v_fmac_f32_e32 v36, v19, v36
	v_div_scale_f32 v19, vcc, v29, v26, v29
	v_mul_f32_e32 v33, v19, v36
	v_fma_f32 v37, -v18, v33, v19
	v_fmac_f32_e32 v33, v37, v36
	v_fma_f32 v18, -v18, v33, v19
	v_div_fmas_f32 v18, v18, v36, v33
	v_div_fixup_f32 v18, v18, v26, v29
	v_mul_f32_e32 v5, v5, v18
	v_mul_f32_e32 v18, v25, v25
	v_fmac_f32_e32 v30, 0xb94c1982, v18
	v_fmac_f32_e32 v32, v18, v30
	;; [unrolled: 1-line block ×3, first 2 shown]
	v_mul_f32_e32 v19, v18, v32
	v_fmac_f32_e32 v34, v18, v31
	v_fmac_f32_e32 v25, v25, v19
	;; [unrolled: 1-line block ×3, first 2 shown]
	v_and_b32_e32 v19, 1, v24
	v_fma_f32 v18, v18, v35, 1.0
	v_cmp_eq_u32_e32 vcc, 0, v19
	v_lshlrev_b32_e32 v19, 30, v24
	v_and_b32_e32 v19, 0x80000000, v19
	v_cndmask_b32_e64 v18, -v25, v18, vcc
	v_xor_b32_e32 v18, v19, v18
	v_cndmask_b32_e64 v18, v28, v18, s[0:1]
	s_mov_b32 s0, 0xf800000
	v_mul_f32_e32 v19, 0x4f800000, v14
	v_cmp_gt_f32_e32 vcc, s0, v14
	v_mul_f32_e32 v5, v5, v18
	v_fmac_f32_e32 v5, v27, v3
	v_cndmask_b32_e32 v14, v14, v19, vcc
	v_sqrt_f32_e32 v19, v14
	v_mul_f32_e32 v3, 0x3f4c422a, v5
	v_add_u32_e32 v5, -1, v19
	v_fma_f32 v18, -v5, v19, v14
	v_cmp_ge_f32_e64 s[0:1], 0, v18
	v_add_u32_e32 v18, 1, v19
	s_nop 0
	v_cndmask_b32_e64 v5, v19, v5, s[0:1]
	v_fma_f32 v19, -v18, v19, v14
	v_cmp_lt_f32_e64 s[0:1], 0, v19
	s_nop 1
	v_cndmask_b32_e64 v5, v5, v18, s[0:1]
	v_mul_f32_e32 v18, 0x37800000, v5
	v_cndmask_b32_e32 v5, v5, v18, vcc
	v_mov_b32_e32 v18, 0x260
	v_cmp_class_f32_e32 vcc, v14, v18
	s_nop 1
	v_cndmask_b32_e32 v5, v5, v14, vcc
	v_div_scale_f32 v14, s[0:1], v5, v5, v3
	v_rcp_f32_e32 v18, v14
	s_nop 0
	v_fma_f32 v19, -v14, v18, 1.0
	v_fmac_f32_e32 v18, v19, v18
	v_div_scale_f32 v19, vcc, v3, v5, v3
	v_mul_f32_e32 v24, v19, v18
	v_fma_f32 v25, -v14, v24, v19
	v_fmac_f32_e32 v24, v25, v18
	v_fma_f32 v14, -v14, v24, v19
	v_div_fmas_f32 v14, v14, v18, v24
	v_div_fixup_f32 v18, v14, v5, v3
.LBB18_220:
	s_or_b64 exec, exec, s[8:9]
	s_mov_b32 s0, 0x40a00000
	v_cmp_ge_f32_e32 vcc, s0, v15
	s_and_saveexec_b64 s[0:1], vcc
	s_xor_b64 s[2:3], exec, s[0:1]
	s_cbranch_execz .LBB18_230
; %bb.221:
	v_cmp_neq_f32_e32 vcc, 0, v15
	v_mov_b32_e32 v19, 0xff800000
	s_and_saveexec_b64 s[4:5], vcc
	s_cbranch_execz .LBB18_229
; %bb.222:
	v_cmp_ngt_f32_e32 vcc, 0, v15
	v_mov_b32_e32 v19, 0x7fc00000
	s_and_saveexec_b64 s[8:9], vcc
	s_cbranch_execz .LBB18_228
; %bb.223:
	v_mul_f32_e32 v14, v15, v15
	s_mov_b32 s0, 0x3727c5ac
	v_mul_f32_e32 v24, 0, v14
	v_cmp_ngt_f32_e32 vcc, s0, v15
                                        ; implicit-def: $vgpr3
	s_and_saveexec_b64 s[0:1], vcc
	s_xor_b64 s[0:1], exec, s[0:1]
	s_cbranch_execz .LBB18_225
; %bb.224:
	v_add_f32_e32 v3, 0x43f9c815, v24
	v_fmaak_f32 v3, v14, v3, 0x4829b65a
	v_fmaak_f32 v3, v14, v3, 0x4c38c9a1
	;; [unrolled: 1-line block ×3, first 2 shown]
	s_mov_b32 s10, 0xcf8ee29d
	v_mul_f32_e32 v25, v14, v3
	s_mov_b32 s11, 0x53f5f59c
	v_pk_add_f32 v[26:27], v[24:25], s[10:11]
	s_mov_b32 s10, 0x53e3ba8e
	s_mov_b32 s11, 0x578d3514
	v_pk_fma_f32 v[26:27], v[14:15], v[26:27], s[10:11] op_sel_hi:[0,1,1]
	s_mov_b32 s10, 0xd762b0a7
	s_mov_b32 s11, 0x5ae20a0c
	v_pk_fma_f32 v[26:27], v[14:15], v[26:27], s[10:11] op_sel_hi:[0,1,1]
	;; [unrolled: 3-line block ×3, first 2 shown]
	s_mov_b32 s10, 0xc0b90fdc
	s_mov_b32 s11, 0xc1f3c525
	v_pk_add_f32 v[28:29], v[14:15], s[10:11] op_sel_hi:[0,1]
	v_mul_f32_e32 v3, v28, v29
	v_mul_f32_e32 v3, v3, v26
	v_div_scale_f32 v5, s[10:11], v27, v27, v3
	v_rcp_f32_e32 v19, v5
	s_nop 0
	v_fma_f32 v25, -v5, v19, 1.0
	v_fmac_f32_e32 v19, v25, v19
	v_div_scale_f32 v25, vcc, v3, v27, v3
	v_mul_f32_e32 v26, v25, v19
	v_fma_f32 v28, -v5, v26, v25
	v_fmac_f32_e32 v26, v28, v19
	v_fma_f32 v5, -v5, v26, v25
	v_div_fmas_f32 v5, v5, v19, v26
	v_div_fixup_f32 v3, v5, v27, v3
.LBB18_225:
	s_andn2_saveexec_b64 s[0:1], s[0:1]
; %bb.226:
	v_mov_b32_e32 v3, 1.0
	v_fmamk_f32 v3, v14, 0xbe800000, v3
; %bb.227:
	s_or_b64 exec, exec, s[0:1]
	v_add_f32_e32 v5, 0x4673a1bf, v24
	v_fmaak_f32 v5, v14, v5, 0xcb5fc0fa
	v_add_f32_e32 v19, 0x44822913, v24
	v_fmaak_f32 v5, v14, v5, 0x4fa1fbc8
	v_fmaak_f32 v19, v14, v19, 0x4918dbb5
	;; [unrolled: 1-line block ×12, first 2 shown]
	v_div_scale_f32 v14, s[0:1], v19, v19, v5
	v_rcp_f32_e32 v24, v14
	s_mov_b32 s0, 0x800000
	v_cmp_gt_f32_e64 s[0:1], s0, v15
	s_mov_b32 s10, 0x3f317217
	v_fma_f32 v25, -v14, v24, 1.0
	v_fmac_f32_e32 v24, v25, v24
	v_div_scale_f32 v25, vcc, v5, v19, v5
	v_mul_f32_e32 v26, v25, v24
	v_fma_f32 v27, -v14, v26, v25
	v_fmac_f32_e32 v26, v27, v24
	v_fma_f32 v14, -v14, v26, v25
	v_mov_b32_e32 v25, 0x4f800000
	v_cndmask_b32_e64 v25, 1.0, v25, s[0:1]
	v_mul_f32_e32 v15, v15, v25
	v_log_f32_e32 v15, v15
	v_div_fmas_f32 v14, v14, v24, v26
	v_div_fixup_f32 v19, v14, v19, v5
	v_mul_f32_e32 v5, 0x3f317217, v15
	v_fma_f32 v14, v15, s10, -v5
	v_fmamk_f32 v14, v15, 0x3377d1cf, v14
	s_mov_b32 s10, 0x7f800000
	v_add_f32_e32 v5, v5, v14
	v_cmp_lt_f32_e64 vcc, |v15|, s10
	v_mov_b32_e32 v14, 0x41b17218
	v_cndmask_b32_e64 v14, 0, v14, s[0:1]
	v_cndmask_b32_e32 v5, v15, v5, vcc
	v_sub_f32_e32 v5, v5, v14
	v_mul_f32_e32 v5, 0x3f22f983, v5
	v_fmac_f32_e32 v19, v5, v3
.LBB18_228:
	s_or_b64 exec, exec, s[8:9]
.LBB18_229:
	s_or_b64 exec, exec, s[4:5]
                                        ; implicit-def: $vgpr14_vgpr15
.LBB18_230:
	s_andn2_saveexec_b64 s[8:9], s[2:3]
	s_cbranch_execz .LBB18_240
; %bb.231:
	v_add_f32_e32 v3, 0xbf490fdb, v15
	v_and_b32_e32 v5, 0x7fffffff, v3
	s_brev_b32 s0, 18
	v_cmp_nlt_f32_e64 s[10:11], |v3|, s0
	v_lshrrev_b32_e32 v26, 23, v5
                                        ; implicit-def: $vgpr14
                                        ; implicit-def: $vgpr19
	s_and_saveexec_b64 s[0:1], s[10:11]
	s_xor_b64 s[12:13], exec, s[0:1]
	s_cbranch_execz .LBB18_233
; %bb.232:
	v_add_u32_e32 v14, 0xffffff88, v26
	v_not_b32_e32 v19, 63
	v_cmp_lt_u32_e32 vcc, 63, v14
	s_mov_b32 s4, 0xfe5163ab
	v_mov_b32_e32 v25, 0
	v_cndmask_b32_e32 v19, 0, v19, vcc
	v_add_u32_e32 v14, v19, v14
	v_not_b32_e32 v19, 31
	v_cmp_lt_u32_e64 s[0:1], 31, v14
	s_nop 1
	v_cndmask_b32_e64 v24, 0, v19, s[0:1]
	v_add_u32_e32 v14, v24, v14
	v_cmp_lt_u32_e64 s[2:3], 31, v14
	s_nop 1
	v_cndmask_b32_e64 v19, 0, v19, s[2:3]
	v_add_u32_e32 v14, v19, v14
	v_and_b32_e32 v19, 0x7fffff, v5
	v_or_b32_e32 v19, 0x800000, v19
	v_mad_u64_u32 v[28:29], s[4:5], v19, s4, 0
	v_mov_b32_e32 v24, v29
	s_mov_b32 s4, 0x3c439041
	v_mad_u64_u32 v[30:31], s[4:5], v19, s4, v[24:25]
	v_mov_b32_e32 v24, v31
	s_mov_b32 s4, 0xdb629599
	;; [unrolled: 3-line block ×6, first 2 shown]
	v_mad_u64_u32 v[24:25], s[4:5], v19, s4, v[24:25]
	v_cndmask_b32_e32 v27, v38, v34, vcc
	v_cndmask_b32_e32 v19, v24, v36, vcc
	;; [unrolled: 1-line block ×3, first 2 shown]
	v_cndmask_b32_e64 v24, v19, v27, s[0:1]
	v_cndmask_b32_e64 v19, v25, v19, s[0:1]
	v_cndmask_b32_e32 v25, v36, v32, vcc
	v_cndmask_b32_e64 v27, v27, v25, s[0:1]
	v_cndmask_b32_e64 v19, v19, v24, s[2:3]
	;; [unrolled: 1-line block ×3, first 2 shown]
	v_sub_u32_e32 v29, 32, v14
	v_alignbit_b32 v31, v19, v24, v29
	v_cmp_eq_u32_e64 s[4:5], 0, v14
	v_cndmask_b32_e32 v28, v32, v28, vcc
	s_nop 0
	v_cndmask_b32_e64 v14, v31, v19, s[4:5]
	v_cndmask_b32_e32 v19, v34, v30, vcc
	v_cndmask_b32_e64 v25, v25, v19, s[0:1]
	v_cndmask_b32_e64 v27, v27, v25, s[2:3]
	v_alignbit_b32 v30, v24, v27, v29
	v_cndmask_b32_e64 v24, v30, v24, s[4:5]
	v_bfe_u32 v33, v14, 29, 1
	v_cndmask_b32_e64 v19, v19, v28, s[0:1]
	v_alignbit_b32 v30, v14, v24, 30
	v_sub_u32_e32 v34, 0, v33
	v_cndmask_b32_e64 v19, v25, v19, s[2:3]
	v_xor_b32_e32 v35, v30, v34
	v_alignbit_b32 v25, v27, v19, v29
	v_cndmask_b32_e64 v25, v25, v27, s[4:5]
	v_ffbh_u32_e32 v27, v35
	v_add_u32_e32 v27, 1, v27
	v_cmp_ne_u32_e32 vcc, v30, v34
	v_alignbit_b32 v24, v24, v25, 30
	v_alignbit_b32 v19, v25, v19, 30
	v_cndmask_b32_e32 v27, 33, v27, vcc
	v_xor_b32_e32 v24, v24, v34
	v_sub_u32_e32 v28, 32, v27
	v_xor_b32_e32 v19, v19, v34
	v_alignbit_b32 v29, v35, v24, v28
	v_alignbit_b32 v19, v24, v19, v28
	;; [unrolled: 1-line block ×3, first 2 shown]
	v_ffbh_u32_e32 v25, v24
	v_min_u32_e32 v25, 32, v25
	v_lshrrev_b32_e32 v31, 29, v14
	v_sub_u32_e32 v28, 31, v25
	v_alignbit_b32 v19, v24, v19, v28
	v_lshlrev_b32_e32 v24, 31, v31
	v_or_b32_e32 v28, 0x33800000, v24
	v_add_lshl_u32 v25, v25, v27, 23
	v_lshrrev_b32_e32 v19, 9, v19
	v_sub_u32_e32 v25, v28, v25
	v_or_b32_e32 v19, v25, v19
	v_alignbit_b32 v25, v27, v29, 9
	v_or_b32_e32 v24, v25, v24
	v_xor_b32_e32 v24, 1.0, v24
	s_mov_b32 s0, 0x3fc90fda
	v_mul_f32_e32 v25, 0x3fc90fda, v24
	v_fma_f32 v27, v24, s0, -v25
	v_fmamk_f32 v24, v24, 0x33a22168, v27
	v_fmac_f32_e32 v24, 0x3fc90fda, v19
	v_lshrrev_b32_e32 v14, 30, v14
	v_add_f32_e32 v19, v25, v24
	v_add_u32_e32 v14, v33, v14
	s_andn2_saveexec_b64 s[0:1], s[12:13]
	s_branch .LBB18_234
.LBB18_233:
	s_andn2_saveexec_b64 s[0:1], s[12:13]
.LBB18_234:
	s_mov_b32 s2, 0x3f22f983
	v_mul_f32_e64 v14, |v3|, s2
	v_rndne_f32_e32 v19, v14
	s_mov_b32 s2, 0xbfc90fda
	v_cvt_i32_f32_e32 v14, v19
	v_fma_f32 v24, v19, s2, |v3|
	v_fmamk_f32 v24, v19, 0xb3a22168, v24
	v_fmamk_f32 v19, v19, 0xa7c234c4, v24
; %bb.235:
	s_or_b64 exec, exec, s[0:1]
                                        ; implicit-def: $vgpr24
                                        ; implicit-def: $vgpr25
	s_and_saveexec_b64 s[0:1], s[10:11]
	s_xor_b64 s[10:11], exec, s[0:1]
	s_cbranch_execz .LBB18_237
; %bb.236:
	v_add_u32_e32 v24, 0xffffff88, v26
	v_not_b32_e32 v26, 63
	v_cmp_lt_u32_e32 vcc, 63, v24
	s_mov_b32 s4, 0xfe5163ab
	v_mov_b32_e32 v25, 0
	v_cndmask_b32_e32 v26, 0, v26, vcc
	v_add_u32_e32 v24, v26, v24
	v_not_b32_e32 v26, 31
	v_cmp_lt_u32_e64 s[0:1], 31, v24
	s_nop 1
	v_cndmask_b32_e64 v27, 0, v26, s[0:1]
	v_add_u32_e32 v24, v27, v24
	v_cmp_lt_u32_e64 s[2:3], 31, v24
	s_nop 1
	v_cndmask_b32_e64 v26, 0, v26, s[2:3]
	v_add_u32_e32 v38, v26, v24
	v_and_b32_e32 v24, 0x7fffff, v5
	v_or_b32_e32 v39, 0x800000, v24
	v_mad_u64_u32 v[26:27], s[4:5], v39, s4, 0
	v_mov_b32_e32 v24, v27
	s_mov_b32 s4, 0x3c439041
	v_mad_u64_u32 v[28:29], s[4:5], v39, s4, v[24:25]
	v_mov_b32_e32 v24, v29
	s_mov_b32 s4, 0xdb629599
	;; [unrolled: 3-line block ×6, first 2 shown]
	v_mad_u64_u32 v[24:25], s[4:5], v39, s4, v[24:25]
	v_cndmask_b32_e32 v27, v36, v32, vcc
	v_cndmask_b32_e32 v24, v24, v34, vcc
	;; [unrolled: 1-line block ×3, first 2 shown]
	v_cndmask_b32_e64 v29, v24, v27, s[0:1]
	v_cndmask_b32_e64 v24, v25, v24, s[0:1]
	v_cndmask_b32_e32 v25, v34, v30, vcc
	v_cndmask_b32_e64 v27, v27, v25, s[0:1]
	v_cndmask_b32_e32 v28, v32, v28, vcc
	v_cndmask_b32_e64 v24, v24, v29, s[2:3]
	v_cndmask_b32_e64 v29, v29, v27, s[2:3]
	v_sub_u32_e32 v31, 32, v38
	v_cndmask_b32_e64 v25, v25, v28, s[0:1]
	v_alignbit_b32 v33, v24, v29, v31
	v_cmp_eq_u32_e64 s[4:5], 0, v38
	v_cndmask_b32_e64 v27, v27, v25, s[2:3]
	v_alignbit_b32 v32, v29, v27, v31
	v_cndmask_b32_e64 v24, v33, v24, s[4:5]
	v_cndmask_b32_e64 v29, v32, v29, s[4:5]
	v_bfe_u32 v34, v24, 29, 1
	v_cndmask_b32_e32 v26, v30, v26, vcc
	v_alignbit_b32 v32, v24, v29, 30
	v_sub_u32_e32 v35, 0, v34
	v_cndmask_b32_e64 v26, v28, v26, s[0:1]
	v_xor_b32_e32 v36, v32, v35
	v_cndmask_b32_e64 v25, v25, v26, s[2:3]
	v_alignbit_b32 v26, v27, v25, v31
	v_ffbh_u32_e32 v28, v36
	v_cndmask_b32_e64 v26, v26, v27, s[4:5]
	v_add_u32_e32 v28, 1, v28
	v_cmp_ne_u32_e32 vcc, v32, v35
	v_alignbit_b32 v27, v29, v26, 30
	v_alignbit_b32 v25, v26, v25, 30
	v_cndmask_b32_e32 v28, 33, v28, vcc
	v_xor_b32_e32 v27, v27, v35
	v_sub_u32_e32 v29, 32, v28
	v_xor_b32_e32 v25, v25, v35
	v_alignbit_b32 v30, v36, v27, v29
	v_alignbit_b32 v25, v27, v25, v29
	;; [unrolled: 1-line block ×3, first 2 shown]
	v_ffbh_u32_e32 v27, v26
	v_min_u32_e32 v27, 32, v27
	v_lshrrev_b32_e32 v33, 29, v24
	v_sub_u32_e32 v29, 31, v27
	v_alignbit_b32 v25, v26, v25, v29
	v_lshlrev_b32_e32 v26, 31, v33
	v_or_b32_e32 v29, 0x33800000, v26
	v_add_lshl_u32 v27, v27, v28, 23
	v_lshrrev_b32_e32 v25, 9, v25
	v_sub_u32_e32 v27, v29, v27
	v_or_b32_e32 v25, v27, v25
	v_alignbit_b32 v27, v28, v30, 9
	v_or_b32_e32 v26, v27, v26
	v_xor_b32_e32 v26, 1.0, v26
	s_mov_b32 s0, 0x3fc90fda
	v_mul_f32_e32 v27, 0x3fc90fda, v26
	v_fma_f32 v28, v26, s0, -v27
	v_fmamk_f32 v26, v26, 0x33a22168, v28
	v_fmac_f32_e32 v26, 0x3fc90fda, v25
	v_lshrrev_b32_e32 v24, 30, v24
	v_add_f32_e32 v25, v27, v26
	v_add_u32_e32 v24, v34, v24
	s_andn2_saveexec_b64 s[0:1], s[10:11]
	s_cbranch_execnz .LBB18_238
	s_branch .LBB18_239
.LBB18_237:
	s_andn2_saveexec_b64 s[0:1], s[10:11]
.LBB18_238:
	s_mov_b32 s2, 0x3f22f983
	v_mul_f32_e64 v24, |v3|, s2
	v_rndne_f32_e32 v25, v24
	s_mov_b32 s2, 0xbfc90fda
	v_cvt_i32_f32_e32 v24, v25
	v_fma_f32 v26, v25, s2, |v3|
	v_fmamk_f32 v26, v25, 0xb3a22168, v26
	v_fmamk_f32 v25, v25, 0xa7c234c4, v26
.LBB18_239:
	s_or_b64 exec, exec, s[0:1]
	v_mul_f32_e32 v26, v15, v15
	s_mov_b32 s2, 0x41c80000
	v_div_scale_f32 v27, s[0:1], v26, v26, s2
	v_rcp_f32_e32 v28, v27
	v_xor_b32_e32 v5, v5, v3
	s_mov_b32 s4, 0x40a00000
	v_mov_b32_e32 v35, 0xbf000004
	v_fma_f32 v29, -v27, v28, 1.0
	v_fmac_f32_e32 v28, v29, v28
	v_div_scale_f32 v29, vcc, s2, v26, s2
	v_mul_f32_e32 v30, v29, v28
	v_fma_f32 v31, -v27, v30, v29
	v_fmac_f32_e32 v30, v31, v28
	v_fma_f32 v27, -v27, v30, v29
	v_div_fmas_f32 v27, v27, v28, v30
	v_div_fixup_f32 v26, v27, v26, s2
	v_mov_b32_e32 v27, 0x3a50e985
	v_mov_b32_e32 v28, 0x3a725406
	v_fmac_f32_e32 v27, 0, v26
	v_fmac_f32_e32 v28, 0, v26
	v_fmaak_f32 v27, v26, v27, 0x3da9a586
	v_fmaak_f32 v28, v26, v28, 0x3daf5e2d
	;; [unrolled: 1-line block ×8, first 2 shown]
	v_mov_b32_e32 v29, 0xbc3a3a12
	v_fmaak_f32 v27, v26, v27, 0x40a9b425
	v_fmaak_f32 v28, v26, v28, 0x40a9cb2f
	v_fmac_f32_e32 v29, 0, v26
	v_mov_b32_e32 v30, 0x4280a2ba
	v_fma_f32 v28, v26, v28, 1.0
	v_fmaak_f32 v29, v26, v29, 0xbfa429da
	v_fmac_f32_e32 v30, 0, v26
	v_fma_f32 v27, v26, v27, 1.0
	v_fmaak_f32 v29, v26, v29, 0xc19c6e80
	v_fmaak_f32 v30, v26, v30, 0x44561b86
	v_div_scale_f32 v31, s[0:1], v28, v28, v27
	v_fmaak_f32 v29, v26, v29, 0xc2ba697b
	v_fmaak_f32 v30, v26, v30, 0x4572a66e
	v_rcp_f32_e32 v32, v31
	v_fmaak_f32 v29, v26, v29, 0xc331ae61
	v_fmaak_f32 v30, v26, v30, 0x45e243be
	;; [unrolled: 1-line block ×8, first 2 shown]
	v_fma_f32 v30, -v31, v32, 1.0
	v_fmac_f32_e32 v32, v30, v32
	v_div_scale_f32 v30, vcc, v27, v28, v27
	v_mul_f32_e32 v33, v30, v32
	v_fma_f32 v34, -v31, v33, v30
	v_fmac_f32_e32 v33, v34, v32
	v_fma_f32 v30, -v31, v33, v30
	v_div_fmas_f32 v30, v30, v32, v33
	v_div_fixup_f32 v27, v30, v28, v27
	v_mul_f32_e32 v28, v19, v19
	v_mov_b32_e32 v30, 0x3c0881c4
	v_fmamk_f32 v31, v28, 0xb94c1982, v30
	v_fmaak_f32 v31, v28, v31, 0xbe2aaa9d
	v_mul_f32_e32 v31, v28, v31
	v_fmac_f32_e32 v19, v19, v31
	v_mov_b32_e32 v31, 0xbab64f3b
	v_fmamk_f32 v33, v28, 0x37d75334, v31
	v_fmaak_f32 v33, v28, v33, 0x3d2aabf7
	v_fmaak_f32 v33, v28, v33, 0xbf000004
	v_fma_f32 v28, v28, v33, 1.0
	v_and_b32_e32 v33, 1, v14
	v_lshlrev_b32_e32 v14, 30, v14
	v_cmp_eq_u32_e32 vcc, 0, v33
	v_and_b32_e32 v14, 0x80000000, v14
	v_xor_b32_e32 v5, v5, v14
	v_cndmask_b32_e32 v19, v28, v19, vcc
	v_div_scale_f32 v14, s[0:1], v15, v15, s4
	v_xor_b32_e32 v5, v5, v19
	v_rcp_f32_e32 v19, v14
	s_movk_i32 s2, 0x1f8
	v_mov_b32_e32 v28, 0x7fc00000
	v_cmp_class_f32_e64 s[0:1], v3, s2
	v_mov_b32_e32 v32, 0xbe2aaa9d
	v_mov_b32_e32 v34, 0x3d2aabf7
	v_cndmask_b32_e64 v3, v28, v5, s[0:1]
	v_fma_f32 v5, -v14, v19, 1.0
	v_fmac_f32_e32 v19, v5, v19
	v_div_scale_f32 v5, vcc, s4, v15, s4
	v_mul_f32_e32 v33, v5, v19
	v_fma_f32 v36, -v14, v33, v5
	v_fmac_f32_e32 v33, v36, v19
	v_fma_f32 v5, -v14, v33, v5
	v_div_scale_f32 v14, s[2:3], v26, v26, v29
	v_rcp_f32_e32 v36, v14
	v_div_fmas_f32 v5, v5, v19, v33
	v_div_fixup_f32 v5, v5, v15, s4
	v_fma_f32 v19, -v14, v36, 1.0
	v_fmac_f32_e32 v36, v19, v36
	v_div_scale_f32 v19, vcc, v29, v26, v29
	v_mul_f32_e32 v33, v19, v36
	v_fma_f32 v37, -v14, v33, v19
	v_fmac_f32_e32 v33, v37, v36
	v_fma_f32 v14, -v14, v33, v19
	v_div_fmas_f32 v14, v14, v36, v33
	v_div_fixup_f32 v14, v14, v26, v29
	v_mul_f32_e32 v5, v5, v14
	v_mul_f32_e32 v14, v25, v25
	v_fmac_f32_e32 v30, 0xb94c1982, v14
	v_fmac_f32_e32 v32, v14, v30
	;; [unrolled: 1-line block ×3, first 2 shown]
	v_mul_f32_e32 v19, v14, v32
	v_fmac_f32_e32 v34, v14, v31
	v_fmac_f32_e32 v25, v25, v19
	;; [unrolled: 1-line block ×3, first 2 shown]
	v_and_b32_e32 v19, 1, v24
	v_fma_f32 v14, v14, v35, 1.0
	v_cmp_eq_u32_e32 vcc, 0, v19
	v_lshlrev_b32_e32 v19, 30, v24
	v_and_b32_e32 v19, 0x80000000, v19
	v_cndmask_b32_e64 v14, -v25, v14, vcc
	v_xor_b32_e32 v14, v19, v14
	v_cndmask_b32_e64 v14, v28, v14, s[0:1]
	s_mov_b32 s0, 0xf800000
	v_mul_f32_e32 v19, 0x4f800000, v15
	v_cmp_gt_f32_e32 vcc, s0, v15
	v_mul_f32_e32 v5, v5, v14
	v_fmac_f32_e32 v5, v27, v3
	v_cndmask_b32_e32 v15, v15, v19, vcc
	v_sqrt_f32_e32 v19, v15
	v_mul_f32_e32 v3, 0x3f4c422a, v5
	v_add_u32_e32 v5, -1, v19
	v_fma_f32 v14, -v5, v19, v15
	v_cmp_ge_f32_e64 s[0:1], 0, v14
	v_add_u32_e32 v14, 1, v19
	s_nop 0
	v_cndmask_b32_e64 v5, v19, v5, s[0:1]
	v_fma_f32 v19, -v14, v19, v15
	v_cmp_lt_f32_e64 s[0:1], 0, v19
	s_nop 1
	v_cndmask_b32_e64 v5, v5, v14, s[0:1]
	v_mul_f32_e32 v14, 0x37800000, v5
	v_cndmask_b32_e32 v5, v5, v14, vcc
	v_mov_b32_e32 v14, 0x260
	v_cmp_class_f32_e32 vcc, v15, v14
	s_nop 1
	v_cndmask_b32_e32 v5, v5, v15, vcc
	v_div_scale_f32 v14, s[0:1], v5, v5, v3
	v_rcp_f32_e32 v15, v14
	s_nop 0
	v_fma_f32 v19, -v14, v15, 1.0
	v_fmac_f32_e32 v15, v19, v15
	v_div_scale_f32 v19, vcc, v3, v5, v3
	v_mul_f32_e32 v24, v19, v15
	v_fma_f32 v25, -v14, v24, v19
	v_fmac_f32_e32 v24, v25, v15
	v_fma_f32 v14, -v14, v24, v19
	v_div_fmas_f32 v14, v14, v15, v24
	v_div_fixup_f32 v19, v14, v5, v3
.LBB18_240:
	s_or_b64 exec, exec, s[8:9]
	s_mov_b32 s0, 0x40a00000
	v_cmp_ge_f32_e32 vcc, s0, v10
                                        ; implicit-def: $vgpr14
	s_and_saveexec_b64 s[0:1], vcc
	s_xor_b64 s[2:3], exec, s[0:1]
	s_cbranch_execz .LBB18_250
; %bb.241:
	v_cmp_neq_f32_e32 vcc, 0, v10
	v_mov_b32_e32 v14, 0xff800000
	s_and_saveexec_b64 s[4:5], vcc
	s_cbranch_execz .LBB18_249
; %bb.242:
	v_cmp_ngt_f32_e32 vcc, 0, v10
	v_mov_b32_e32 v14, 0x7fc00000
	s_and_saveexec_b64 s[8:9], vcc
	s_cbranch_execz .LBB18_248
; %bb.243:
	v_mul_f32_e32 v14, v10, v10
	s_mov_b32 s0, 0x3727c5ac
	v_mul_f32_e32 v24, 0, v14
	v_cmp_ngt_f32_e32 vcc, s0, v10
                                        ; implicit-def: $vgpr3
	s_and_saveexec_b64 s[0:1], vcc
	s_xor_b64 s[0:1], exec, s[0:1]
	s_cbranch_execz .LBB18_245
; %bb.244:
	v_add_f32_e32 v3, 0x43f9c815, v24
	v_fmaak_f32 v3, v14, v3, 0x4829b65a
	v_fmaak_f32 v3, v14, v3, 0x4c38c9a1
	;; [unrolled: 1-line block ×3, first 2 shown]
	s_mov_b32 s10, 0xcf8ee29d
	v_mul_f32_e32 v25, v14, v3
	s_mov_b32 s11, 0x53f5f59c
	v_pk_add_f32 v[26:27], v[24:25], s[10:11]
	s_mov_b32 s10, 0x53e3ba8e
	s_mov_b32 s11, 0x578d3514
	v_pk_fma_f32 v[26:27], v[14:15], v[26:27], s[10:11] op_sel_hi:[0,1,1]
	s_mov_b32 s10, 0xd762b0a7
	s_mov_b32 s11, 0x5ae20a0c
	v_pk_fma_f32 v[26:27], v[14:15], v[26:27], s[10:11] op_sel_hi:[0,1,1]
	;; [unrolled: 3-line block ×3, first 2 shown]
	s_mov_b32 s10, 0xc0b90fdc
	s_mov_b32 s11, 0xc1f3c525
	v_pk_add_f32 v[28:29], v[14:15], s[10:11] op_sel_hi:[0,1]
	v_mul_f32_e32 v3, v28, v29
	v_mul_f32_e32 v3, v3, v26
	v_div_scale_f32 v5, s[10:11], v27, v27, v3
	v_rcp_f32_e32 v15, v5
	s_nop 0
	v_fma_f32 v25, -v5, v15, 1.0
	v_fmac_f32_e32 v15, v25, v15
	v_div_scale_f32 v25, vcc, v3, v27, v3
	v_mul_f32_e32 v26, v25, v15
	v_fma_f32 v28, -v5, v26, v25
	v_fmac_f32_e32 v26, v28, v15
	v_fma_f32 v5, -v5, v26, v25
	v_div_fmas_f32 v5, v5, v15, v26
	v_div_fixup_f32 v3, v5, v27, v3
.LBB18_245:
	s_andn2_saveexec_b64 s[0:1], s[0:1]
; %bb.246:
	v_mov_b32_e32 v3, 1.0
	v_fmamk_f32 v3, v14, 0xbe800000, v3
; %bb.247:
	s_or_b64 exec, exec, s[0:1]
	v_add_f32_e32 v5, 0x4673a1bf, v24
	v_fmaak_f32 v5, v14, v5, 0xcb5fc0fa
	v_add_f32_e32 v15, 0x44822913, v24
	v_fmaak_f32 v5, v14, v5, 0x4fa1fbc8
	v_fmaak_f32 v15, v14, v15, 0x4918dbb5
	;; [unrolled: 1-line block ×12, first 2 shown]
	v_div_scale_f32 v14, s[0:1], v15, v15, v5
	v_rcp_f32_e32 v24, v14
	s_mov_b32 s0, 0x800000
	v_cmp_gt_f32_e64 s[0:1], s0, v10
	s_mov_b32 s10, 0x3f317217
	v_fma_f32 v25, -v14, v24, 1.0
	v_fmac_f32_e32 v24, v25, v24
	v_div_scale_f32 v25, vcc, v5, v15, v5
	v_mul_f32_e32 v26, v25, v24
	v_fma_f32 v27, -v14, v26, v25
	v_fmac_f32_e32 v26, v27, v24
	v_fma_f32 v14, -v14, v26, v25
	v_mov_b32_e32 v25, 0x4f800000
	v_cndmask_b32_e64 v25, 1.0, v25, s[0:1]
	v_mul_f32_e32 v25, v10, v25
	v_log_f32_e32 v25, v25
	v_div_fmas_f32 v14, v14, v24, v26
	v_div_fixup_f32 v14, v14, v15, v5
	v_mul_f32_e32 v5, 0x3f317217, v25
	v_fma_f32 v15, v25, s10, -v5
	v_fmamk_f32 v15, v25, 0x3377d1cf, v15
	s_mov_b32 s10, 0x7f800000
	v_add_f32_e32 v5, v5, v15
	v_cmp_lt_f32_e64 vcc, |v25|, s10
	v_mov_b32_e32 v15, 0x41b17218
	v_cndmask_b32_e64 v15, 0, v15, s[0:1]
	v_cndmask_b32_e32 v5, v25, v5, vcc
	v_sub_f32_e32 v5, v5, v15
	v_mul_f32_e32 v5, 0x3f22f983, v5
	v_fmac_f32_e32 v14, v5, v3
.LBB18_248:
	s_or_b64 exec, exec, s[8:9]
.LBB18_249:
	s_or_b64 exec, exec, s[4:5]
.LBB18_250:
	s_andn2_saveexec_b64 s[8:9], s[2:3]
	s_cbranch_execz .LBB18_260
; %bb.251:
	v_add_f32_e32 v3, 0xbf490fdb, v10
	v_and_b32_e32 v5, 0x7fffffff, v3
	s_brev_b32 s0, 18
	v_cmp_nlt_f32_e64 s[10:11], |v3|, s0
	v_lshrrev_b32_e32 v26, 23, v5
                                        ; implicit-def: $vgpr14
                                        ; implicit-def: $vgpr15
	s_and_saveexec_b64 s[0:1], s[10:11]
	s_xor_b64 s[12:13], exec, s[0:1]
	s_cbranch_execz .LBB18_253
; %bb.252:
	v_add_u32_e32 v14, 0xffffff88, v26
	v_not_b32_e32 v24, 63
	v_cmp_lt_u32_e32 vcc, 63, v14
	s_mov_b32 s4, 0xfe5163ab
	v_mov_b32_e32 v15, 0
	v_cndmask_b32_e32 v24, 0, v24, vcc
	v_add_u32_e32 v14, v24, v14
	v_not_b32_e32 v24, 31
	v_cmp_lt_u32_e64 s[0:1], 31, v14
	s_nop 1
	v_cndmask_b32_e64 v25, 0, v24, s[0:1]
	v_add_u32_e32 v14, v25, v14
	v_cmp_lt_u32_e64 s[2:3], 31, v14
	s_nop 1
	v_cndmask_b32_e64 v24, 0, v24, s[2:3]
	v_add_u32_e32 v27, v24, v14
	v_and_b32_e32 v14, 0x7fffff, v5
	v_or_b32_e32 v38, 0x800000, v14
	v_mad_u64_u32 v[24:25], s[4:5], v38, s4, 0
	v_mov_b32_e32 v14, v25
	s_mov_b32 s4, 0x3c439041
	v_mad_u64_u32 v[28:29], s[4:5], v38, s4, v[14:15]
	v_mov_b32_e32 v14, v29
	s_mov_b32 s4, 0xdb629599
	;; [unrolled: 3-line block ×6, first 2 shown]
	v_mad_u64_u32 v[14:15], s[4:5], v38, s4, v[14:15]
	v_cndmask_b32_e32 v25, v36, v32, vcc
	v_cndmask_b32_e32 v14, v14, v34, vcc
	;; [unrolled: 1-line block ×3, first 2 shown]
	v_cndmask_b32_e64 v29, v14, v25, s[0:1]
	v_cndmask_b32_e64 v14, v15, v14, s[0:1]
	v_cndmask_b32_e32 v15, v34, v30, vcc
	v_cndmask_b32_e64 v25, v25, v15, s[0:1]
	v_sub_u32_e32 v31, 32, v27
	v_cmp_eq_u32_e64 s[4:5], 0, v27
	v_cndmask_b32_e32 v27, v32, v28, vcc
	v_cndmask_b32_e64 v14, v14, v29, s[2:3]
	v_cndmask_b32_e64 v29, v29, v25, s[2:3]
	;; [unrolled: 1-line block ×3, first 2 shown]
	v_alignbit_b32 v33, v14, v29, v31
	v_cndmask_b32_e64 v25, v25, v15, s[2:3]
	v_cndmask_b32_e64 v14, v33, v14, s[4:5]
	v_alignbit_b32 v28, v29, v25, v31
	v_cndmask_b32_e64 v28, v28, v29, s[4:5]
	v_bfe_u32 v33, v14, 29, 1
	v_cndmask_b32_e32 v24, v30, v24, vcc
	v_alignbit_b32 v29, v14, v28, 30
	v_sub_u32_e32 v34, 0, v33
	v_cndmask_b32_e64 v24, v27, v24, s[0:1]
	v_xor_b32_e32 v35, v29, v34
	v_cndmask_b32_e64 v15, v15, v24, s[2:3]
	v_alignbit_b32 v24, v25, v15, v31
	v_ffbh_u32_e32 v27, v35
	v_cndmask_b32_e64 v24, v24, v25, s[4:5]
	v_add_u32_e32 v27, 1, v27
	v_cmp_ne_u32_e32 vcc, v29, v34
	v_alignbit_b32 v25, v28, v24, 30
	v_alignbit_b32 v15, v24, v15, 30
	v_cndmask_b32_e32 v27, 33, v27, vcc
	v_xor_b32_e32 v25, v25, v34
	v_sub_u32_e32 v28, 32, v27
	v_xor_b32_e32 v15, v15, v34
	v_alignbit_b32 v29, v35, v25, v28
	v_alignbit_b32 v15, v25, v15, v28
	;; [unrolled: 1-line block ×3, first 2 shown]
	v_ffbh_u32_e32 v25, v24
	v_min_u32_e32 v25, 32, v25
	v_lshrrev_b32_e32 v32, 29, v14
	v_sub_u32_e32 v28, 31, v25
	v_alignbit_b32 v15, v24, v15, v28
	v_lshlrev_b32_e32 v24, 31, v32
	v_or_b32_e32 v28, 0x33800000, v24
	v_add_lshl_u32 v25, v25, v27, 23
	v_lshrrev_b32_e32 v15, 9, v15
	v_sub_u32_e32 v25, v28, v25
	v_or_b32_e32 v15, v25, v15
	v_alignbit_b32 v25, v27, v29, 9
	v_or_b32_e32 v24, v25, v24
	v_xor_b32_e32 v24, 1.0, v24
	s_mov_b32 s0, 0x3fc90fda
	v_mul_f32_e32 v25, 0x3fc90fda, v24
	v_fma_f32 v27, v24, s0, -v25
	v_fmamk_f32 v24, v24, 0x33a22168, v27
	v_fmac_f32_e32 v24, 0x3fc90fda, v15
	v_lshrrev_b32_e32 v14, 30, v14
	v_add_f32_e32 v15, v25, v24
	v_add_u32_e32 v14, v33, v14
	s_andn2_saveexec_b64 s[0:1], s[12:13]
	s_branch .LBB18_254
.LBB18_253:
	s_andn2_saveexec_b64 s[0:1], s[12:13]
.LBB18_254:
	s_mov_b32 s2, 0x3f22f983
	v_mul_f32_e64 v14, |v3|, s2
	v_rndne_f32_e32 v15, v14
	s_mov_b32 s2, 0xbfc90fda
	v_cvt_i32_f32_e32 v14, v15
	v_fma_f32 v24, v15, s2, |v3|
	v_fmamk_f32 v24, v15, 0xb3a22168, v24
	v_fmamk_f32 v15, v15, 0xa7c234c4, v24
; %bb.255:
	s_or_b64 exec, exec, s[0:1]
                                        ; implicit-def: $vgpr24
                                        ; implicit-def: $vgpr25
	s_and_saveexec_b64 s[0:1], s[10:11]
	s_xor_b64 s[10:11], exec, s[0:1]
	s_cbranch_execz .LBB18_257
; %bb.256:
	v_add_u32_e32 v24, 0xffffff88, v26
	v_not_b32_e32 v26, 63
	v_cmp_lt_u32_e32 vcc, 63, v24
	s_mov_b32 s4, 0xfe5163ab
	v_mov_b32_e32 v25, 0
	v_cndmask_b32_e32 v26, 0, v26, vcc
	v_add_u32_e32 v24, v26, v24
	v_not_b32_e32 v26, 31
	v_cmp_lt_u32_e64 s[0:1], 31, v24
	s_nop 1
	v_cndmask_b32_e64 v27, 0, v26, s[0:1]
	v_add_u32_e32 v24, v27, v24
	v_cmp_lt_u32_e64 s[2:3], 31, v24
	s_nop 1
	v_cndmask_b32_e64 v26, 0, v26, s[2:3]
	v_add_u32_e32 v38, v26, v24
	v_and_b32_e32 v24, 0x7fffff, v5
	v_or_b32_e32 v39, 0x800000, v24
	v_mad_u64_u32 v[26:27], s[4:5], v39, s4, 0
	v_mov_b32_e32 v24, v27
	s_mov_b32 s4, 0x3c439041
	v_mad_u64_u32 v[28:29], s[4:5], v39, s4, v[24:25]
	v_mov_b32_e32 v24, v29
	s_mov_b32 s4, 0xdb629599
	;; [unrolled: 3-line block ×6, first 2 shown]
	v_mad_u64_u32 v[24:25], s[4:5], v39, s4, v[24:25]
	v_cndmask_b32_e32 v27, v36, v32, vcc
	v_cndmask_b32_e32 v24, v24, v34, vcc
	;; [unrolled: 1-line block ×3, first 2 shown]
	v_cndmask_b32_e64 v29, v24, v27, s[0:1]
	v_cndmask_b32_e64 v24, v25, v24, s[0:1]
	v_cndmask_b32_e32 v25, v34, v30, vcc
	v_cndmask_b32_e64 v27, v27, v25, s[0:1]
	v_cndmask_b32_e32 v28, v32, v28, vcc
	v_cndmask_b32_e64 v24, v24, v29, s[2:3]
	v_cndmask_b32_e64 v29, v29, v27, s[2:3]
	v_sub_u32_e32 v31, 32, v38
	v_cndmask_b32_e64 v25, v25, v28, s[0:1]
	v_alignbit_b32 v33, v24, v29, v31
	v_cmp_eq_u32_e64 s[4:5], 0, v38
	v_cndmask_b32_e64 v27, v27, v25, s[2:3]
	v_alignbit_b32 v32, v29, v27, v31
	v_cndmask_b32_e64 v24, v33, v24, s[4:5]
	v_cndmask_b32_e64 v29, v32, v29, s[4:5]
	v_bfe_u32 v34, v24, 29, 1
	v_cndmask_b32_e32 v26, v30, v26, vcc
	v_alignbit_b32 v32, v24, v29, 30
	v_sub_u32_e32 v35, 0, v34
	v_cndmask_b32_e64 v26, v28, v26, s[0:1]
	v_xor_b32_e32 v36, v32, v35
	v_cndmask_b32_e64 v25, v25, v26, s[2:3]
	v_alignbit_b32 v26, v27, v25, v31
	v_ffbh_u32_e32 v28, v36
	v_cndmask_b32_e64 v26, v26, v27, s[4:5]
	v_add_u32_e32 v28, 1, v28
	v_cmp_ne_u32_e32 vcc, v32, v35
	v_alignbit_b32 v27, v29, v26, 30
	v_alignbit_b32 v25, v26, v25, 30
	v_cndmask_b32_e32 v28, 33, v28, vcc
	v_xor_b32_e32 v27, v27, v35
	v_sub_u32_e32 v29, 32, v28
	v_xor_b32_e32 v25, v25, v35
	v_alignbit_b32 v30, v36, v27, v29
	v_alignbit_b32 v25, v27, v25, v29
	;; [unrolled: 1-line block ×3, first 2 shown]
	v_ffbh_u32_e32 v27, v26
	v_min_u32_e32 v27, 32, v27
	v_lshrrev_b32_e32 v33, 29, v24
	v_sub_u32_e32 v29, 31, v27
	v_alignbit_b32 v25, v26, v25, v29
	v_lshlrev_b32_e32 v26, 31, v33
	v_or_b32_e32 v29, 0x33800000, v26
	v_add_lshl_u32 v27, v27, v28, 23
	v_lshrrev_b32_e32 v25, 9, v25
	v_sub_u32_e32 v27, v29, v27
	v_or_b32_e32 v25, v27, v25
	v_alignbit_b32 v27, v28, v30, 9
	v_or_b32_e32 v26, v27, v26
	v_xor_b32_e32 v26, 1.0, v26
	s_mov_b32 s0, 0x3fc90fda
	v_mul_f32_e32 v27, 0x3fc90fda, v26
	v_fma_f32 v28, v26, s0, -v27
	v_fmamk_f32 v26, v26, 0x33a22168, v28
	v_fmac_f32_e32 v26, 0x3fc90fda, v25
	v_lshrrev_b32_e32 v24, 30, v24
	v_add_f32_e32 v25, v27, v26
	v_add_u32_e32 v24, v34, v24
	s_andn2_saveexec_b64 s[0:1], s[10:11]
	s_cbranch_execnz .LBB18_258
	s_branch .LBB18_259
.LBB18_257:
	s_andn2_saveexec_b64 s[0:1], s[10:11]
.LBB18_258:
	s_mov_b32 s2, 0x3f22f983
	v_mul_f32_e64 v24, |v3|, s2
	v_rndne_f32_e32 v25, v24
	s_mov_b32 s2, 0xbfc90fda
	v_cvt_i32_f32_e32 v24, v25
	v_fma_f32 v26, v25, s2, |v3|
	v_fmamk_f32 v26, v25, 0xb3a22168, v26
	v_fmamk_f32 v25, v25, 0xa7c234c4, v26
.LBB18_259:
	s_or_b64 exec, exec, s[0:1]
	v_mul_f32_e32 v26, v10, v10
	s_mov_b32 s2, 0x41c80000
	v_div_scale_f32 v27, s[0:1], v26, v26, s2
	v_rcp_f32_e32 v28, v27
	v_xor_b32_e32 v5, v5, v3
	s_mov_b32 s4, 0x40a00000
	v_mov_b32_e32 v35, 0xbf000004
	v_fma_f32 v29, -v27, v28, 1.0
	v_fmac_f32_e32 v28, v29, v28
	v_div_scale_f32 v29, vcc, s2, v26, s2
	v_mul_f32_e32 v30, v29, v28
	v_fma_f32 v31, -v27, v30, v29
	v_fmac_f32_e32 v30, v31, v28
	v_fma_f32 v27, -v27, v30, v29
	v_div_fmas_f32 v27, v27, v28, v30
	v_div_fixup_f32 v26, v27, v26, s2
	v_mov_b32_e32 v27, 0x3a50e985
	v_mov_b32_e32 v28, 0x3a725406
	v_fmac_f32_e32 v27, 0, v26
	v_fmac_f32_e32 v28, 0, v26
	v_fmaak_f32 v27, v26, v27, 0x3da9a586
	v_fmaak_f32 v28, v26, v28, 0x3daf5e2d
	;; [unrolled: 1-line block ×8, first 2 shown]
	v_mov_b32_e32 v29, 0xbc3a3a12
	v_fmaak_f32 v27, v26, v27, 0x40a9b425
	v_fmaak_f32 v28, v26, v28, 0x40a9cb2f
	v_fmac_f32_e32 v29, 0, v26
	v_mov_b32_e32 v30, 0x4280a2ba
	v_fma_f32 v28, v26, v28, 1.0
	v_fmaak_f32 v29, v26, v29, 0xbfa429da
	v_fmac_f32_e32 v30, 0, v26
	v_fma_f32 v27, v26, v27, 1.0
	v_fmaak_f32 v29, v26, v29, 0xc19c6e80
	v_fmaak_f32 v30, v26, v30, 0x44561b86
	v_div_scale_f32 v31, s[0:1], v28, v28, v27
	v_fmaak_f32 v29, v26, v29, 0xc2ba697b
	v_fmaak_f32 v30, v26, v30, 0x4572a66e
	v_rcp_f32_e32 v32, v31
	v_fmaak_f32 v29, v26, v29, 0xc331ae61
	v_fmaak_f32 v30, v26, v30, 0x45e243be
	;; [unrolled: 1-line block ×8, first 2 shown]
	v_fma_f32 v30, -v31, v32, 1.0
	v_fmac_f32_e32 v32, v30, v32
	v_div_scale_f32 v30, vcc, v27, v28, v27
	v_mul_f32_e32 v33, v30, v32
	v_fma_f32 v34, -v31, v33, v30
	v_fmac_f32_e32 v33, v34, v32
	v_fma_f32 v30, -v31, v33, v30
	v_div_fmas_f32 v30, v30, v32, v33
	v_div_fixup_f32 v27, v30, v28, v27
	v_mul_f32_e32 v28, v15, v15
	v_mov_b32_e32 v30, 0x3c0881c4
	v_fmamk_f32 v31, v28, 0xb94c1982, v30
	v_fmaak_f32 v31, v28, v31, 0xbe2aaa9d
	v_mul_f32_e32 v31, v28, v31
	v_fmac_f32_e32 v15, v15, v31
	v_mov_b32_e32 v31, 0xbab64f3b
	v_fmamk_f32 v33, v28, 0x37d75334, v31
	v_fmaak_f32 v33, v28, v33, 0x3d2aabf7
	v_fmaak_f32 v33, v28, v33, 0xbf000004
	v_fma_f32 v28, v28, v33, 1.0
	v_and_b32_e32 v33, 1, v14
	v_lshlrev_b32_e32 v14, 30, v14
	v_cmp_eq_u32_e32 vcc, 0, v33
	v_and_b32_e32 v14, 0x80000000, v14
	v_xor_b32_e32 v5, v5, v14
	v_cndmask_b32_e32 v15, v28, v15, vcc
	v_div_scale_f32 v14, s[0:1], v10, v10, s4
	v_xor_b32_e32 v5, v5, v15
	v_rcp_f32_e32 v15, v14
	s_movk_i32 s2, 0x1f8
	v_mov_b32_e32 v28, 0x7fc00000
	v_cmp_class_f32_e64 s[0:1], v3, s2
	v_mov_b32_e32 v32, 0xbe2aaa9d
	v_mov_b32_e32 v34, 0x3d2aabf7
	v_cndmask_b32_e64 v3, v28, v5, s[0:1]
	v_fma_f32 v5, -v14, v15, 1.0
	v_fmac_f32_e32 v15, v5, v15
	v_div_scale_f32 v5, vcc, s4, v10, s4
	v_mul_f32_e32 v33, v5, v15
	v_fma_f32 v36, -v14, v33, v5
	v_fmac_f32_e32 v33, v36, v15
	v_fma_f32 v5, -v14, v33, v5
	v_div_scale_f32 v14, s[2:3], v26, v26, v29
	v_rcp_f32_e32 v36, v14
	v_div_fmas_f32 v5, v5, v15, v33
	v_div_fixup_f32 v5, v5, v10, s4
	v_fma_f32 v15, -v14, v36, 1.0
	v_fmac_f32_e32 v36, v15, v36
	v_div_scale_f32 v15, vcc, v29, v26, v29
	v_mul_f32_e32 v33, v15, v36
	v_fma_f32 v37, -v14, v33, v15
	v_fmac_f32_e32 v33, v37, v36
	v_fma_f32 v14, -v14, v33, v15
	v_div_fmas_f32 v14, v14, v36, v33
	v_div_fixup_f32 v14, v14, v26, v29
	v_mul_f32_e32 v5, v5, v14
	v_mul_f32_e32 v14, v25, v25
	v_fmac_f32_e32 v30, 0xb94c1982, v14
	v_fmac_f32_e32 v32, v14, v30
	;; [unrolled: 1-line block ×3, first 2 shown]
	v_mul_f32_e32 v15, v14, v32
	v_fmac_f32_e32 v34, v14, v31
	v_fmac_f32_e32 v25, v25, v15
	v_fmac_f32_e32 v35, v14, v34
	v_and_b32_e32 v15, 1, v24
	v_fma_f32 v14, v14, v35, 1.0
	v_cmp_eq_u32_e32 vcc, 0, v15
	v_lshlrev_b32_e32 v15, 30, v24
	v_and_b32_e32 v15, 0x80000000, v15
	v_cndmask_b32_e64 v14, -v25, v14, vcc
	v_xor_b32_e32 v14, v15, v14
	v_cndmask_b32_e64 v14, v28, v14, s[0:1]
	s_mov_b32 s0, 0xf800000
	v_mul_f32_e32 v15, 0x4f800000, v10
	v_cmp_gt_f32_e32 vcc, s0, v10
	v_mul_f32_e32 v5, v5, v14
	v_fmac_f32_e32 v5, v27, v3
	v_cndmask_b32_e32 v10, v10, v15, vcc
	v_sqrt_f32_e32 v15, v10
	v_mul_f32_e32 v3, 0x3f4c422a, v5
	v_add_u32_e32 v5, -1, v15
	v_fma_f32 v14, -v5, v15, v10
	v_cmp_ge_f32_e64 s[0:1], 0, v14
	v_add_u32_e32 v14, 1, v15
	s_nop 0
	v_cndmask_b32_e64 v5, v15, v5, s[0:1]
	v_fma_f32 v15, -v14, v15, v10
	v_cmp_lt_f32_e64 s[0:1], 0, v15
	s_nop 1
	v_cndmask_b32_e64 v5, v5, v14, s[0:1]
	v_mul_f32_e32 v14, 0x37800000, v5
	v_cndmask_b32_e32 v5, v5, v14, vcc
	v_mov_b32_e32 v14, 0x260
	v_cmp_class_f32_e32 vcc, v10, v14
	s_nop 1
	v_cndmask_b32_e32 v5, v5, v10, vcc
	v_div_scale_f32 v10, s[0:1], v5, v5, v3
	v_rcp_f32_e32 v14, v10
	s_nop 0
	v_fma_f32 v15, -v10, v14, 1.0
	v_fmac_f32_e32 v14, v15, v14
	v_div_scale_f32 v15, vcc, v3, v5, v3
	v_mul_f32_e32 v24, v15, v14
	v_fma_f32 v25, -v10, v24, v15
	v_fmac_f32_e32 v24, v25, v14
	v_fma_f32 v10, -v10, v24, v15
	v_div_fmas_f32 v10, v10, v14, v24
	v_div_fixup_f32 v14, v10, v5, v3
.LBB18_260:
	s_or_b64 exec, exec, s[8:9]
	s_mov_b32 s0, 0x40a00000
	v_cmp_ge_f32_e32 vcc, s0, v11
	s_and_saveexec_b64 s[0:1], vcc
	s_xor_b64 s[2:3], exec, s[0:1]
	s_cbranch_execz .LBB18_270
; %bb.261:
	v_cmp_neq_f32_e32 vcc, 0, v11
	v_mov_b32_e32 v15, 0xff800000
	s_and_saveexec_b64 s[4:5], vcc
	s_cbranch_execz .LBB18_269
; %bb.262:
	v_cmp_ngt_f32_e32 vcc, 0, v11
	v_mov_b32_e32 v15, 0x7fc00000
	s_and_saveexec_b64 s[8:9], vcc
	s_cbranch_execz .LBB18_268
; %bb.263:
	v_mul_f32_e32 v10, v11, v11
	s_mov_b32 s0, 0x3727c5ac
	v_mul_f32_e32 v24, 0, v10
	v_cmp_ngt_f32_e32 vcc, s0, v11
                                        ; implicit-def: $vgpr3
	s_and_saveexec_b64 s[0:1], vcc
	s_xor_b64 s[0:1], exec, s[0:1]
	s_cbranch_execz .LBB18_265
; %bb.264:
	v_add_f32_e32 v3, 0x43f9c815, v24
	v_fmaak_f32 v3, v10, v3, 0x4829b65a
	v_fmaak_f32 v3, v10, v3, 0x4c38c9a1
	;; [unrolled: 1-line block ×3, first 2 shown]
	s_mov_b32 s10, 0xcf8ee29d
	v_mul_f32_e32 v25, v10, v3
	s_mov_b32 s11, 0x53f5f59c
	v_pk_add_f32 v[26:27], v[24:25], s[10:11]
	s_mov_b32 s10, 0x53e3ba8e
	s_mov_b32 s11, 0x578d3514
	v_pk_fma_f32 v[26:27], v[10:11], v[26:27], s[10:11] op_sel_hi:[0,1,1]
	s_mov_b32 s10, 0xd762b0a7
	s_mov_b32 s11, 0x5ae20a0c
	v_pk_fma_f32 v[26:27], v[10:11], v[26:27], s[10:11] op_sel_hi:[0,1,1]
	;; [unrolled: 3-line block ×3, first 2 shown]
	s_mov_b32 s10, 0xc0b90fdc
	s_mov_b32 s11, 0xc1f3c525
	v_pk_add_f32 v[28:29], v[10:11], s[10:11] op_sel_hi:[0,1]
	v_mul_f32_e32 v3, v28, v29
	v_mul_f32_e32 v3, v3, v26
	v_div_scale_f32 v5, s[10:11], v27, v27, v3
	v_rcp_f32_e32 v15, v5
	s_nop 0
	v_fma_f32 v25, -v5, v15, 1.0
	v_fmac_f32_e32 v15, v25, v15
	v_div_scale_f32 v25, vcc, v3, v27, v3
	v_mul_f32_e32 v26, v25, v15
	v_fma_f32 v28, -v5, v26, v25
	v_fmac_f32_e32 v26, v28, v15
	v_fma_f32 v5, -v5, v26, v25
	v_div_fmas_f32 v5, v5, v15, v26
	v_div_fixup_f32 v3, v5, v27, v3
.LBB18_265:
	s_andn2_saveexec_b64 s[0:1], s[0:1]
; %bb.266:
	v_mov_b32_e32 v3, 1.0
	v_fmamk_f32 v3, v10, 0xbe800000, v3
; %bb.267:
	s_or_b64 exec, exec, s[0:1]
	v_add_f32_e32 v5, 0x4673a1bf, v24
	v_fmaak_f32 v5, v10, v5, 0xcb5fc0fa
	v_add_f32_e32 v15, 0x44822913, v24
	v_fmaak_f32 v5, v10, v5, 0x4fa1fbc8
	v_fmaak_f32 v15, v10, v15, 0x4918dbb5
	;; [unrolled: 1-line block ×12, first 2 shown]
	v_div_scale_f32 v10, s[0:1], v15, v15, v5
	v_rcp_f32_e32 v24, v10
	s_mov_b32 s0, 0x800000
	v_cmp_gt_f32_e64 s[0:1], s0, v11
	s_mov_b32 s10, 0x3f317217
	v_fma_f32 v25, -v10, v24, 1.0
	v_fmac_f32_e32 v24, v25, v24
	v_div_scale_f32 v25, vcc, v5, v15, v5
	v_mul_f32_e32 v26, v25, v24
	v_fma_f32 v27, -v10, v26, v25
	v_fmac_f32_e32 v26, v27, v24
	v_fma_f32 v10, -v10, v26, v25
	v_mov_b32_e32 v25, 0x4f800000
	v_cndmask_b32_e64 v25, 1.0, v25, s[0:1]
	v_mul_f32_e32 v11, v11, v25
	v_log_f32_e32 v11, v11
	v_div_fmas_f32 v10, v10, v24, v26
	v_div_fixup_f32 v15, v10, v15, v5
	v_mul_f32_e32 v5, 0x3f317217, v11
	v_fma_f32 v10, v11, s10, -v5
	v_fmamk_f32 v10, v11, 0x3377d1cf, v10
	s_mov_b32 s10, 0x7f800000
	v_add_f32_e32 v5, v5, v10
	v_cmp_lt_f32_e64 vcc, |v11|, s10
	v_mov_b32_e32 v10, 0x41b17218
	v_cndmask_b32_e64 v10, 0, v10, s[0:1]
	v_cndmask_b32_e32 v5, v11, v5, vcc
	v_sub_f32_e32 v5, v5, v10
	v_mul_f32_e32 v5, 0x3f22f983, v5
	v_fmac_f32_e32 v15, v5, v3
.LBB18_268:
	s_or_b64 exec, exec, s[8:9]
.LBB18_269:
	s_or_b64 exec, exec, s[4:5]
                                        ; implicit-def: $vgpr10_vgpr11
.LBB18_270:
	s_andn2_saveexec_b64 s[8:9], s[2:3]
	s_cbranch_execz .LBB18_280
; %bb.271:
	v_add_f32_e32 v3, 0xbf490fdb, v11
	v_and_b32_e32 v5, 0x7fffffff, v3
	s_brev_b32 s0, 18
	v_cmp_nlt_f32_e64 s[10:11], |v3|, s0
	v_lshrrev_b32_e32 v26, 23, v5
                                        ; implicit-def: $vgpr10
                                        ; implicit-def: $vgpr15
	s_and_saveexec_b64 s[0:1], s[10:11]
	s_xor_b64 s[12:13], exec, s[0:1]
	s_cbranch_execz .LBB18_273
; %bb.272:
	v_add_u32_e32 v10, 0xffffff88, v26
	v_not_b32_e32 v15, 63
	v_cmp_lt_u32_e32 vcc, 63, v10
	s_mov_b32 s4, 0xfe5163ab
	v_mov_b32_e32 v25, 0
	v_cndmask_b32_e32 v15, 0, v15, vcc
	v_add_u32_e32 v10, v15, v10
	v_not_b32_e32 v15, 31
	v_cmp_lt_u32_e64 s[0:1], 31, v10
	s_nop 1
	v_cndmask_b32_e64 v24, 0, v15, s[0:1]
	v_add_u32_e32 v10, v24, v10
	v_cmp_lt_u32_e64 s[2:3], 31, v10
	s_nop 1
	v_cndmask_b32_e64 v15, 0, v15, s[2:3]
	v_add_u32_e32 v10, v15, v10
	v_and_b32_e32 v15, 0x7fffff, v5
	v_or_b32_e32 v15, 0x800000, v15
	v_mad_u64_u32 v[28:29], s[4:5], v15, s4, 0
	v_mov_b32_e32 v24, v29
	s_mov_b32 s4, 0x3c439041
	v_mad_u64_u32 v[30:31], s[4:5], v15, s4, v[24:25]
	v_mov_b32_e32 v24, v31
	s_mov_b32 s4, 0xdb629599
	;; [unrolled: 3-line block ×6, first 2 shown]
	v_mad_u64_u32 v[24:25], s[4:5], v15, s4, v[24:25]
	v_cndmask_b32_e32 v27, v38, v34, vcc
	v_cndmask_b32_e32 v15, v24, v36, vcc
	;; [unrolled: 1-line block ×3, first 2 shown]
	v_cndmask_b32_e64 v24, v15, v27, s[0:1]
	v_cndmask_b32_e64 v15, v25, v15, s[0:1]
	v_cndmask_b32_e32 v25, v36, v32, vcc
	v_cndmask_b32_e64 v27, v27, v25, s[0:1]
	v_cndmask_b32_e64 v15, v15, v24, s[2:3]
	;; [unrolled: 1-line block ×3, first 2 shown]
	v_sub_u32_e32 v29, 32, v10
	v_alignbit_b32 v31, v15, v24, v29
	v_cmp_eq_u32_e64 s[4:5], 0, v10
	v_cndmask_b32_e32 v28, v32, v28, vcc
	s_nop 0
	v_cndmask_b32_e64 v10, v31, v15, s[4:5]
	v_cndmask_b32_e32 v15, v34, v30, vcc
	v_cndmask_b32_e64 v25, v25, v15, s[0:1]
	v_cndmask_b32_e64 v27, v27, v25, s[2:3]
	v_alignbit_b32 v30, v24, v27, v29
	v_cndmask_b32_e64 v24, v30, v24, s[4:5]
	v_bfe_u32 v33, v10, 29, 1
	v_cndmask_b32_e64 v15, v15, v28, s[0:1]
	v_alignbit_b32 v30, v10, v24, 30
	v_sub_u32_e32 v34, 0, v33
	v_cndmask_b32_e64 v15, v25, v15, s[2:3]
	v_xor_b32_e32 v35, v30, v34
	v_alignbit_b32 v25, v27, v15, v29
	v_cndmask_b32_e64 v25, v25, v27, s[4:5]
	v_ffbh_u32_e32 v27, v35
	v_add_u32_e32 v27, 1, v27
	v_cmp_ne_u32_e32 vcc, v30, v34
	v_alignbit_b32 v24, v24, v25, 30
	v_alignbit_b32 v15, v25, v15, 30
	v_cndmask_b32_e32 v27, 33, v27, vcc
	v_xor_b32_e32 v24, v24, v34
	v_sub_u32_e32 v28, 32, v27
	v_xor_b32_e32 v15, v15, v34
	v_alignbit_b32 v29, v35, v24, v28
	v_alignbit_b32 v15, v24, v15, v28
	;; [unrolled: 1-line block ×3, first 2 shown]
	v_ffbh_u32_e32 v25, v24
	v_min_u32_e32 v25, 32, v25
	v_lshrrev_b32_e32 v31, 29, v10
	v_sub_u32_e32 v28, 31, v25
	v_alignbit_b32 v15, v24, v15, v28
	v_lshlrev_b32_e32 v24, 31, v31
	v_or_b32_e32 v28, 0x33800000, v24
	v_add_lshl_u32 v25, v25, v27, 23
	v_lshrrev_b32_e32 v15, 9, v15
	v_sub_u32_e32 v25, v28, v25
	v_or_b32_e32 v15, v25, v15
	v_alignbit_b32 v25, v27, v29, 9
	v_or_b32_e32 v24, v25, v24
	v_xor_b32_e32 v24, 1.0, v24
	s_mov_b32 s0, 0x3fc90fda
	v_mul_f32_e32 v25, 0x3fc90fda, v24
	v_fma_f32 v27, v24, s0, -v25
	v_fmamk_f32 v24, v24, 0x33a22168, v27
	v_fmac_f32_e32 v24, 0x3fc90fda, v15
	v_lshrrev_b32_e32 v10, 30, v10
	v_add_f32_e32 v15, v25, v24
	v_add_u32_e32 v10, v33, v10
	s_andn2_saveexec_b64 s[0:1], s[12:13]
	s_branch .LBB18_274
.LBB18_273:
	s_andn2_saveexec_b64 s[0:1], s[12:13]
.LBB18_274:
	s_mov_b32 s2, 0x3f22f983
	v_mul_f32_e64 v10, |v3|, s2
	v_rndne_f32_e32 v15, v10
	s_mov_b32 s2, 0xbfc90fda
	v_cvt_i32_f32_e32 v10, v15
	v_fma_f32 v24, v15, s2, |v3|
	v_fmamk_f32 v24, v15, 0xb3a22168, v24
	v_fmamk_f32 v15, v15, 0xa7c234c4, v24
; %bb.275:
	s_or_b64 exec, exec, s[0:1]
                                        ; implicit-def: $vgpr24
                                        ; implicit-def: $vgpr25
	s_and_saveexec_b64 s[0:1], s[10:11]
	s_xor_b64 s[10:11], exec, s[0:1]
	s_cbranch_execz .LBB18_277
; %bb.276:
	v_add_u32_e32 v24, 0xffffff88, v26
	v_not_b32_e32 v26, 63
	v_cmp_lt_u32_e32 vcc, 63, v24
	s_mov_b32 s4, 0xfe5163ab
	v_mov_b32_e32 v25, 0
	v_cndmask_b32_e32 v26, 0, v26, vcc
	v_add_u32_e32 v24, v26, v24
	v_not_b32_e32 v26, 31
	v_cmp_lt_u32_e64 s[0:1], 31, v24
	s_nop 1
	v_cndmask_b32_e64 v27, 0, v26, s[0:1]
	v_add_u32_e32 v24, v27, v24
	v_cmp_lt_u32_e64 s[2:3], 31, v24
	s_nop 1
	v_cndmask_b32_e64 v26, 0, v26, s[2:3]
	v_add_u32_e32 v38, v26, v24
	v_and_b32_e32 v24, 0x7fffff, v5
	v_or_b32_e32 v39, 0x800000, v24
	v_mad_u64_u32 v[26:27], s[4:5], v39, s4, 0
	v_mov_b32_e32 v24, v27
	s_mov_b32 s4, 0x3c439041
	v_mad_u64_u32 v[28:29], s[4:5], v39, s4, v[24:25]
	v_mov_b32_e32 v24, v29
	s_mov_b32 s4, 0xdb629599
	;; [unrolled: 3-line block ×6, first 2 shown]
	v_mad_u64_u32 v[24:25], s[4:5], v39, s4, v[24:25]
	v_cndmask_b32_e32 v27, v36, v32, vcc
	v_cndmask_b32_e32 v24, v24, v34, vcc
	;; [unrolled: 1-line block ×3, first 2 shown]
	v_cndmask_b32_e64 v29, v24, v27, s[0:1]
	v_cndmask_b32_e64 v24, v25, v24, s[0:1]
	v_cndmask_b32_e32 v25, v34, v30, vcc
	v_cndmask_b32_e64 v27, v27, v25, s[0:1]
	v_cndmask_b32_e32 v28, v32, v28, vcc
	v_cndmask_b32_e64 v24, v24, v29, s[2:3]
	v_cndmask_b32_e64 v29, v29, v27, s[2:3]
	v_sub_u32_e32 v31, 32, v38
	v_cndmask_b32_e64 v25, v25, v28, s[0:1]
	v_alignbit_b32 v33, v24, v29, v31
	v_cmp_eq_u32_e64 s[4:5], 0, v38
	v_cndmask_b32_e64 v27, v27, v25, s[2:3]
	v_alignbit_b32 v32, v29, v27, v31
	v_cndmask_b32_e64 v24, v33, v24, s[4:5]
	v_cndmask_b32_e64 v29, v32, v29, s[4:5]
	v_bfe_u32 v34, v24, 29, 1
	v_cndmask_b32_e32 v26, v30, v26, vcc
	v_alignbit_b32 v32, v24, v29, 30
	v_sub_u32_e32 v35, 0, v34
	v_cndmask_b32_e64 v26, v28, v26, s[0:1]
	v_xor_b32_e32 v36, v32, v35
	v_cndmask_b32_e64 v25, v25, v26, s[2:3]
	v_alignbit_b32 v26, v27, v25, v31
	v_ffbh_u32_e32 v28, v36
	v_cndmask_b32_e64 v26, v26, v27, s[4:5]
	v_add_u32_e32 v28, 1, v28
	v_cmp_ne_u32_e32 vcc, v32, v35
	v_alignbit_b32 v27, v29, v26, 30
	v_alignbit_b32 v25, v26, v25, 30
	v_cndmask_b32_e32 v28, 33, v28, vcc
	v_xor_b32_e32 v27, v27, v35
	v_sub_u32_e32 v29, 32, v28
	v_xor_b32_e32 v25, v25, v35
	v_alignbit_b32 v30, v36, v27, v29
	v_alignbit_b32 v25, v27, v25, v29
	;; [unrolled: 1-line block ×3, first 2 shown]
	v_ffbh_u32_e32 v27, v26
	v_min_u32_e32 v27, 32, v27
	v_lshrrev_b32_e32 v33, 29, v24
	v_sub_u32_e32 v29, 31, v27
	v_alignbit_b32 v25, v26, v25, v29
	v_lshlrev_b32_e32 v26, 31, v33
	v_or_b32_e32 v29, 0x33800000, v26
	v_add_lshl_u32 v27, v27, v28, 23
	v_lshrrev_b32_e32 v25, 9, v25
	v_sub_u32_e32 v27, v29, v27
	v_or_b32_e32 v25, v27, v25
	v_alignbit_b32 v27, v28, v30, 9
	v_or_b32_e32 v26, v27, v26
	v_xor_b32_e32 v26, 1.0, v26
	s_mov_b32 s0, 0x3fc90fda
	v_mul_f32_e32 v27, 0x3fc90fda, v26
	v_fma_f32 v28, v26, s0, -v27
	v_fmamk_f32 v26, v26, 0x33a22168, v28
	v_fmac_f32_e32 v26, 0x3fc90fda, v25
	v_lshrrev_b32_e32 v24, 30, v24
	v_add_f32_e32 v25, v27, v26
	v_add_u32_e32 v24, v34, v24
	s_andn2_saveexec_b64 s[0:1], s[10:11]
	s_cbranch_execnz .LBB18_278
	s_branch .LBB18_279
.LBB18_277:
	s_andn2_saveexec_b64 s[0:1], s[10:11]
.LBB18_278:
	s_mov_b32 s2, 0x3f22f983
	v_mul_f32_e64 v24, |v3|, s2
	v_rndne_f32_e32 v25, v24
	s_mov_b32 s2, 0xbfc90fda
	v_cvt_i32_f32_e32 v24, v25
	v_fma_f32 v26, v25, s2, |v3|
	v_fmamk_f32 v26, v25, 0xb3a22168, v26
	v_fmamk_f32 v25, v25, 0xa7c234c4, v26
.LBB18_279:
	s_or_b64 exec, exec, s[0:1]
	v_mul_f32_e32 v26, v11, v11
	s_mov_b32 s2, 0x41c80000
	v_div_scale_f32 v27, s[0:1], v26, v26, s2
	v_rcp_f32_e32 v28, v27
	v_xor_b32_e32 v5, v5, v3
	s_mov_b32 s4, 0x40a00000
	v_mov_b32_e32 v35, 0xbf000004
	v_fma_f32 v29, -v27, v28, 1.0
	v_fmac_f32_e32 v28, v29, v28
	v_div_scale_f32 v29, vcc, s2, v26, s2
	v_mul_f32_e32 v30, v29, v28
	v_fma_f32 v31, -v27, v30, v29
	v_fmac_f32_e32 v30, v31, v28
	v_fma_f32 v27, -v27, v30, v29
	v_div_fmas_f32 v27, v27, v28, v30
	v_div_fixup_f32 v26, v27, v26, s2
	v_mov_b32_e32 v27, 0x3a50e985
	v_mov_b32_e32 v28, 0x3a725406
	v_fmac_f32_e32 v27, 0, v26
	v_fmac_f32_e32 v28, 0, v26
	v_fmaak_f32 v27, v26, v27, 0x3da9a586
	v_fmaak_f32 v28, v26, v28, 0x3daf5e2d
	;; [unrolled: 1-line block ×8, first 2 shown]
	v_mov_b32_e32 v29, 0xbc3a3a12
	v_fmaak_f32 v27, v26, v27, 0x40a9b425
	v_fmaak_f32 v28, v26, v28, 0x40a9cb2f
	v_fmac_f32_e32 v29, 0, v26
	v_mov_b32_e32 v30, 0x4280a2ba
	v_fma_f32 v28, v26, v28, 1.0
	v_fmaak_f32 v29, v26, v29, 0xbfa429da
	v_fmac_f32_e32 v30, 0, v26
	v_fma_f32 v27, v26, v27, 1.0
	v_fmaak_f32 v29, v26, v29, 0xc19c6e80
	v_fmaak_f32 v30, v26, v30, 0x44561b86
	v_div_scale_f32 v31, s[0:1], v28, v28, v27
	v_fmaak_f32 v29, v26, v29, 0xc2ba697b
	v_fmaak_f32 v30, v26, v30, 0x4572a66e
	v_rcp_f32_e32 v32, v31
	v_fmaak_f32 v29, v26, v29, 0xc331ae61
	v_fmaak_f32 v30, v26, v30, 0x45e243be
	;; [unrolled: 1-line block ×8, first 2 shown]
	v_fma_f32 v30, -v31, v32, 1.0
	v_fmac_f32_e32 v32, v30, v32
	v_div_scale_f32 v30, vcc, v27, v28, v27
	v_mul_f32_e32 v33, v30, v32
	v_fma_f32 v34, -v31, v33, v30
	v_fmac_f32_e32 v33, v34, v32
	v_fma_f32 v30, -v31, v33, v30
	v_div_fmas_f32 v30, v30, v32, v33
	v_div_fixup_f32 v27, v30, v28, v27
	v_mul_f32_e32 v28, v15, v15
	v_mov_b32_e32 v30, 0x3c0881c4
	v_fmamk_f32 v31, v28, 0xb94c1982, v30
	v_fmaak_f32 v31, v28, v31, 0xbe2aaa9d
	v_mul_f32_e32 v31, v28, v31
	v_fmac_f32_e32 v15, v15, v31
	v_mov_b32_e32 v31, 0xbab64f3b
	v_fmamk_f32 v33, v28, 0x37d75334, v31
	v_fmaak_f32 v33, v28, v33, 0x3d2aabf7
	v_fmaak_f32 v33, v28, v33, 0xbf000004
	v_fma_f32 v28, v28, v33, 1.0
	v_and_b32_e32 v33, 1, v10
	v_lshlrev_b32_e32 v10, 30, v10
	v_cmp_eq_u32_e32 vcc, 0, v33
	v_and_b32_e32 v10, 0x80000000, v10
	v_xor_b32_e32 v5, v5, v10
	v_cndmask_b32_e32 v15, v28, v15, vcc
	v_div_scale_f32 v10, s[0:1], v11, v11, s4
	v_xor_b32_e32 v5, v5, v15
	v_rcp_f32_e32 v15, v10
	s_movk_i32 s2, 0x1f8
	v_mov_b32_e32 v28, 0x7fc00000
	v_cmp_class_f32_e64 s[0:1], v3, s2
	v_mov_b32_e32 v32, 0xbe2aaa9d
	v_mov_b32_e32 v34, 0x3d2aabf7
	v_cndmask_b32_e64 v3, v28, v5, s[0:1]
	v_fma_f32 v5, -v10, v15, 1.0
	v_fmac_f32_e32 v15, v5, v15
	v_div_scale_f32 v5, vcc, s4, v11, s4
	v_mul_f32_e32 v33, v5, v15
	v_fma_f32 v36, -v10, v33, v5
	v_fmac_f32_e32 v33, v36, v15
	v_fma_f32 v5, -v10, v33, v5
	v_div_scale_f32 v10, s[2:3], v26, v26, v29
	v_rcp_f32_e32 v36, v10
	v_div_fmas_f32 v5, v5, v15, v33
	v_div_fixup_f32 v5, v5, v11, s4
	v_fma_f32 v15, -v10, v36, 1.0
	v_fmac_f32_e32 v36, v15, v36
	v_div_scale_f32 v15, vcc, v29, v26, v29
	v_mul_f32_e32 v33, v15, v36
	v_fma_f32 v37, -v10, v33, v15
	v_fmac_f32_e32 v33, v37, v36
	v_fma_f32 v10, -v10, v33, v15
	v_div_fmas_f32 v10, v10, v36, v33
	v_div_fixup_f32 v10, v10, v26, v29
	v_mul_f32_e32 v5, v5, v10
	v_mul_f32_e32 v10, v25, v25
	v_fmac_f32_e32 v30, 0xb94c1982, v10
	v_fmac_f32_e32 v32, v10, v30
	;; [unrolled: 1-line block ×3, first 2 shown]
	v_mul_f32_e32 v15, v10, v32
	v_fmac_f32_e32 v34, v10, v31
	v_fmac_f32_e32 v25, v25, v15
	v_fmac_f32_e32 v35, v10, v34
	v_and_b32_e32 v15, 1, v24
	v_fma_f32 v10, v10, v35, 1.0
	v_cmp_eq_u32_e32 vcc, 0, v15
	v_lshlrev_b32_e32 v15, 30, v24
	v_and_b32_e32 v15, 0x80000000, v15
	v_cndmask_b32_e64 v10, -v25, v10, vcc
	v_xor_b32_e32 v10, v15, v10
	v_cndmask_b32_e64 v10, v28, v10, s[0:1]
	s_mov_b32 s0, 0xf800000
	v_mul_f32_e32 v15, 0x4f800000, v11
	v_cmp_gt_f32_e32 vcc, s0, v11
	v_mul_f32_e32 v5, v5, v10
	v_fmac_f32_e32 v5, v27, v3
	v_cndmask_b32_e32 v11, v11, v15, vcc
	v_sqrt_f32_e32 v15, v11
	v_mul_f32_e32 v3, 0x3f4c422a, v5
	v_add_u32_e32 v5, -1, v15
	v_fma_f32 v10, -v5, v15, v11
	v_cmp_ge_f32_e64 s[0:1], 0, v10
	v_add_u32_e32 v10, 1, v15
	s_nop 0
	v_cndmask_b32_e64 v5, v15, v5, s[0:1]
	v_fma_f32 v15, -v10, v15, v11
	v_cmp_lt_f32_e64 s[0:1], 0, v15
	s_nop 1
	v_cndmask_b32_e64 v5, v5, v10, s[0:1]
	v_mul_f32_e32 v10, 0x37800000, v5
	v_cndmask_b32_e32 v5, v5, v10, vcc
	v_mov_b32_e32 v10, 0x260
	v_cmp_class_f32_e32 vcc, v11, v10
	s_nop 1
	v_cndmask_b32_e32 v5, v5, v11, vcc
	v_div_scale_f32 v10, s[0:1], v5, v5, v3
	v_rcp_f32_e32 v11, v10
	s_nop 0
	v_fma_f32 v15, -v10, v11, 1.0
	v_fmac_f32_e32 v11, v15, v11
	v_div_scale_f32 v15, vcc, v3, v5, v3
	v_mul_f32_e32 v24, v15, v11
	v_fma_f32 v25, -v10, v24, v15
	v_fmac_f32_e32 v24, v25, v11
	v_fma_f32 v10, -v10, v24, v15
	v_div_fmas_f32 v10, v10, v11, v24
	v_div_fixup_f32 v15, v10, v5, v3
.LBB18_280:
	s_or_b64 exec, exec, s[8:9]
	s_mov_b32 s0, 0x40a00000
	v_cmp_ge_f32_e32 vcc, s0, v6
                                        ; implicit-def: $vgpr10
	s_and_saveexec_b64 s[0:1], vcc
	s_xor_b64 s[2:3], exec, s[0:1]
	s_cbranch_execz .LBB18_290
; %bb.281:
	v_cmp_neq_f32_e32 vcc, 0, v6
	v_mov_b32_e32 v10, 0xff800000
	s_and_saveexec_b64 s[4:5], vcc
	s_cbranch_execz .LBB18_289
; %bb.282:
	v_cmp_ngt_f32_e32 vcc, 0, v6
	v_mov_b32_e32 v10, 0x7fc00000
	s_and_saveexec_b64 s[8:9], vcc
	s_cbranch_execz .LBB18_288
; %bb.283:
	v_mul_f32_e32 v10, v6, v6
	s_mov_b32 s0, 0x3727c5ac
	v_mul_f32_e32 v24, 0, v10
	v_cmp_ngt_f32_e32 vcc, s0, v6
                                        ; implicit-def: $vgpr3
	s_and_saveexec_b64 s[0:1], vcc
	s_xor_b64 s[0:1], exec, s[0:1]
	s_cbranch_execz .LBB18_285
; %bb.284:
	v_add_f32_e32 v3, 0x43f9c815, v24
	v_fmaak_f32 v3, v10, v3, 0x4829b65a
	v_fmaak_f32 v3, v10, v3, 0x4c38c9a1
	;; [unrolled: 1-line block ×3, first 2 shown]
	s_mov_b32 s10, 0xcf8ee29d
	v_mul_f32_e32 v25, v10, v3
	s_mov_b32 s11, 0x53f5f59c
	v_pk_add_f32 v[26:27], v[24:25], s[10:11]
	s_mov_b32 s10, 0x53e3ba8e
	s_mov_b32 s11, 0x578d3514
	v_pk_fma_f32 v[26:27], v[10:11], v[26:27], s[10:11] op_sel_hi:[0,1,1]
	s_mov_b32 s10, 0xd762b0a7
	s_mov_b32 s11, 0x5ae20a0c
	v_pk_fma_f32 v[26:27], v[10:11], v[26:27], s[10:11] op_sel_hi:[0,1,1]
	;; [unrolled: 3-line block ×3, first 2 shown]
	s_mov_b32 s10, 0xc0b90fdc
	s_mov_b32 s11, 0xc1f3c525
	v_pk_add_f32 v[28:29], v[10:11], s[10:11] op_sel_hi:[0,1]
	v_mul_f32_e32 v3, v28, v29
	v_mul_f32_e32 v3, v3, v26
	v_div_scale_f32 v5, s[10:11], v27, v27, v3
	v_rcp_f32_e32 v11, v5
	s_nop 0
	v_fma_f32 v25, -v5, v11, 1.0
	v_fmac_f32_e32 v11, v25, v11
	v_div_scale_f32 v25, vcc, v3, v27, v3
	v_mul_f32_e32 v26, v25, v11
	v_fma_f32 v28, -v5, v26, v25
	v_fmac_f32_e32 v26, v28, v11
	v_fma_f32 v5, -v5, v26, v25
	v_div_fmas_f32 v5, v5, v11, v26
	v_div_fixup_f32 v3, v5, v27, v3
.LBB18_285:
	s_andn2_saveexec_b64 s[0:1], s[0:1]
; %bb.286:
	v_mov_b32_e32 v3, 1.0
	v_fmamk_f32 v3, v10, 0xbe800000, v3
; %bb.287:
	s_or_b64 exec, exec, s[0:1]
	v_add_f32_e32 v5, 0x4673a1bf, v24
	v_fmaak_f32 v5, v10, v5, 0xcb5fc0fa
	v_add_f32_e32 v11, 0x44822913, v24
	v_fmaak_f32 v5, v10, v5, 0x4fa1fbc8
	v_fmaak_f32 v11, v10, v11, 0x4918dbb5
	;; [unrolled: 1-line block ×12, first 2 shown]
	v_div_scale_f32 v10, s[0:1], v11, v11, v5
	v_rcp_f32_e32 v24, v10
	s_mov_b32 s0, 0x800000
	v_cmp_gt_f32_e64 s[0:1], s0, v6
	s_mov_b32 s10, 0x3f317217
	v_fma_f32 v25, -v10, v24, 1.0
	v_fmac_f32_e32 v24, v25, v24
	v_div_scale_f32 v25, vcc, v5, v11, v5
	v_mul_f32_e32 v26, v25, v24
	v_fma_f32 v27, -v10, v26, v25
	v_fmac_f32_e32 v26, v27, v24
	v_fma_f32 v10, -v10, v26, v25
	v_mov_b32_e32 v25, 0x4f800000
	v_cndmask_b32_e64 v25, 1.0, v25, s[0:1]
	v_mul_f32_e32 v25, v6, v25
	v_log_f32_e32 v25, v25
	v_div_fmas_f32 v10, v10, v24, v26
	v_div_fixup_f32 v10, v10, v11, v5
	v_mul_f32_e32 v5, 0x3f317217, v25
	v_fma_f32 v11, v25, s10, -v5
	v_fmamk_f32 v11, v25, 0x3377d1cf, v11
	s_mov_b32 s10, 0x7f800000
	v_add_f32_e32 v5, v5, v11
	v_cmp_lt_f32_e64 vcc, |v25|, s10
	v_mov_b32_e32 v11, 0x41b17218
	v_cndmask_b32_e64 v11, 0, v11, s[0:1]
	v_cndmask_b32_e32 v5, v25, v5, vcc
	v_sub_f32_e32 v5, v5, v11
	v_mul_f32_e32 v5, 0x3f22f983, v5
	v_fmac_f32_e32 v10, v5, v3
.LBB18_288:
	s_or_b64 exec, exec, s[8:9]
.LBB18_289:
	s_or_b64 exec, exec, s[4:5]
.LBB18_290:
	s_andn2_saveexec_b64 s[8:9], s[2:3]
	s_cbranch_execz .LBB18_300
; %bb.291:
	v_add_f32_e32 v3, 0xbf490fdb, v6
	v_and_b32_e32 v5, 0x7fffffff, v3
	s_brev_b32 s0, 18
	v_cmp_nlt_f32_e64 s[10:11], |v3|, s0
	v_lshrrev_b32_e32 v26, 23, v5
                                        ; implicit-def: $vgpr10
                                        ; implicit-def: $vgpr11
	s_and_saveexec_b64 s[0:1], s[10:11]
	s_xor_b64 s[12:13], exec, s[0:1]
	s_cbranch_execz .LBB18_293
; %bb.292:
	v_add_u32_e32 v10, 0xffffff88, v26
	v_not_b32_e32 v24, 63
	v_cmp_lt_u32_e32 vcc, 63, v10
	s_mov_b32 s4, 0xfe5163ab
	v_mov_b32_e32 v11, 0
	v_cndmask_b32_e32 v24, 0, v24, vcc
	v_add_u32_e32 v10, v24, v10
	v_not_b32_e32 v24, 31
	v_cmp_lt_u32_e64 s[0:1], 31, v10
	s_nop 1
	v_cndmask_b32_e64 v25, 0, v24, s[0:1]
	v_add_u32_e32 v10, v25, v10
	v_cmp_lt_u32_e64 s[2:3], 31, v10
	s_nop 1
	v_cndmask_b32_e64 v24, 0, v24, s[2:3]
	v_add_u32_e32 v27, v24, v10
	v_and_b32_e32 v10, 0x7fffff, v5
	v_or_b32_e32 v38, 0x800000, v10
	v_mad_u64_u32 v[24:25], s[4:5], v38, s4, 0
	v_mov_b32_e32 v10, v25
	s_mov_b32 s4, 0x3c439041
	v_mad_u64_u32 v[28:29], s[4:5], v38, s4, v[10:11]
	v_mov_b32_e32 v10, v29
	s_mov_b32 s4, 0xdb629599
	;; [unrolled: 3-line block ×6, first 2 shown]
	v_mad_u64_u32 v[10:11], s[4:5], v38, s4, v[10:11]
	v_cndmask_b32_e32 v25, v36, v32, vcc
	v_cndmask_b32_e32 v10, v10, v34, vcc
	v_cndmask_b32_e32 v11, v11, v36, vcc
	v_cndmask_b32_e64 v29, v10, v25, s[0:1]
	v_cndmask_b32_e64 v10, v11, v10, s[0:1]
	v_cndmask_b32_e32 v11, v34, v30, vcc
	v_cndmask_b32_e64 v25, v25, v11, s[0:1]
	v_sub_u32_e32 v31, 32, v27
	v_cmp_eq_u32_e64 s[4:5], 0, v27
	v_cndmask_b32_e32 v27, v32, v28, vcc
	v_cndmask_b32_e64 v10, v10, v29, s[2:3]
	v_cndmask_b32_e64 v29, v29, v25, s[2:3]
	;; [unrolled: 1-line block ×3, first 2 shown]
	v_alignbit_b32 v33, v10, v29, v31
	v_cndmask_b32_e64 v25, v25, v11, s[2:3]
	v_cndmask_b32_e64 v10, v33, v10, s[4:5]
	v_alignbit_b32 v28, v29, v25, v31
	v_cndmask_b32_e64 v28, v28, v29, s[4:5]
	v_bfe_u32 v33, v10, 29, 1
	v_cndmask_b32_e32 v24, v30, v24, vcc
	v_alignbit_b32 v29, v10, v28, 30
	v_sub_u32_e32 v34, 0, v33
	v_cndmask_b32_e64 v24, v27, v24, s[0:1]
	v_xor_b32_e32 v35, v29, v34
	v_cndmask_b32_e64 v11, v11, v24, s[2:3]
	v_alignbit_b32 v24, v25, v11, v31
	v_ffbh_u32_e32 v27, v35
	v_cndmask_b32_e64 v24, v24, v25, s[4:5]
	v_add_u32_e32 v27, 1, v27
	v_cmp_ne_u32_e32 vcc, v29, v34
	v_alignbit_b32 v25, v28, v24, 30
	v_alignbit_b32 v11, v24, v11, 30
	v_cndmask_b32_e32 v27, 33, v27, vcc
	v_xor_b32_e32 v25, v25, v34
	v_sub_u32_e32 v28, 32, v27
	v_xor_b32_e32 v11, v11, v34
	v_alignbit_b32 v29, v35, v25, v28
	v_alignbit_b32 v11, v25, v11, v28
	;; [unrolled: 1-line block ×3, first 2 shown]
	v_ffbh_u32_e32 v25, v24
	v_min_u32_e32 v25, 32, v25
	v_lshrrev_b32_e32 v32, 29, v10
	v_sub_u32_e32 v28, 31, v25
	v_alignbit_b32 v11, v24, v11, v28
	v_lshlrev_b32_e32 v24, 31, v32
	v_or_b32_e32 v28, 0x33800000, v24
	v_add_lshl_u32 v25, v25, v27, 23
	v_lshrrev_b32_e32 v11, 9, v11
	v_sub_u32_e32 v25, v28, v25
	v_or_b32_e32 v11, v25, v11
	v_alignbit_b32 v25, v27, v29, 9
	v_or_b32_e32 v24, v25, v24
	v_xor_b32_e32 v24, 1.0, v24
	s_mov_b32 s0, 0x3fc90fda
	v_mul_f32_e32 v25, 0x3fc90fda, v24
	v_fma_f32 v27, v24, s0, -v25
	v_fmamk_f32 v24, v24, 0x33a22168, v27
	v_fmac_f32_e32 v24, 0x3fc90fda, v11
	v_lshrrev_b32_e32 v10, 30, v10
	v_add_f32_e32 v11, v25, v24
	v_add_u32_e32 v10, v33, v10
	s_andn2_saveexec_b64 s[0:1], s[12:13]
	s_branch .LBB18_294
.LBB18_293:
	s_andn2_saveexec_b64 s[0:1], s[12:13]
.LBB18_294:
	s_mov_b32 s2, 0x3f22f983
	v_mul_f32_e64 v10, |v3|, s2
	v_rndne_f32_e32 v11, v10
	s_mov_b32 s2, 0xbfc90fda
	v_cvt_i32_f32_e32 v10, v11
	v_fma_f32 v24, v11, s2, |v3|
	v_fmamk_f32 v24, v11, 0xb3a22168, v24
	v_fmamk_f32 v11, v11, 0xa7c234c4, v24
; %bb.295:
	s_or_b64 exec, exec, s[0:1]
                                        ; implicit-def: $vgpr24
                                        ; implicit-def: $vgpr25
	s_and_saveexec_b64 s[0:1], s[10:11]
	s_xor_b64 s[10:11], exec, s[0:1]
	s_cbranch_execz .LBB18_297
; %bb.296:
	v_add_u32_e32 v24, 0xffffff88, v26
	v_not_b32_e32 v26, 63
	v_cmp_lt_u32_e32 vcc, 63, v24
	s_mov_b32 s4, 0xfe5163ab
	v_mov_b32_e32 v25, 0
	v_cndmask_b32_e32 v26, 0, v26, vcc
	v_add_u32_e32 v24, v26, v24
	v_not_b32_e32 v26, 31
	v_cmp_lt_u32_e64 s[0:1], 31, v24
	s_nop 1
	v_cndmask_b32_e64 v27, 0, v26, s[0:1]
	v_add_u32_e32 v24, v27, v24
	v_cmp_lt_u32_e64 s[2:3], 31, v24
	s_nop 1
	v_cndmask_b32_e64 v26, 0, v26, s[2:3]
	v_add_u32_e32 v38, v26, v24
	v_and_b32_e32 v24, 0x7fffff, v5
	v_or_b32_e32 v39, 0x800000, v24
	v_mad_u64_u32 v[26:27], s[4:5], v39, s4, 0
	v_mov_b32_e32 v24, v27
	s_mov_b32 s4, 0x3c439041
	v_mad_u64_u32 v[28:29], s[4:5], v39, s4, v[24:25]
	v_mov_b32_e32 v24, v29
	s_mov_b32 s4, 0xdb629599
	v_mad_u64_u32 v[30:31], s[4:5], v39, s4, v[24:25]
	v_mov_b32_e32 v24, v31
	s_mov_b32 s4, 0xf534ddc0
	v_mad_u64_u32 v[32:33], s[4:5], v39, s4, v[24:25]
	v_mov_b32_e32 v24, v33
	s_mov_b32 s4, 0xfc2757d1
	v_mad_u64_u32 v[34:35], s[4:5], v39, s4, v[24:25]
	v_mov_b32_e32 v24, v35
	s_mov_b32 s4, 0x4e441529
	v_mad_u64_u32 v[36:37], s[4:5], v39, s4, v[24:25]
	v_mov_b32_e32 v24, v37
	s_mov_b32 s4, 0xa2f9836e
	v_mad_u64_u32 v[24:25], s[4:5], v39, s4, v[24:25]
	v_cndmask_b32_e32 v27, v36, v32, vcc
	v_cndmask_b32_e32 v24, v24, v34, vcc
	;; [unrolled: 1-line block ×3, first 2 shown]
	v_cndmask_b32_e64 v29, v24, v27, s[0:1]
	v_cndmask_b32_e64 v24, v25, v24, s[0:1]
	v_cndmask_b32_e32 v25, v34, v30, vcc
	v_cndmask_b32_e64 v27, v27, v25, s[0:1]
	v_cndmask_b32_e32 v28, v32, v28, vcc
	v_cndmask_b32_e64 v24, v24, v29, s[2:3]
	v_cndmask_b32_e64 v29, v29, v27, s[2:3]
	v_sub_u32_e32 v31, 32, v38
	v_cndmask_b32_e64 v25, v25, v28, s[0:1]
	v_alignbit_b32 v33, v24, v29, v31
	v_cmp_eq_u32_e64 s[4:5], 0, v38
	v_cndmask_b32_e64 v27, v27, v25, s[2:3]
	v_alignbit_b32 v32, v29, v27, v31
	v_cndmask_b32_e64 v24, v33, v24, s[4:5]
	v_cndmask_b32_e64 v29, v32, v29, s[4:5]
	v_bfe_u32 v34, v24, 29, 1
	v_cndmask_b32_e32 v26, v30, v26, vcc
	v_alignbit_b32 v32, v24, v29, 30
	v_sub_u32_e32 v35, 0, v34
	v_cndmask_b32_e64 v26, v28, v26, s[0:1]
	v_xor_b32_e32 v36, v32, v35
	v_cndmask_b32_e64 v25, v25, v26, s[2:3]
	v_alignbit_b32 v26, v27, v25, v31
	v_ffbh_u32_e32 v28, v36
	v_cndmask_b32_e64 v26, v26, v27, s[4:5]
	v_add_u32_e32 v28, 1, v28
	v_cmp_ne_u32_e32 vcc, v32, v35
	v_alignbit_b32 v27, v29, v26, 30
	v_alignbit_b32 v25, v26, v25, 30
	v_cndmask_b32_e32 v28, 33, v28, vcc
	v_xor_b32_e32 v27, v27, v35
	v_sub_u32_e32 v29, 32, v28
	v_xor_b32_e32 v25, v25, v35
	v_alignbit_b32 v30, v36, v27, v29
	v_alignbit_b32 v25, v27, v25, v29
	;; [unrolled: 1-line block ×3, first 2 shown]
	v_ffbh_u32_e32 v27, v26
	v_min_u32_e32 v27, 32, v27
	v_lshrrev_b32_e32 v33, 29, v24
	v_sub_u32_e32 v29, 31, v27
	v_alignbit_b32 v25, v26, v25, v29
	v_lshlrev_b32_e32 v26, 31, v33
	v_or_b32_e32 v29, 0x33800000, v26
	v_add_lshl_u32 v27, v27, v28, 23
	v_lshrrev_b32_e32 v25, 9, v25
	v_sub_u32_e32 v27, v29, v27
	v_or_b32_e32 v25, v27, v25
	v_alignbit_b32 v27, v28, v30, 9
	v_or_b32_e32 v26, v27, v26
	v_xor_b32_e32 v26, 1.0, v26
	s_mov_b32 s0, 0x3fc90fda
	v_mul_f32_e32 v27, 0x3fc90fda, v26
	v_fma_f32 v28, v26, s0, -v27
	v_fmamk_f32 v26, v26, 0x33a22168, v28
	v_fmac_f32_e32 v26, 0x3fc90fda, v25
	v_lshrrev_b32_e32 v24, 30, v24
	v_add_f32_e32 v25, v27, v26
	v_add_u32_e32 v24, v34, v24
	s_andn2_saveexec_b64 s[0:1], s[10:11]
	s_cbranch_execnz .LBB18_298
	s_branch .LBB18_299
.LBB18_297:
	s_andn2_saveexec_b64 s[0:1], s[10:11]
.LBB18_298:
	s_mov_b32 s2, 0x3f22f983
	v_mul_f32_e64 v24, |v3|, s2
	v_rndne_f32_e32 v25, v24
	s_mov_b32 s2, 0xbfc90fda
	v_cvt_i32_f32_e32 v24, v25
	v_fma_f32 v26, v25, s2, |v3|
	v_fmamk_f32 v26, v25, 0xb3a22168, v26
	v_fmamk_f32 v25, v25, 0xa7c234c4, v26
.LBB18_299:
	s_or_b64 exec, exec, s[0:1]
	v_mul_f32_e32 v26, v6, v6
	s_mov_b32 s2, 0x41c80000
	v_div_scale_f32 v27, s[0:1], v26, v26, s2
	v_rcp_f32_e32 v28, v27
	v_xor_b32_e32 v5, v5, v3
	s_mov_b32 s4, 0x40a00000
	v_mov_b32_e32 v35, 0xbf000004
	v_fma_f32 v29, -v27, v28, 1.0
	v_fmac_f32_e32 v28, v29, v28
	v_div_scale_f32 v29, vcc, s2, v26, s2
	v_mul_f32_e32 v30, v29, v28
	v_fma_f32 v31, -v27, v30, v29
	v_fmac_f32_e32 v30, v31, v28
	v_fma_f32 v27, -v27, v30, v29
	v_div_fmas_f32 v27, v27, v28, v30
	v_div_fixup_f32 v26, v27, v26, s2
	v_mov_b32_e32 v27, 0x3a50e985
	v_mov_b32_e32 v28, 0x3a725406
	v_fmac_f32_e32 v27, 0, v26
	v_fmac_f32_e32 v28, 0, v26
	v_fmaak_f32 v27, v26, v27, 0x3da9a586
	v_fmaak_f32 v28, v26, v28, 0x3daf5e2d
	;; [unrolled: 1-line block ×8, first 2 shown]
	v_mov_b32_e32 v29, 0xbc3a3a12
	v_fmaak_f32 v27, v26, v27, 0x40a9b425
	v_fmaak_f32 v28, v26, v28, 0x40a9cb2f
	v_fmac_f32_e32 v29, 0, v26
	v_mov_b32_e32 v30, 0x4280a2ba
	v_fma_f32 v28, v26, v28, 1.0
	v_fmaak_f32 v29, v26, v29, 0xbfa429da
	v_fmac_f32_e32 v30, 0, v26
	v_fma_f32 v27, v26, v27, 1.0
	v_fmaak_f32 v29, v26, v29, 0xc19c6e80
	v_fmaak_f32 v30, v26, v30, 0x44561b86
	v_div_scale_f32 v31, s[0:1], v28, v28, v27
	v_fmaak_f32 v29, v26, v29, 0xc2ba697b
	v_fmaak_f32 v30, v26, v30, 0x4572a66e
	v_rcp_f32_e32 v32, v31
	v_fmaak_f32 v29, v26, v29, 0xc331ae61
	v_fmaak_f32 v30, v26, v30, 0x45e243be
	;; [unrolled: 1-line block ×8, first 2 shown]
	v_fma_f32 v30, -v31, v32, 1.0
	v_fmac_f32_e32 v32, v30, v32
	v_div_scale_f32 v30, vcc, v27, v28, v27
	v_mul_f32_e32 v33, v30, v32
	v_fma_f32 v34, -v31, v33, v30
	v_fmac_f32_e32 v33, v34, v32
	v_fma_f32 v30, -v31, v33, v30
	v_div_fmas_f32 v30, v30, v32, v33
	v_div_fixup_f32 v27, v30, v28, v27
	v_mul_f32_e32 v28, v11, v11
	v_mov_b32_e32 v30, 0x3c0881c4
	v_fmamk_f32 v31, v28, 0xb94c1982, v30
	v_fmaak_f32 v31, v28, v31, 0xbe2aaa9d
	v_mul_f32_e32 v31, v28, v31
	v_fmac_f32_e32 v11, v11, v31
	v_mov_b32_e32 v31, 0xbab64f3b
	v_fmamk_f32 v33, v28, 0x37d75334, v31
	v_fmaak_f32 v33, v28, v33, 0x3d2aabf7
	v_fmaak_f32 v33, v28, v33, 0xbf000004
	v_fma_f32 v28, v28, v33, 1.0
	v_and_b32_e32 v33, 1, v10
	v_lshlrev_b32_e32 v10, 30, v10
	v_cmp_eq_u32_e32 vcc, 0, v33
	v_and_b32_e32 v10, 0x80000000, v10
	v_xor_b32_e32 v5, v5, v10
	v_cndmask_b32_e32 v11, v28, v11, vcc
	v_div_scale_f32 v10, s[0:1], v6, v6, s4
	v_xor_b32_e32 v5, v5, v11
	v_rcp_f32_e32 v11, v10
	s_movk_i32 s2, 0x1f8
	v_mov_b32_e32 v28, 0x7fc00000
	v_cmp_class_f32_e64 s[0:1], v3, s2
	v_mov_b32_e32 v32, 0xbe2aaa9d
	v_mov_b32_e32 v34, 0x3d2aabf7
	v_cndmask_b32_e64 v3, v28, v5, s[0:1]
	v_fma_f32 v5, -v10, v11, 1.0
	v_fmac_f32_e32 v11, v5, v11
	v_div_scale_f32 v5, vcc, s4, v6, s4
	v_mul_f32_e32 v33, v5, v11
	v_fma_f32 v36, -v10, v33, v5
	v_fmac_f32_e32 v33, v36, v11
	v_fma_f32 v5, -v10, v33, v5
	v_div_scale_f32 v10, s[2:3], v26, v26, v29
	v_rcp_f32_e32 v36, v10
	v_div_fmas_f32 v5, v5, v11, v33
	v_div_fixup_f32 v5, v5, v6, s4
	v_fma_f32 v11, -v10, v36, 1.0
	v_fmac_f32_e32 v36, v11, v36
	v_div_scale_f32 v11, vcc, v29, v26, v29
	v_mul_f32_e32 v33, v11, v36
	v_fma_f32 v37, -v10, v33, v11
	v_fmac_f32_e32 v33, v37, v36
	v_fma_f32 v10, -v10, v33, v11
	v_div_fmas_f32 v10, v10, v36, v33
	v_div_fixup_f32 v10, v10, v26, v29
	v_mul_f32_e32 v5, v5, v10
	v_mul_f32_e32 v10, v25, v25
	v_fmac_f32_e32 v30, 0xb94c1982, v10
	v_fmac_f32_e32 v32, v10, v30
	;; [unrolled: 1-line block ×3, first 2 shown]
	v_mul_f32_e32 v11, v10, v32
	v_fmac_f32_e32 v34, v10, v31
	v_fmac_f32_e32 v25, v25, v11
	;; [unrolled: 1-line block ×3, first 2 shown]
	v_and_b32_e32 v11, 1, v24
	v_fma_f32 v10, v10, v35, 1.0
	v_cmp_eq_u32_e32 vcc, 0, v11
	v_lshlrev_b32_e32 v11, 30, v24
	v_and_b32_e32 v11, 0x80000000, v11
	v_cndmask_b32_e64 v10, -v25, v10, vcc
	v_xor_b32_e32 v10, v11, v10
	v_cndmask_b32_e64 v10, v28, v10, s[0:1]
	s_mov_b32 s0, 0xf800000
	v_mul_f32_e32 v11, 0x4f800000, v6
	v_cmp_gt_f32_e32 vcc, s0, v6
	v_mul_f32_e32 v5, v5, v10
	v_fmac_f32_e32 v5, v27, v3
	v_cndmask_b32_e32 v6, v6, v11, vcc
	v_sqrt_f32_e32 v11, v6
	v_mul_f32_e32 v3, 0x3f4c422a, v5
	v_add_u32_e32 v5, -1, v11
	v_fma_f32 v10, -v5, v11, v6
	v_cmp_ge_f32_e64 s[0:1], 0, v10
	v_add_u32_e32 v10, 1, v11
	s_nop 0
	v_cndmask_b32_e64 v5, v11, v5, s[0:1]
	v_fma_f32 v11, -v10, v11, v6
	v_cmp_lt_f32_e64 s[0:1], 0, v11
	s_nop 1
	v_cndmask_b32_e64 v5, v5, v10, s[0:1]
	v_mul_f32_e32 v10, 0x37800000, v5
	v_cndmask_b32_e32 v5, v5, v10, vcc
	v_mov_b32_e32 v10, 0x260
	v_cmp_class_f32_e32 vcc, v6, v10
	s_nop 1
	v_cndmask_b32_e32 v5, v5, v6, vcc
	v_div_scale_f32 v6, s[0:1], v5, v5, v3
	v_rcp_f32_e32 v10, v6
	s_nop 0
	v_fma_f32 v11, -v6, v10, 1.0
	v_fmac_f32_e32 v10, v11, v10
	v_div_scale_f32 v11, vcc, v3, v5, v3
	v_mul_f32_e32 v24, v11, v10
	v_fma_f32 v25, -v6, v24, v11
	v_fmac_f32_e32 v24, v25, v10
	v_fma_f32 v6, -v6, v24, v11
	v_div_fmas_f32 v6, v6, v10, v24
	v_div_fixup_f32 v10, v6, v5, v3
.LBB18_300:
	s_or_b64 exec, exec, s[8:9]
	s_mov_b32 s0, 0x40a00000
	v_cmp_ge_f32_e32 vcc, s0, v7
	s_and_saveexec_b64 s[0:1], vcc
	s_xor_b64 s[2:3], exec, s[0:1]
	s_cbranch_execz .LBB18_310
; %bb.301:
	v_cmp_neq_f32_e32 vcc, 0, v7
	v_mov_b32_e32 v11, 0xff800000
	s_and_saveexec_b64 s[4:5], vcc
	s_cbranch_execz .LBB18_309
; %bb.302:
	v_cmp_ngt_f32_e32 vcc, 0, v7
	v_mov_b32_e32 v11, 0x7fc00000
	s_and_saveexec_b64 s[8:9], vcc
	s_cbranch_execz .LBB18_308
; %bb.303:
	v_mul_f32_e32 v6, v7, v7
	s_mov_b32 s0, 0x3727c5ac
	v_mul_f32_e32 v24, 0, v6
	v_cmp_ngt_f32_e32 vcc, s0, v7
                                        ; implicit-def: $vgpr3
	s_and_saveexec_b64 s[0:1], vcc
	s_xor_b64 s[0:1], exec, s[0:1]
	s_cbranch_execz .LBB18_305
; %bb.304:
	v_add_f32_e32 v3, 0x43f9c815, v24
	v_fmaak_f32 v3, v6, v3, 0x4829b65a
	v_fmaak_f32 v3, v6, v3, 0x4c38c9a1
	;; [unrolled: 1-line block ×3, first 2 shown]
	s_mov_b32 s10, 0xcf8ee29d
	v_mul_f32_e32 v25, v6, v3
	s_mov_b32 s11, 0x53f5f59c
	v_pk_add_f32 v[26:27], v[24:25], s[10:11]
	s_mov_b32 s10, 0x53e3ba8e
	s_mov_b32 s11, 0x578d3514
	v_pk_fma_f32 v[26:27], v[6:7], v[26:27], s[10:11] op_sel_hi:[0,1,1]
	s_mov_b32 s10, 0xd762b0a7
	s_mov_b32 s11, 0x5ae20a0c
	v_pk_fma_f32 v[26:27], v[6:7], v[26:27], s[10:11] op_sel_hi:[0,1,1]
	;; [unrolled: 3-line block ×3, first 2 shown]
	s_mov_b32 s10, 0xc0b90fdc
	s_mov_b32 s11, 0xc1f3c525
	v_pk_add_f32 v[28:29], v[6:7], s[10:11] op_sel_hi:[0,1]
	v_mul_f32_e32 v3, v28, v29
	v_mul_f32_e32 v3, v3, v26
	v_div_scale_f32 v5, s[10:11], v27, v27, v3
	v_rcp_f32_e32 v11, v5
	s_nop 0
	v_fma_f32 v25, -v5, v11, 1.0
	v_fmac_f32_e32 v11, v25, v11
	v_div_scale_f32 v25, vcc, v3, v27, v3
	v_mul_f32_e32 v26, v25, v11
	v_fma_f32 v28, -v5, v26, v25
	v_fmac_f32_e32 v26, v28, v11
	v_fma_f32 v5, -v5, v26, v25
	v_div_fmas_f32 v5, v5, v11, v26
	v_div_fixup_f32 v3, v5, v27, v3
.LBB18_305:
	s_andn2_saveexec_b64 s[0:1], s[0:1]
; %bb.306:
	v_mov_b32_e32 v3, 1.0
	v_fmamk_f32 v3, v6, 0xbe800000, v3
; %bb.307:
	s_or_b64 exec, exec, s[0:1]
	v_add_f32_e32 v5, 0x4673a1bf, v24
	v_fmaak_f32 v5, v6, v5, 0xcb5fc0fa
	v_add_f32_e32 v11, 0x44822913, v24
	v_fmaak_f32 v5, v6, v5, 0x4fa1fbc8
	v_fmaak_f32 v11, v6, v11, 0x4918dbb5
	;; [unrolled: 1-line block ×12, first 2 shown]
	v_div_scale_f32 v6, s[0:1], v11, v11, v5
	v_rcp_f32_e32 v24, v6
	s_mov_b32 s0, 0x800000
	v_cmp_gt_f32_e64 s[0:1], s0, v7
	s_mov_b32 s10, 0x3f317217
	v_fma_f32 v25, -v6, v24, 1.0
	v_fmac_f32_e32 v24, v25, v24
	v_div_scale_f32 v25, vcc, v5, v11, v5
	v_mul_f32_e32 v26, v25, v24
	v_fma_f32 v27, -v6, v26, v25
	v_fmac_f32_e32 v26, v27, v24
	v_fma_f32 v6, -v6, v26, v25
	v_mov_b32_e32 v25, 0x4f800000
	v_cndmask_b32_e64 v25, 1.0, v25, s[0:1]
	v_mul_f32_e32 v7, v7, v25
	v_log_f32_e32 v7, v7
	v_div_fmas_f32 v6, v6, v24, v26
	v_div_fixup_f32 v11, v6, v11, v5
	v_mul_f32_e32 v5, 0x3f317217, v7
	v_fma_f32 v6, v7, s10, -v5
	v_fmamk_f32 v6, v7, 0x3377d1cf, v6
	s_mov_b32 s10, 0x7f800000
	v_add_f32_e32 v5, v5, v6
	v_cmp_lt_f32_e64 vcc, |v7|, s10
	v_mov_b32_e32 v6, 0x41b17218
	v_cndmask_b32_e64 v6, 0, v6, s[0:1]
	v_cndmask_b32_e32 v5, v7, v5, vcc
	v_sub_f32_e32 v5, v5, v6
	v_mul_f32_e32 v5, 0x3f22f983, v5
	v_fmac_f32_e32 v11, v5, v3
.LBB18_308:
	s_or_b64 exec, exec, s[8:9]
.LBB18_309:
	s_or_b64 exec, exec, s[4:5]
                                        ; implicit-def: $vgpr6_vgpr7
.LBB18_310:
	s_andn2_saveexec_b64 s[8:9], s[2:3]
	s_cbranch_execz .LBB18_320
; %bb.311:
	v_add_f32_e32 v3, 0xbf490fdb, v7
	v_and_b32_e32 v5, 0x7fffffff, v3
	s_brev_b32 s0, 18
	v_cmp_nlt_f32_e64 s[10:11], |v3|, s0
	v_lshrrev_b32_e32 v26, 23, v5
                                        ; implicit-def: $vgpr6
                                        ; implicit-def: $vgpr11
	s_and_saveexec_b64 s[0:1], s[10:11]
	s_xor_b64 s[12:13], exec, s[0:1]
	s_cbranch_execz .LBB18_313
; %bb.312:
	v_add_u32_e32 v6, 0xffffff88, v26
	v_not_b32_e32 v11, 63
	v_cmp_lt_u32_e32 vcc, 63, v6
	s_mov_b32 s4, 0xfe5163ab
	v_mov_b32_e32 v25, 0
	v_cndmask_b32_e32 v11, 0, v11, vcc
	v_add_u32_e32 v6, v11, v6
	v_not_b32_e32 v11, 31
	v_cmp_lt_u32_e64 s[0:1], 31, v6
	s_nop 1
	v_cndmask_b32_e64 v24, 0, v11, s[0:1]
	v_add_u32_e32 v6, v24, v6
	v_cmp_lt_u32_e64 s[2:3], 31, v6
	s_nop 1
	v_cndmask_b32_e64 v11, 0, v11, s[2:3]
	v_add_u32_e32 v6, v11, v6
	v_and_b32_e32 v11, 0x7fffff, v5
	v_or_b32_e32 v11, 0x800000, v11
	v_mad_u64_u32 v[28:29], s[4:5], v11, s4, 0
	v_mov_b32_e32 v24, v29
	s_mov_b32 s4, 0x3c439041
	v_mad_u64_u32 v[30:31], s[4:5], v11, s4, v[24:25]
	v_mov_b32_e32 v24, v31
	s_mov_b32 s4, 0xdb629599
	;; [unrolled: 3-line block ×6, first 2 shown]
	v_mad_u64_u32 v[24:25], s[4:5], v11, s4, v[24:25]
	v_cndmask_b32_e32 v27, v38, v34, vcc
	v_cndmask_b32_e32 v11, v24, v36, vcc
	;; [unrolled: 1-line block ×3, first 2 shown]
	v_cndmask_b32_e64 v24, v11, v27, s[0:1]
	v_cndmask_b32_e64 v11, v25, v11, s[0:1]
	v_cndmask_b32_e32 v25, v36, v32, vcc
	v_cndmask_b32_e64 v27, v27, v25, s[0:1]
	v_cndmask_b32_e64 v11, v11, v24, s[2:3]
	;; [unrolled: 1-line block ×3, first 2 shown]
	v_sub_u32_e32 v29, 32, v6
	v_alignbit_b32 v31, v11, v24, v29
	v_cmp_eq_u32_e64 s[4:5], 0, v6
	v_cndmask_b32_e32 v28, v32, v28, vcc
	s_nop 0
	v_cndmask_b32_e64 v6, v31, v11, s[4:5]
	v_cndmask_b32_e32 v11, v34, v30, vcc
	v_cndmask_b32_e64 v25, v25, v11, s[0:1]
	v_cndmask_b32_e64 v27, v27, v25, s[2:3]
	v_alignbit_b32 v30, v24, v27, v29
	v_cndmask_b32_e64 v24, v30, v24, s[4:5]
	v_bfe_u32 v33, v6, 29, 1
	v_cndmask_b32_e64 v11, v11, v28, s[0:1]
	v_alignbit_b32 v30, v6, v24, 30
	v_sub_u32_e32 v34, 0, v33
	v_cndmask_b32_e64 v11, v25, v11, s[2:3]
	v_xor_b32_e32 v35, v30, v34
	v_alignbit_b32 v25, v27, v11, v29
	v_cndmask_b32_e64 v25, v25, v27, s[4:5]
	v_ffbh_u32_e32 v27, v35
	v_add_u32_e32 v27, 1, v27
	v_cmp_ne_u32_e32 vcc, v30, v34
	v_alignbit_b32 v24, v24, v25, 30
	v_alignbit_b32 v11, v25, v11, 30
	v_cndmask_b32_e32 v27, 33, v27, vcc
	v_xor_b32_e32 v24, v24, v34
	v_sub_u32_e32 v28, 32, v27
	v_xor_b32_e32 v11, v11, v34
	v_alignbit_b32 v29, v35, v24, v28
	v_alignbit_b32 v11, v24, v11, v28
	v_alignbit_b32 v24, v29, v11, 9
	v_ffbh_u32_e32 v25, v24
	v_min_u32_e32 v25, 32, v25
	v_lshrrev_b32_e32 v31, 29, v6
	v_sub_u32_e32 v28, 31, v25
	v_alignbit_b32 v11, v24, v11, v28
	v_lshlrev_b32_e32 v24, 31, v31
	v_or_b32_e32 v28, 0x33800000, v24
	v_add_lshl_u32 v25, v25, v27, 23
	v_lshrrev_b32_e32 v11, 9, v11
	v_sub_u32_e32 v25, v28, v25
	v_or_b32_e32 v11, v25, v11
	v_alignbit_b32 v25, v27, v29, 9
	v_or_b32_e32 v24, v25, v24
	v_xor_b32_e32 v24, 1.0, v24
	s_mov_b32 s0, 0x3fc90fda
	v_mul_f32_e32 v25, 0x3fc90fda, v24
	v_fma_f32 v27, v24, s0, -v25
	v_fmamk_f32 v24, v24, 0x33a22168, v27
	v_fmac_f32_e32 v24, 0x3fc90fda, v11
	v_lshrrev_b32_e32 v6, 30, v6
	v_add_f32_e32 v11, v25, v24
	v_add_u32_e32 v6, v33, v6
	s_andn2_saveexec_b64 s[0:1], s[12:13]
	s_branch .LBB18_314
.LBB18_313:
	s_andn2_saveexec_b64 s[0:1], s[12:13]
.LBB18_314:
	s_mov_b32 s2, 0x3f22f983
	v_mul_f32_e64 v6, |v3|, s2
	v_rndne_f32_e32 v11, v6
	s_mov_b32 s2, 0xbfc90fda
	v_cvt_i32_f32_e32 v6, v11
	v_fma_f32 v24, v11, s2, |v3|
	v_fmamk_f32 v24, v11, 0xb3a22168, v24
	v_fmamk_f32 v11, v11, 0xa7c234c4, v24
; %bb.315:
	s_or_b64 exec, exec, s[0:1]
                                        ; implicit-def: $vgpr24
                                        ; implicit-def: $vgpr25
	s_and_saveexec_b64 s[0:1], s[10:11]
	s_xor_b64 s[10:11], exec, s[0:1]
	s_cbranch_execz .LBB18_317
; %bb.316:
	v_add_u32_e32 v24, 0xffffff88, v26
	v_not_b32_e32 v26, 63
	v_cmp_lt_u32_e32 vcc, 63, v24
	s_mov_b32 s4, 0xfe5163ab
	v_mov_b32_e32 v25, 0
	v_cndmask_b32_e32 v26, 0, v26, vcc
	v_add_u32_e32 v24, v26, v24
	v_not_b32_e32 v26, 31
	v_cmp_lt_u32_e64 s[0:1], 31, v24
	s_nop 1
	v_cndmask_b32_e64 v27, 0, v26, s[0:1]
	v_add_u32_e32 v24, v27, v24
	v_cmp_lt_u32_e64 s[2:3], 31, v24
	s_nop 1
	v_cndmask_b32_e64 v26, 0, v26, s[2:3]
	v_add_u32_e32 v38, v26, v24
	v_and_b32_e32 v24, 0x7fffff, v5
	v_or_b32_e32 v39, 0x800000, v24
	v_mad_u64_u32 v[26:27], s[4:5], v39, s4, 0
	v_mov_b32_e32 v24, v27
	s_mov_b32 s4, 0x3c439041
	v_mad_u64_u32 v[28:29], s[4:5], v39, s4, v[24:25]
	v_mov_b32_e32 v24, v29
	s_mov_b32 s4, 0xdb629599
	;; [unrolled: 3-line block ×6, first 2 shown]
	v_mad_u64_u32 v[24:25], s[4:5], v39, s4, v[24:25]
	v_cndmask_b32_e32 v27, v36, v32, vcc
	v_cndmask_b32_e32 v24, v24, v34, vcc
	;; [unrolled: 1-line block ×3, first 2 shown]
	v_cndmask_b32_e64 v29, v24, v27, s[0:1]
	v_cndmask_b32_e64 v24, v25, v24, s[0:1]
	v_cndmask_b32_e32 v25, v34, v30, vcc
	v_cndmask_b32_e64 v27, v27, v25, s[0:1]
	v_cndmask_b32_e32 v28, v32, v28, vcc
	v_cndmask_b32_e64 v24, v24, v29, s[2:3]
	v_cndmask_b32_e64 v29, v29, v27, s[2:3]
	v_sub_u32_e32 v31, 32, v38
	v_cndmask_b32_e64 v25, v25, v28, s[0:1]
	v_alignbit_b32 v33, v24, v29, v31
	v_cmp_eq_u32_e64 s[4:5], 0, v38
	v_cndmask_b32_e64 v27, v27, v25, s[2:3]
	v_alignbit_b32 v32, v29, v27, v31
	v_cndmask_b32_e64 v24, v33, v24, s[4:5]
	v_cndmask_b32_e64 v29, v32, v29, s[4:5]
	v_bfe_u32 v34, v24, 29, 1
	v_cndmask_b32_e32 v26, v30, v26, vcc
	v_alignbit_b32 v32, v24, v29, 30
	v_sub_u32_e32 v35, 0, v34
	v_cndmask_b32_e64 v26, v28, v26, s[0:1]
	v_xor_b32_e32 v36, v32, v35
	v_cndmask_b32_e64 v25, v25, v26, s[2:3]
	v_alignbit_b32 v26, v27, v25, v31
	v_ffbh_u32_e32 v28, v36
	v_cndmask_b32_e64 v26, v26, v27, s[4:5]
	v_add_u32_e32 v28, 1, v28
	v_cmp_ne_u32_e32 vcc, v32, v35
	v_alignbit_b32 v27, v29, v26, 30
	v_alignbit_b32 v25, v26, v25, 30
	v_cndmask_b32_e32 v28, 33, v28, vcc
	v_xor_b32_e32 v27, v27, v35
	v_sub_u32_e32 v29, 32, v28
	v_xor_b32_e32 v25, v25, v35
	v_alignbit_b32 v30, v36, v27, v29
	v_alignbit_b32 v25, v27, v25, v29
	;; [unrolled: 1-line block ×3, first 2 shown]
	v_ffbh_u32_e32 v27, v26
	v_min_u32_e32 v27, 32, v27
	v_lshrrev_b32_e32 v33, 29, v24
	v_sub_u32_e32 v29, 31, v27
	v_alignbit_b32 v25, v26, v25, v29
	v_lshlrev_b32_e32 v26, 31, v33
	v_or_b32_e32 v29, 0x33800000, v26
	v_add_lshl_u32 v27, v27, v28, 23
	v_lshrrev_b32_e32 v25, 9, v25
	v_sub_u32_e32 v27, v29, v27
	v_or_b32_e32 v25, v27, v25
	v_alignbit_b32 v27, v28, v30, 9
	v_or_b32_e32 v26, v27, v26
	v_xor_b32_e32 v26, 1.0, v26
	s_mov_b32 s0, 0x3fc90fda
	v_mul_f32_e32 v27, 0x3fc90fda, v26
	v_fma_f32 v28, v26, s0, -v27
	v_fmamk_f32 v26, v26, 0x33a22168, v28
	v_fmac_f32_e32 v26, 0x3fc90fda, v25
	v_lshrrev_b32_e32 v24, 30, v24
	v_add_f32_e32 v25, v27, v26
	v_add_u32_e32 v24, v34, v24
	s_andn2_saveexec_b64 s[0:1], s[10:11]
	s_cbranch_execnz .LBB18_318
	s_branch .LBB18_319
.LBB18_317:
	s_andn2_saveexec_b64 s[0:1], s[10:11]
.LBB18_318:
	s_mov_b32 s2, 0x3f22f983
	v_mul_f32_e64 v24, |v3|, s2
	v_rndne_f32_e32 v25, v24
	s_mov_b32 s2, 0xbfc90fda
	v_cvt_i32_f32_e32 v24, v25
	v_fma_f32 v26, v25, s2, |v3|
	v_fmamk_f32 v26, v25, 0xb3a22168, v26
	v_fmamk_f32 v25, v25, 0xa7c234c4, v26
.LBB18_319:
	s_or_b64 exec, exec, s[0:1]
	v_mul_f32_e32 v26, v7, v7
	s_mov_b32 s2, 0x41c80000
	v_div_scale_f32 v27, s[0:1], v26, v26, s2
	v_rcp_f32_e32 v28, v27
	v_xor_b32_e32 v5, v5, v3
	s_mov_b32 s4, 0x40a00000
	v_mov_b32_e32 v35, 0xbf000004
	v_fma_f32 v29, -v27, v28, 1.0
	v_fmac_f32_e32 v28, v29, v28
	v_div_scale_f32 v29, vcc, s2, v26, s2
	v_mul_f32_e32 v30, v29, v28
	v_fma_f32 v31, -v27, v30, v29
	v_fmac_f32_e32 v30, v31, v28
	v_fma_f32 v27, -v27, v30, v29
	v_div_fmas_f32 v27, v27, v28, v30
	v_div_fixup_f32 v26, v27, v26, s2
	v_mov_b32_e32 v27, 0x3a50e985
	v_mov_b32_e32 v28, 0x3a725406
	v_fmac_f32_e32 v27, 0, v26
	v_fmac_f32_e32 v28, 0, v26
	v_fmaak_f32 v27, v26, v27, 0x3da9a586
	v_fmaak_f32 v28, v26, v28, 0x3daf5e2d
	;; [unrolled: 1-line block ×8, first 2 shown]
	v_mov_b32_e32 v29, 0xbc3a3a12
	v_fmaak_f32 v27, v26, v27, 0x40a9b425
	v_fmaak_f32 v28, v26, v28, 0x40a9cb2f
	v_fmac_f32_e32 v29, 0, v26
	v_mov_b32_e32 v30, 0x4280a2ba
	v_fma_f32 v28, v26, v28, 1.0
	v_fmaak_f32 v29, v26, v29, 0xbfa429da
	v_fmac_f32_e32 v30, 0, v26
	v_fma_f32 v27, v26, v27, 1.0
	v_fmaak_f32 v29, v26, v29, 0xc19c6e80
	v_fmaak_f32 v30, v26, v30, 0x44561b86
	v_div_scale_f32 v31, s[0:1], v28, v28, v27
	v_fmaak_f32 v29, v26, v29, 0xc2ba697b
	v_fmaak_f32 v30, v26, v30, 0x4572a66e
	v_rcp_f32_e32 v32, v31
	v_fmaak_f32 v29, v26, v29, 0xc331ae61
	v_fmaak_f32 v30, v26, v30, 0x45e243be
	;; [unrolled: 1-line block ×8, first 2 shown]
	v_fma_f32 v30, -v31, v32, 1.0
	v_fmac_f32_e32 v32, v30, v32
	v_div_scale_f32 v30, vcc, v27, v28, v27
	v_mul_f32_e32 v33, v30, v32
	v_fma_f32 v34, -v31, v33, v30
	v_fmac_f32_e32 v33, v34, v32
	v_fma_f32 v30, -v31, v33, v30
	v_div_fmas_f32 v30, v30, v32, v33
	v_div_fixup_f32 v27, v30, v28, v27
	v_mul_f32_e32 v28, v11, v11
	v_mov_b32_e32 v30, 0x3c0881c4
	v_fmamk_f32 v31, v28, 0xb94c1982, v30
	v_fmaak_f32 v31, v28, v31, 0xbe2aaa9d
	v_mul_f32_e32 v31, v28, v31
	v_fmac_f32_e32 v11, v11, v31
	v_mov_b32_e32 v31, 0xbab64f3b
	v_fmamk_f32 v33, v28, 0x37d75334, v31
	v_fmaak_f32 v33, v28, v33, 0x3d2aabf7
	v_fmaak_f32 v33, v28, v33, 0xbf000004
	v_fma_f32 v28, v28, v33, 1.0
	v_and_b32_e32 v33, 1, v6
	v_lshlrev_b32_e32 v6, 30, v6
	v_cmp_eq_u32_e32 vcc, 0, v33
	v_and_b32_e32 v6, 0x80000000, v6
	v_xor_b32_e32 v5, v5, v6
	v_cndmask_b32_e32 v11, v28, v11, vcc
	v_div_scale_f32 v6, s[0:1], v7, v7, s4
	v_xor_b32_e32 v5, v5, v11
	v_rcp_f32_e32 v11, v6
	s_movk_i32 s2, 0x1f8
	v_mov_b32_e32 v28, 0x7fc00000
	v_cmp_class_f32_e64 s[0:1], v3, s2
	v_mov_b32_e32 v32, 0xbe2aaa9d
	v_mov_b32_e32 v34, 0x3d2aabf7
	v_cndmask_b32_e64 v3, v28, v5, s[0:1]
	v_fma_f32 v5, -v6, v11, 1.0
	v_fmac_f32_e32 v11, v5, v11
	v_div_scale_f32 v5, vcc, s4, v7, s4
	v_mul_f32_e32 v33, v5, v11
	v_fma_f32 v36, -v6, v33, v5
	v_fmac_f32_e32 v33, v36, v11
	v_fma_f32 v5, -v6, v33, v5
	v_div_scale_f32 v6, s[2:3], v26, v26, v29
	v_rcp_f32_e32 v36, v6
	v_div_fmas_f32 v5, v5, v11, v33
	v_div_fixup_f32 v5, v5, v7, s4
	v_fma_f32 v11, -v6, v36, 1.0
	v_fmac_f32_e32 v36, v11, v36
	v_div_scale_f32 v11, vcc, v29, v26, v29
	v_mul_f32_e32 v33, v11, v36
	v_fma_f32 v37, -v6, v33, v11
	v_fmac_f32_e32 v33, v37, v36
	v_fma_f32 v6, -v6, v33, v11
	v_div_fmas_f32 v6, v6, v36, v33
	v_div_fixup_f32 v6, v6, v26, v29
	v_mul_f32_e32 v5, v5, v6
	v_mul_f32_e32 v6, v25, v25
	v_fmac_f32_e32 v30, 0xb94c1982, v6
	v_fmac_f32_e32 v32, v6, v30
	v_fmac_f32_e32 v31, 0x37d75334, v6
	v_mul_f32_e32 v11, v6, v32
	v_fmac_f32_e32 v34, v6, v31
	v_fmac_f32_e32 v25, v25, v11
	;; [unrolled: 1-line block ×3, first 2 shown]
	v_and_b32_e32 v11, 1, v24
	v_fma_f32 v6, v6, v35, 1.0
	v_cmp_eq_u32_e32 vcc, 0, v11
	v_lshlrev_b32_e32 v11, 30, v24
	v_and_b32_e32 v11, 0x80000000, v11
	v_cndmask_b32_e64 v6, -v25, v6, vcc
	v_xor_b32_e32 v6, v11, v6
	v_cndmask_b32_e64 v6, v28, v6, s[0:1]
	s_mov_b32 s0, 0xf800000
	v_mul_f32_e32 v11, 0x4f800000, v7
	v_cmp_gt_f32_e32 vcc, s0, v7
	v_mul_f32_e32 v5, v5, v6
	v_fmac_f32_e32 v5, v27, v3
	v_cndmask_b32_e32 v7, v7, v11, vcc
	v_sqrt_f32_e32 v11, v7
	v_mul_f32_e32 v3, 0x3f4c422a, v5
	v_add_u32_e32 v5, -1, v11
	v_fma_f32 v6, -v5, v11, v7
	v_cmp_ge_f32_e64 s[0:1], 0, v6
	v_add_u32_e32 v6, 1, v11
	s_nop 0
	v_cndmask_b32_e64 v5, v11, v5, s[0:1]
	v_fma_f32 v11, -v6, v11, v7
	v_cmp_lt_f32_e64 s[0:1], 0, v11
	s_nop 1
	v_cndmask_b32_e64 v5, v5, v6, s[0:1]
	v_mul_f32_e32 v6, 0x37800000, v5
	v_cndmask_b32_e32 v5, v5, v6, vcc
	v_mov_b32_e32 v6, 0x260
	v_cmp_class_f32_e32 vcc, v7, v6
	s_nop 1
	v_cndmask_b32_e32 v5, v5, v7, vcc
	v_div_scale_f32 v6, s[0:1], v5, v5, v3
	v_rcp_f32_e32 v7, v6
	s_nop 0
	v_fma_f32 v11, -v6, v7, 1.0
	v_fmac_f32_e32 v7, v11, v7
	v_div_scale_f32 v11, vcc, v3, v5, v3
	v_mul_f32_e32 v24, v11, v7
	v_fma_f32 v25, -v6, v24, v11
	v_fmac_f32_e32 v24, v25, v7
	v_fma_f32 v6, -v6, v24, v11
	v_div_fmas_f32 v6, v6, v7, v24
	v_div_fixup_f32 v11, v6, v5, v3
.LBB18_320:
	s_or_b64 exec, exec, s[8:9]
	v_lshl_add_u64 v[0:1], s[6:7], 2, v[0:1]
	v_mov_b32_e32 v3, 0
	v_lshl_add_u64 v[6:7], v[0:1], 0, v[2:3]
	flat_store_dwordx2 v[6:7], v[8:9]
	flat_store_dwordx2 v[6:7], v[12:13] offset:2048
	v_add_co_u32_e32 v8, vcc, 0x1000, v6
	v_mov_b32_e32 v5, v3
	s_nop 0
	v_addc_co_u32_e32 v9, vcc, 0, v7, vcc
	v_lshl_add_u64 v[0:1], v[0:1], 0, v[4:5]
	flat_store_dwordx2 v[8:9], v[16:17]
	flat_store_dwordx2 v[8:9], v[20:21] offset:2048
	flat_store_dwordx2 v[0:1], v[22:23]
	v_add_co_u32_e32 v0, vcc, 0x2000, v6
	s_nop 1
	v_addc_co_u32_e32 v1, vcc, 0, v7, vcc
	flat_store_dwordx2 v[0:1], v[18:19] offset:2048
	v_add_co_u32_e32 v0, vcc, 0x3000, v6
	s_nop 1
	v_addc_co_u32_e32 v1, vcc, 0, v7, vcc
	flat_store_dwordx2 v[0:1], v[14:15]
	flat_store_dwordx2 v[0:1], v[10:11] offset:2048
	s_waitcnt vmcnt(0) lgkmcnt(0)
	s_setpc_b64 s[30:31]
.Lfunc_end18:
	.size	_ZN2at6native25elementwise_kernel_helperILb0EZZZNS0_12_GLOBAL__N_121bessel_y0_kernel_cudaERNS_18TensorIteratorBaseEENKUlvE_clEvENKUlvE0_clEvEUlfE_NS0_6memory8policies10vectorizedILi2ESt5arrayIPcLm2EELi16EEEEEvT0_T1_, .Lfunc_end18-_ZN2at6native25elementwise_kernel_helperILb0EZZZNS0_12_GLOBAL__N_121bessel_y0_kernel_cudaERNS_18TensorIteratorBaseEENKUlvE_clEvENKUlvE0_clEvEUlfE_NS0_6memory8policies10vectorizedILi2ESt5arrayIPcLm2EELi16EEEEEvT0_T1_
                                        ; -- End function
	.section	.AMDGPU.csdata,"",@progbits
; Function info:
; codeLenInByte = 50540
; NumSgprs: 38
; NumVgprs: 40
; NumAgprs: 0
; TotalNumVgprs: 40
; ScratchSize: 0
; MemoryBound: 0
	.section	.text._ZN2at6native29vectorized_elementwise_kernelILi2EZZZNS0_12_GLOBAL__N_121bessel_y0_kernel_cudaERNS_18TensorIteratorBaseEENKUlvE_clEvENKUlvE0_clEvEUlfE_St5arrayIPcLm2EEEEviT0_T1_,"axG",@progbits,_ZN2at6native29vectorized_elementwise_kernelILi2EZZZNS0_12_GLOBAL__N_121bessel_y0_kernel_cudaERNS_18TensorIteratorBaseEENKUlvE_clEvENKUlvE0_clEvEUlfE_St5arrayIPcLm2EEEEviT0_T1_,comdat
	.globl	_ZN2at6native29vectorized_elementwise_kernelILi2EZZZNS0_12_GLOBAL__N_121bessel_y0_kernel_cudaERNS_18TensorIteratorBaseEENKUlvE_clEvENKUlvE0_clEvEUlfE_St5arrayIPcLm2EEEEviT0_T1_ ; -- Begin function _ZN2at6native29vectorized_elementwise_kernelILi2EZZZNS0_12_GLOBAL__N_121bessel_y0_kernel_cudaERNS_18TensorIteratorBaseEENKUlvE_clEvENKUlvE0_clEvEUlfE_St5arrayIPcLm2EEEEviT0_T1_
	.p2align	8
	.type	_ZN2at6native29vectorized_elementwise_kernelILi2EZZZNS0_12_GLOBAL__N_121bessel_y0_kernel_cudaERNS_18TensorIteratorBaseEENKUlvE_clEvENKUlvE0_clEvEUlfE_St5arrayIPcLm2EEEEviT0_T1_,@function
_ZN2at6native29vectorized_elementwise_kernelILi2EZZZNS0_12_GLOBAL__N_121bessel_y0_kernel_cudaERNS_18TensorIteratorBaseEENKUlvE_clEvENKUlvE0_clEvEUlfE_St5arrayIPcLm2EEEEviT0_T1_: ; @_ZN2at6native29vectorized_elementwise_kernelILi2EZZZNS0_12_GLOBAL__N_121bessel_y0_kernel_cudaERNS_18TensorIteratorBaseEENKUlvE_clEvENKUlvE0_clEvEUlfE_St5arrayIPcLm2EEEEviT0_T1_
; %bb.0:
	s_mov_b32 s14, s2
	s_load_dword s2, s[0:1], 0x0
	s_load_dwordx4 s[16:19], s[0:1], 0x8
	s_lshl_b32 s0, s14, 12
	v_mov_b32_e32 v40, v0
	s_mov_b32 s32, 0
	s_waitcnt lgkmcnt(0)
	s_sub_i32 s15, s2, s0
	s_cmpk_gt_i32 s15, 0xfff
	s_mov_b64 s[0:1], -1
	s_cbranch_scc1 .LBB19_3
; %bb.1:
	s_andn2_b64 vcc, exec, s[0:1]
	s_cbranch_vccz .LBB19_4
.LBB19_2:
	s_endpgm
.LBB19_3:
	s_mov_b32 s12, s14
	v_mov_b32_e32 v31, v40
	v_mov_b32_e32 v0, s16
	;; [unrolled: 1-line block ×5, first 2 shown]
	s_getpc_b64 s[0:1]
	s_add_u32 s0, s0, _ZN2at6native25elementwise_kernel_helperILb0EZZZNS0_12_GLOBAL__N_121bessel_y0_kernel_cudaERNS_18TensorIteratorBaseEENKUlvE_clEvENKUlvE0_clEvEUlfE_NS0_6memory8policies10vectorizedILi2ESt5arrayIPcLm2EELi16EEEEEvT0_T1_@rel32@lo+4
	s_addc_u32 s1, s1, _ZN2at6native25elementwise_kernel_helperILb0EZZZNS0_12_GLOBAL__N_121bessel_y0_kernel_cudaERNS_18TensorIteratorBaseEENKUlvE_clEvENKUlvE0_clEvEUlfE_NS0_6memory8policies10vectorizedILi2ESt5arrayIPcLm2EELi16EEEEEvT0_T1_@rel32@hi+12
	s_swappc_b64 s[30:31], s[0:1]
	s_cbranch_execnz .LBB19_2
.LBB19_4:
	s_mov_b32 s12, s14
	v_mov_b32_e32 v31, v40
	v_mov_b32_e32 v0, s16
	;; [unrolled: 1-line block ×6, first 2 shown]
	s_getpc_b64 s[0:1]
	s_add_u32 s0, s0, _ZN2at6native25elementwise_kernel_helperILb0EZZZNS0_12_GLOBAL__N_121bessel_y0_kernel_cudaERNS_18TensorIteratorBaseEENKUlvE_clEvENKUlvE0_clEvEUlfE_NS0_6memory8policies11unroll_baseILi256ESt5arrayIPcLm2EE23TrivialOffsetCalculatorILi1EjESF_NS8_15LoadWithoutCastENS8_16StoreWithoutCastELi16ELi1EEEEEvT0_T1_@rel32@lo+4
	s_addc_u32 s1, s1, _ZN2at6native25elementwise_kernel_helperILb0EZZZNS0_12_GLOBAL__N_121bessel_y0_kernel_cudaERNS_18TensorIteratorBaseEENKUlvE_clEvENKUlvE0_clEvEUlfE_NS0_6memory8policies11unroll_baseILi256ESt5arrayIPcLm2EE23TrivialOffsetCalculatorILi1EjESF_NS8_15LoadWithoutCastENS8_16StoreWithoutCastELi16ELi1EEEEEvT0_T1_@rel32@hi+12
	s_swappc_b64 s[30:31], s[0:1]
	s_endpgm
	.section	.rodata,"a",@progbits
	.p2align	6, 0x0
	.amdhsa_kernel _ZN2at6native29vectorized_elementwise_kernelILi2EZZZNS0_12_GLOBAL__N_121bessel_y0_kernel_cudaERNS_18TensorIteratorBaseEENKUlvE_clEvENKUlvE0_clEvEUlfE_St5arrayIPcLm2EEEEviT0_T1_
		.amdhsa_group_segment_fixed_size 0
		.amdhsa_private_segment_fixed_size 0
		.amdhsa_kernarg_size 24
		.amdhsa_user_sgpr_count 2
		.amdhsa_user_sgpr_dispatch_ptr 0
		.amdhsa_user_sgpr_queue_ptr 0
		.amdhsa_user_sgpr_kernarg_segment_ptr 1
		.amdhsa_user_sgpr_dispatch_id 0
		.amdhsa_user_sgpr_kernarg_preload_length 0
		.amdhsa_user_sgpr_kernarg_preload_offset 0
		.amdhsa_user_sgpr_private_segment_size 0
		.amdhsa_uses_dynamic_stack 0
		.amdhsa_enable_private_segment 0
		.amdhsa_system_sgpr_workgroup_id_x 1
		.amdhsa_system_sgpr_workgroup_id_y 0
		.amdhsa_system_sgpr_workgroup_id_z 0
		.amdhsa_system_sgpr_workgroup_info 0
		.amdhsa_system_vgpr_workitem_id 0
		.amdhsa_next_free_vgpr 50
		.amdhsa_next_free_sgpr 33
		.amdhsa_accum_offset 52
		.amdhsa_reserve_vcc 1
		.amdhsa_float_round_mode_32 0
		.amdhsa_float_round_mode_16_64 0
		.amdhsa_float_denorm_mode_32 3
		.amdhsa_float_denorm_mode_16_64 3
		.amdhsa_dx10_clamp 1
		.amdhsa_ieee_mode 1
		.amdhsa_fp16_overflow 0
		.amdhsa_tg_split 0
		.amdhsa_exception_fp_ieee_invalid_op 0
		.amdhsa_exception_fp_denorm_src 0
		.amdhsa_exception_fp_ieee_div_zero 0
		.amdhsa_exception_fp_ieee_overflow 0
		.amdhsa_exception_fp_ieee_underflow 0
		.amdhsa_exception_fp_ieee_inexact 0
		.amdhsa_exception_int_div_zero 0
	.end_amdhsa_kernel
	.section	.text._ZN2at6native29vectorized_elementwise_kernelILi2EZZZNS0_12_GLOBAL__N_121bessel_y0_kernel_cudaERNS_18TensorIteratorBaseEENKUlvE_clEvENKUlvE0_clEvEUlfE_St5arrayIPcLm2EEEEviT0_T1_,"axG",@progbits,_ZN2at6native29vectorized_elementwise_kernelILi2EZZZNS0_12_GLOBAL__N_121bessel_y0_kernel_cudaERNS_18TensorIteratorBaseEENKUlvE_clEvENKUlvE0_clEvEUlfE_St5arrayIPcLm2EEEEviT0_T1_,comdat
.Lfunc_end19:
	.size	_ZN2at6native29vectorized_elementwise_kernelILi2EZZZNS0_12_GLOBAL__N_121bessel_y0_kernel_cudaERNS_18TensorIteratorBaseEENKUlvE_clEvENKUlvE0_clEvEUlfE_St5arrayIPcLm2EEEEviT0_T1_, .Lfunc_end19-_ZN2at6native29vectorized_elementwise_kernelILi2EZZZNS0_12_GLOBAL__N_121bessel_y0_kernel_cudaERNS_18TensorIteratorBaseEENKUlvE_clEvENKUlvE0_clEvEUlfE_St5arrayIPcLm2EEEEviT0_T1_
                                        ; -- End function
	.section	.AMDGPU.csdata,"",@progbits
; Kernel info:
; codeLenInByte = 172
; NumSgprs: 39
; NumVgprs: 50
; NumAgprs: 0
; TotalNumVgprs: 50
; ScratchSize: 0
; MemoryBound: 0
; FloatMode: 240
; IeeeMode: 1
; LDSByteSize: 0 bytes/workgroup (compile time only)
; SGPRBlocks: 4
; VGPRBlocks: 6
; NumSGPRsForWavesPerEU: 39
; NumVGPRsForWavesPerEU: 50
; AccumOffset: 52
; Occupancy: 8
; WaveLimiterHint : 1
; COMPUTE_PGM_RSRC2:SCRATCH_EN: 0
; COMPUTE_PGM_RSRC2:USER_SGPR: 2
; COMPUTE_PGM_RSRC2:TRAP_HANDLER: 0
; COMPUTE_PGM_RSRC2:TGID_X_EN: 1
; COMPUTE_PGM_RSRC2:TGID_Y_EN: 0
; COMPUTE_PGM_RSRC2:TGID_Z_EN: 0
; COMPUTE_PGM_RSRC2:TIDIG_COMP_CNT: 0
; COMPUTE_PGM_RSRC3_GFX90A:ACCUM_OFFSET: 12
; COMPUTE_PGM_RSRC3_GFX90A:TG_SPLIT: 0
	.section	.text._ZN2at6native27unrolled_elementwise_kernelIZZZNS0_12_GLOBAL__N_121bessel_y0_kernel_cudaERNS_18TensorIteratorBaseEENKUlvE_clEvENKUlvE0_clEvEUlfE_St5arrayIPcLm2EELi4E23TrivialOffsetCalculatorILi1EjESC_NS0_6memory15LoadWithoutCastENSD_16StoreWithoutCastEEEviT_T0_T2_T3_T4_T5_,"axG",@progbits,_ZN2at6native27unrolled_elementwise_kernelIZZZNS0_12_GLOBAL__N_121bessel_y0_kernel_cudaERNS_18TensorIteratorBaseEENKUlvE_clEvENKUlvE0_clEvEUlfE_St5arrayIPcLm2EELi4E23TrivialOffsetCalculatorILi1EjESC_NS0_6memory15LoadWithoutCastENSD_16StoreWithoutCastEEEviT_T0_T2_T3_T4_T5_,comdat
	.globl	_ZN2at6native27unrolled_elementwise_kernelIZZZNS0_12_GLOBAL__N_121bessel_y0_kernel_cudaERNS_18TensorIteratorBaseEENKUlvE_clEvENKUlvE0_clEvEUlfE_St5arrayIPcLm2EELi4E23TrivialOffsetCalculatorILi1EjESC_NS0_6memory15LoadWithoutCastENSD_16StoreWithoutCastEEEviT_T0_T2_T3_T4_T5_ ; -- Begin function _ZN2at6native27unrolled_elementwise_kernelIZZZNS0_12_GLOBAL__N_121bessel_y0_kernel_cudaERNS_18TensorIteratorBaseEENKUlvE_clEvENKUlvE0_clEvEUlfE_St5arrayIPcLm2EELi4E23TrivialOffsetCalculatorILi1EjESC_NS0_6memory15LoadWithoutCastENSD_16StoreWithoutCastEEEviT_T0_T2_T3_T4_T5_
	.p2align	8
	.type	_ZN2at6native27unrolled_elementwise_kernelIZZZNS0_12_GLOBAL__N_121bessel_y0_kernel_cudaERNS_18TensorIteratorBaseEENKUlvE_clEvENKUlvE0_clEvEUlfE_St5arrayIPcLm2EELi4E23TrivialOffsetCalculatorILi1EjESC_NS0_6memory15LoadWithoutCastENSD_16StoreWithoutCastEEEviT_T0_T2_T3_T4_T5_,@function
_ZN2at6native27unrolled_elementwise_kernelIZZZNS0_12_GLOBAL__N_121bessel_y0_kernel_cudaERNS_18TensorIteratorBaseEENKUlvE_clEvENKUlvE0_clEvEUlfE_St5arrayIPcLm2EELi4E23TrivialOffsetCalculatorILi1EjESC_NS0_6memory15LoadWithoutCastENSD_16StoreWithoutCastEEEviT_T0_T2_T3_T4_T5_: ; @_ZN2at6native27unrolled_elementwise_kernelIZZZNS0_12_GLOBAL__N_121bessel_y0_kernel_cudaERNS_18TensorIteratorBaseEENKUlvE_clEvENKUlvE0_clEvEUlfE_St5arrayIPcLm2EELi4E23TrivialOffsetCalculatorILi1EjESC_NS0_6memory15LoadWithoutCastENSD_16StoreWithoutCastEEEviT_T0_T2_T3_T4_T5_
; %bb.0:
	s_load_dword s3, s[0:1], 0x0
	s_load_dwordx4 s[8:11], s[0:1], 0x8
	s_lshl_b32 s18, s2, 10
	v_mov_b32_e32 v9, 0
	v_or_b32_e32 v6, s18, v0
	s_waitcnt lgkmcnt(0)
	s_sub_i32 s19, s3, s18
	v_cmp_gt_i32_e64 s[0:1], s19, v0
	v_mov_b32_e32 v8, 0
	v_mov_b32_e32 v2, v0
	s_and_saveexec_b64 s[2:3], s[0:1]
	s_cbranch_execz .LBB20_2
; %bb.1:
	v_mov_b32_e32 v7, 0
	v_lshl_add_u64 v[2:3], v[6:7], 2, s[10:11]
	global_load_dword v8, v[2:3], off
	v_or_b32_e32 v2, 0x100, v0
.LBB20_2:
	s_or_b64 exec, exec, s[2:3]
	v_cmp_gt_i32_e32 vcc, s19, v2
	s_and_saveexec_b64 s[2:3], vcc
	s_cbranch_execz .LBB20_4
; %bb.3:
	v_add_u32_e32 v4, s18, v2
	v_mov_b32_e32 v5, 0
	v_lshl_add_u64 v[4:5], v[4:5], 2, s[10:11]
	global_load_dword v9, v[4:5], off
	v_add_u32_e32 v2, 0x100, v2
.LBB20_4:
	s_or_b64 exec, exec, s[2:3]
	v_cmp_gt_i32_e32 vcc, s19, v2
	v_mov_b32_e32 v1, 0
	v_mov_b32_e32 v7, 0
	s_and_saveexec_b64 s[2:3], vcc
	s_cbranch_execz .LBB20_7
; %bb.5:
	v_add_u32_e32 v4, s18, v2
	v_mov_b32_e32 v5, 0
	v_lshl_add_u64 v[4:5], v[4:5], 2, s[10:11]
	global_load_dword v7, v[4:5], off
	v_add_u32_e32 v2, 0x100, v2
	s_or_b64 exec, exec, s[2:3]
	v_cmp_gt_i32_e32 vcc, s19, v2
	s_and_saveexec_b64 s[2:3], vcc
	s_cbranch_execnz .LBB20_8
.LBB20_6:
	s_or_b64 exec, exec, s[2:3]
                                        ; implicit-def: $vgpr2_vgpr3_vgpr4_vgpr5
	s_and_saveexec_b64 s[10:11], s[0:1]
	s_cbranch_execnz .LBB20_9
	s_branch .LBB20_30
.LBB20_7:
	s_or_b64 exec, exec, s[2:3]
	v_cmp_gt_i32_e32 vcc, s19, v2
	s_and_saveexec_b64 s[2:3], vcc
	s_cbranch_execz .LBB20_6
.LBB20_8:
	v_add_u32_e32 v2, s18, v2
	v_mov_b32_e32 v3, 0
	v_lshl_add_u64 v[2:3], v[2:3], 2, s[10:11]
	global_load_dword v1, v[2:3], off
	s_or_b64 exec, exec, s[2:3]
                                        ; implicit-def: $vgpr2_vgpr3_vgpr4_vgpr5
	s_and_saveexec_b64 s[10:11], s[0:1]
	s_cbranch_execz .LBB20_30
.LBB20_9:
	s_mov_b32 s2, 0x40a00000
	s_waitcnt vmcnt(0)
	v_cmp_ge_f32_e32 vcc, s2, v8
                                        ; implicit-def: $vgpr2
	s_and_saveexec_b64 s[2:3], vcc
	s_xor_b64 s[4:5], exec, s[2:3]
	s_cbranch_execz .LBB20_19
; %bb.10:
	v_cmp_neq_f32_e32 vcc, 0, v8
	v_mov_b32_e32 v2, 0xff800000
	s_and_saveexec_b64 s[6:7], vcc
	s_cbranch_execz .LBB20_18
; %bb.11:
	v_cmp_ngt_f32_e32 vcc, 0, v8
	v_mov_b32_e32 v2, 0x7fc00000
	s_and_saveexec_b64 s[12:13], vcc
	s_cbranch_execz .LBB20_17
; %bb.12:
	v_mul_f32_e32 v2, v8, v8
	s_mov_b32 s2, 0x3727c5ac
	v_mul_f32_e32 v4, 0, v2
	v_cmp_ngt_f32_e32 vcc, s2, v8
                                        ; implicit-def: $vgpr3
	s_and_saveexec_b64 s[2:3], vcc
	s_xor_b64 s[2:3], exec, s[2:3]
	s_cbranch_execz .LBB20_14
; %bb.13:
	v_add_f32_e32 v3, 0x43f9c815, v4
	v_fmaak_f32 v3, v2, v3, 0x4829b65a
	v_fmaak_f32 v3, v2, v3, 0x4c38c9a1
	;; [unrolled: 1-line block ×3, first 2 shown]
	s_mov_b32 s14, 0xcf8ee29d
	v_mul_f32_e32 v5, v2, v3
	s_mov_b32 s15, 0x53f5f59c
	v_pk_add_f32 v[10:11], v[4:5], s[14:15]
	s_mov_b32 s14, 0x53e3ba8e
	s_mov_b32 s15, 0x578d3514
	v_pk_fma_f32 v[10:11], v[2:3], v[10:11], s[14:15] op_sel_hi:[0,1,1]
	s_mov_b32 s14, 0xd762b0a7
	s_mov_b32 s15, 0x5ae20a0c
	v_pk_fma_f32 v[10:11], v[2:3], v[10:11], s[14:15] op_sel_hi:[0,1,1]
	;; [unrolled: 3-line block ×3, first 2 shown]
	s_mov_b32 s14, 0xc0b90fdc
	s_mov_b32 s15, 0xc1f3c525
	v_pk_add_f32 v[12:13], v[2:3], s[14:15] op_sel_hi:[0,1]
	v_mul_f32_e32 v3, v12, v13
	v_mul_f32_e32 v3, v3, v10
	v_div_scale_f32 v5, s[14:15], v11, v11, v3
	v_rcp_f32_e32 v10, v5
	s_nop 0
	v_fma_f32 v12, -v5, v10, 1.0
	v_fmac_f32_e32 v10, v12, v10
	v_div_scale_f32 v12, vcc, v3, v11, v3
	v_mul_f32_e32 v13, v12, v10
	v_fma_f32 v14, -v5, v13, v12
	v_fmac_f32_e32 v13, v14, v10
	v_fma_f32 v5, -v5, v13, v12
	v_div_fmas_f32 v5, v5, v10, v13
	v_div_fixup_f32 v3, v5, v11, v3
.LBB20_14:
	s_andn2_saveexec_b64 s[2:3], s[2:3]
; %bb.15:
	v_mov_b32_e32 v3, 1.0
	v_fmamk_f32 v3, v2, 0xbe800000, v3
; %bb.16:
	s_or_b64 exec, exec, s[2:3]
	v_add_f32_e32 v5, 0x4673a1bf, v4
	v_fmaak_f32 v5, v2, v5, 0xcb5fc0fa
	v_add_f32_e32 v4, 0x44822913, v4
	v_fmaak_f32 v5, v2, v5, 0x4fa1fbc8
	v_fmaak_f32 v4, v2, v4, 0x4918dbb5
	;; [unrolled: 1-line block ×12, first 2 shown]
	v_div_scale_f32 v5, s[2:3], v4, v4, v2
	v_rcp_f32_e32 v10, v5
	s_mov_b32 s2, 0x800000
	v_cmp_gt_f32_e64 s[2:3], s2, v8
	s_mov_b32 s14, 0x3f317217
	v_fma_f32 v11, -v5, v10, 1.0
	v_fmac_f32_e32 v10, v11, v10
	v_div_scale_f32 v11, vcc, v2, v4, v2
	v_mul_f32_e32 v12, v11, v10
	v_fma_f32 v13, -v5, v12, v11
	v_fmac_f32_e32 v12, v13, v10
	v_fma_f32 v5, -v5, v12, v11
	v_mov_b32_e32 v11, 0x4f800000
	v_cndmask_b32_e64 v11, 1.0, v11, s[2:3]
	v_mul_f32_e32 v8, v8, v11
	v_log_f32_e32 v8, v8
	v_div_fmas_f32 v5, v5, v10, v12
	v_div_fixup_f32 v2, v5, v4, v2
	v_mul_f32_e32 v4, 0x3f317217, v8
	v_fma_f32 v5, v8, s14, -v4
	v_fmamk_f32 v5, v8, 0x3377d1cf, v5
	s_mov_b32 s14, 0x7f800000
	v_add_f32_e32 v4, v4, v5
	v_cmp_lt_f32_e64 vcc, |v8|, s14
	v_mov_b32_e32 v5, 0x41b17218
	v_cndmask_b32_e64 v5, 0, v5, s[2:3]
	v_cndmask_b32_e32 v4, v8, v4, vcc
	v_sub_f32_e32 v4, v4, v5
	v_mul_f32_e32 v4, 0x3f22f983, v4
	v_fmac_f32_e32 v2, v4, v3
.LBB20_17:
	s_or_b64 exec, exec, s[12:13]
.LBB20_18:
	s_or_b64 exec, exec, s[6:7]
                                        ; implicit-def: $vgpr8
.LBB20_19:
	s_andn2_saveexec_b64 s[12:13], s[4:5]
	s_cbranch_execz .LBB20_29
; %bb.20:
	v_add_f32_e32 v2, 0xbf490fdb, v8
	v_and_b32_e32 v3, 0x7fffffff, v2
	s_brev_b32 s2, 18
	v_cmp_nlt_f32_e64 s[14:15], |v2|, s2
	v_lshrrev_b32_e32 v12, 23, v3
                                        ; implicit-def: $vgpr4
                                        ; implicit-def: $vgpr5
	s_and_saveexec_b64 s[2:3], s[14:15]
	s_xor_b64 s[16:17], exec, s[2:3]
	s_cbranch_execz .LBB20_22
; %bb.21:
	v_add_u32_e32 v4, 0xffffff88, v12
	v_not_b32_e32 v10, 63
	v_cmp_lt_u32_e32 vcc, 63, v4
	s_mov_b32 s6, 0xfe5163ab
	v_mov_b32_e32 v5, 0
	v_cndmask_b32_e32 v10, 0, v10, vcc
	v_add_u32_e32 v4, v10, v4
	v_not_b32_e32 v10, 31
	v_cmp_lt_u32_e64 s[2:3], 31, v4
	s_nop 1
	v_cndmask_b32_e64 v11, 0, v10, s[2:3]
	v_add_u32_e32 v4, v11, v4
	v_cmp_lt_u32_e64 s[4:5], 31, v4
	s_nop 1
	v_cndmask_b32_e64 v10, 0, v10, s[4:5]
	v_add_u32_e32 v13, v10, v4
	v_and_b32_e32 v4, 0x7fffff, v3
	v_or_b32_e32 v24, 0x800000, v4
	v_mad_u64_u32 v[10:11], s[6:7], v24, s6, 0
	v_mov_b32_e32 v4, v11
	s_mov_b32 s6, 0x3c439041
	v_mad_u64_u32 v[14:15], s[6:7], v24, s6, v[4:5]
	v_mov_b32_e32 v4, v15
	s_mov_b32 s6, 0xdb629599
	;; [unrolled: 3-line block ×6, first 2 shown]
	v_mad_u64_u32 v[4:5], s[6:7], v24, s6, v[4:5]
	v_cndmask_b32_e32 v11, v22, v18, vcc
	v_cndmask_b32_e32 v4, v4, v20, vcc
	;; [unrolled: 1-line block ×3, first 2 shown]
	v_cndmask_b32_e64 v15, v4, v11, s[2:3]
	v_cndmask_b32_e64 v4, v5, v4, s[2:3]
	v_cndmask_b32_e32 v5, v20, v16, vcc
	v_cndmask_b32_e64 v11, v11, v5, s[2:3]
	v_sub_u32_e32 v17, 32, v13
	v_cmp_eq_u32_e64 s[6:7], 0, v13
	v_cndmask_b32_e32 v13, v18, v14, vcc
	v_cndmask_b32_e64 v4, v4, v15, s[4:5]
	v_cndmask_b32_e64 v15, v15, v11, s[4:5]
	;; [unrolled: 1-line block ×3, first 2 shown]
	v_alignbit_b32 v19, v4, v15, v17
	v_cndmask_b32_e64 v11, v11, v5, s[4:5]
	v_cndmask_b32_e64 v4, v19, v4, s[6:7]
	v_alignbit_b32 v14, v15, v11, v17
	v_cndmask_b32_e64 v14, v14, v15, s[6:7]
	v_bfe_u32 v19, v4, 29, 1
	v_cndmask_b32_e32 v10, v16, v10, vcc
	v_alignbit_b32 v15, v4, v14, 30
	v_sub_u32_e32 v20, 0, v19
	v_cndmask_b32_e64 v10, v13, v10, s[2:3]
	v_xor_b32_e32 v21, v15, v20
	v_cndmask_b32_e64 v5, v5, v10, s[4:5]
	v_alignbit_b32 v10, v11, v5, v17
	v_ffbh_u32_e32 v13, v21
	v_cndmask_b32_e64 v10, v10, v11, s[6:7]
	v_add_u32_e32 v13, 1, v13
	v_cmp_ne_u32_e32 vcc, v15, v20
	v_alignbit_b32 v11, v14, v10, 30
	v_alignbit_b32 v5, v10, v5, 30
	v_cndmask_b32_e32 v13, 33, v13, vcc
	v_xor_b32_e32 v11, v11, v20
	v_sub_u32_e32 v14, 32, v13
	v_xor_b32_e32 v5, v5, v20
	v_alignbit_b32 v15, v21, v11, v14
	v_alignbit_b32 v5, v11, v5, v14
	;; [unrolled: 1-line block ×3, first 2 shown]
	v_ffbh_u32_e32 v11, v10
	v_min_u32_e32 v11, 32, v11
	v_lshrrev_b32_e32 v18, 29, v4
	v_sub_u32_e32 v14, 31, v11
	v_alignbit_b32 v5, v10, v5, v14
	v_lshlrev_b32_e32 v10, 31, v18
	v_or_b32_e32 v14, 0x33800000, v10
	v_add_lshl_u32 v11, v11, v13, 23
	v_lshrrev_b32_e32 v5, 9, v5
	v_sub_u32_e32 v11, v14, v11
	v_or_b32_e32 v5, v11, v5
	v_alignbit_b32 v11, v13, v15, 9
	v_or_b32_e32 v10, v11, v10
	v_xor_b32_e32 v10, 1.0, v10
	s_mov_b32 s2, 0x3fc90fda
	v_mul_f32_e32 v11, 0x3fc90fda, v10
	v_fma_f32 v13, v10, s2, -v11
	v_fmamk_f32 v10, v10, 0x33a22168, v13
	v_fmac_f32_e32 v10, 0x3fc90fda, v5
	v_lshrrev_b32_e32 v4, 30, v4
	v_add_f32_e32 v5, v11, v10
	v_add_u32_e32 v4, v19, v4
	s_andn2_saveexec_b64 s[2:3], s[16:17]
	s_branch .LBB20_23
.LBB20_22:
	s_andn2_saveexec_b64 s[2:3], s[16:17]
.LBB20_23:
	s_mov_b32 s4, 0x3f22f983
	v_mul_f32_e64 v4, |v2|, s4
	v_rndne_f32_e32 v5, v4
	s_mov_b32 s4, 0xbfc90fda
	v_cvt_i32_f32_e32 v4, v5
	v_fma_f32 v10, v5, s4, |v2|
	v_fmamk_f32 v10, v5, 0xb3a22168, v10
	v_fmamk_f32 v5, v5, 0xa7c234c4, v10
; %bb.24:
	s_or_b64 exec, exec, s[2:3]
                                        ; implicit-def: $vgpr10
                                        ; implicit-def: $vgpr11
	s_and_saveexec_b64 s[2:3], s[14:15]
	s_xor_b64 s[14:15], exec, s[2:3]
	s_cbranch_execz .LBB20_26
; %bb.25:
	v_add_u32_e32 v10, 0xffffff88, v12
	v_not_b32_e32 v12, 63
	v_cmp_lt_u32_e32 vcc, 63, v10
	s_mov_b32 s6, 0xfe5163ab
	v_mov_b32_e32 v11, 0
	v_cndmask_b32_e32 v12, 0, v12, vcc
	v_add_u32_e32 v10, v12, v10
	v_not_b32_e32 v12, 31
	v_cmp_lt_u32_e64 s[2:3], 31, v10
	s_nop 1
	v_cndmask_b32_e64 v13, 0, v12, s[2:3]
	v_add_u32_e32 v10, v13, v10
	v_cmp_lt_u32_e64 s[4:5], 31, v10
	s_nop 1
	v_cndmask_b32_e64 v12, 0, v12, s[4:5]
	v_add_u32_e32 v24, v12, v10
	v_and_b32_e32 v10, 0x7fffff, v3
	v_or_b32_e32 v25, 0x800000, v10
	v_mad_u64_u32 v[12:13], s[6:7], v25, s6, 0
	v_mov_b32_e32 v10, v13
	s_mov_b32 s6, 0x3c439041
	v_mad_u64_u32 v[14:15], s[6:7], v25, s6, v[10:11]
	v_mov_b32_e32 v10, v15
	s_mov_b32 s6, 0xdb629599
	;; [unrolled: 3-line block ×6, first 2 shown]
	v_mad_u64_u32 v[10:11], s[6:7], v25, s6, v[10:11]
	v_cndmask_b32_e32 v13, v22, v18, vcc
	v_cndmask_b32_e32 v10, v10, v20, vcc
	v_cndmask_b32_e32 v11, v11, v22, vcc
	v_cndmask_b32_e64 v15, v10, v13, s[2:3]
	v_cndmask_b32_e64 v10, v11, v10, s[2:3]
	v_cndmask_b32_e32 v11, v20, v16, vcc
	v_cndmask_b32_e64 v13, v13, v11, s[2:3]
	v_cndmask_b32_e32 v14, v18, v14, vcc
	v_cndmask_b32_e64 v10, v10, v15, s[4:5]
	v_cndmask_b32_e64 v15, v15, v13, s[4:5]
	v_sub_u32_e32 v17, 32, v24
	v_cndmask_b32_e64 v11, v11, v14, s[2:3]
	v_alignbit_b32 v19, v10, v15, v17
	v_cmp_eq_u32_e64 s[6:7], 0, v24
	v_cndmask_b32_e64 v13, v13, v11, s[4:5]
	v_alignbit_b32 v18, v15, v13, v17
	v_cndmask_b32_e64 v10, v19, v10, s[6:7]
	v_cndmask_b32_e64 v15, v18, v15, s[6:7]
	v_bfe_u32 v20, v10, 29, 1
	v_cndmask_b32_e32 v12, v16, v12, vcc
	v_alignbit_b32 v18, v10, v15, 30
	v_sub_u32_e32 v21, 0, v20
	v_cndmask_b32_e64 v12, v14, v12, s[2:3]
	v_xor_b32_e32 v22, v18, v21
	v_cndmask_b32_e64 v11, v11, v12, s[4:5]
	v_alignbit_b32 v12, v13, v11, v17
	v_ffbh_u32_e32 v14, v22
	v_cndmask_b32_e64 v12, v12, v13, s[6:7]
	v_add_u32_e32 v14, 1, v14
	v_cmp_ne_u32_e32 vcc, v18, v21
	v_alignbit_b32 v13, v15, v12, 30
	v_alignbit_b32 v11, v12, v11, 30
	v_cndmask_b32_e32 v14, 33, v14, vcc
	v_xor_b32_e32 v13, v13, v21
	v_sub_u32_e32 v15, 32, v14
	v_xor_b32_e32 v11, v11, v21
	v_alignbit_b32 v16, v22, v13, v15
	v_alignbit_b32 v11, v13, v11, v15
	;; [unrolled: 1-line block ×3, first 2 shown]
	v_ffbh_u32_e32 v13, v12
	v_min_u32_e32 v13, 32, v13
	v_lshrrev_b32_e32 v19, 29, v10
	v_sub_u32_e32 v15, 31, v13
	v_alignbit_b32 v11, v12, v11, v15
	v_lshlrev_b32_e32 v12, 31, v19
	v_or_b32_e32 v15, 0x33800000, v12
	v_add_lshl_u32 v13, v13, v14, 23
	v_lshrrev_b32_e32 v11, 9, v11
	v_sub_u32_e32 v13, v15, v13
	v_or_b32_e32 v11, v13, v11
	v_alignbit_b32 v13, v14, v16, 9
	v_or_b32_e32 v12, v13, v12
	v_xor_b32_e32 v12, 1.0, v12
	s_mov_b32 s2, 0x3fc90fda
	v_mul_f32_e32 v13, 0x3fc90fda, v12
	v_fma_f32 v14, v12, s2, -v13
	v_fmamk_f32 v12, v12, 0x33a22168, v14
	v_fmac_f32_e32 v12, 0x3fc90fda, v11
	v_lshrrev_b32_e32 v10, 30, v10
	v_add_f32_e32 v11, v13, v12
	v_add_u32_e32 v10, v20, v10
	s_andn2_saveexec_b64 s[2:3], s[14:15]
	s_cbranch_execnz .LBB20_27
	s_branch .LBB20_28
.LBB20_26:
	s_andn2_saveexec_b64 s[2:3], s[14:15]
.LBB20_27:
	s_mov_b32 s4, 0x3f22f983
	v_mul_f32_e64 v10, |v2|, s4
	v_rndne_f32_e32 v11, v10
	s_mov_b32 s4, 0xbfc90fda
	v_cvt_i32_f32_e32 v10, v11
	v_fma_f32 v12, v11, s4, |v2|
	v_fmamk_f32 v12, v11, 0xb3a22168, v12
	v_fmamk_f32 v11, v11, 0xa7c234c4, v12
.LBB20_28:
	s_or_b64 exec, exec, s[2:3]
	v_mul_f32_e32 v12, v8, v8
	s_mov_b32 s4, 0x41c80000
	v_div_scale_f32 v13, s[2:3], v12, v12, s4
	v_rcp_f32_e32 v14, v13
	v_xor_b32_e32 v3, v3, v2
	s_mov_b32 s6, 0x40a00000
	v_mov_b32_e32 v21, 0xbf000004
	v_fma_f32 v15, -v13, v14, 1.0
	v_fmac_f32_e32 v14, v15, v14
	v_div_scale_f32 v15, vcc, s4, v12, s4
	v_mul_f32_e32 v16, v15, v14
	v_fma_f32 v17, -v13, v16, v15
	v_fmac_f32_e32 v16, v17, v14
	v_fma_f32 v13, -v13, v16, v15
	v_div_fmas_f32 v13, v13, v14, v16
	v_div_fixup_f32 v12, v13, v12, s4
	v_mov_b32_e32 v13, 0x3a50e985
	v_mov_b32_e32 v14, 0x3a725406
	v_fmac_f32_e32 v13, 0, v12
	v_fmac_f32_e32 v14, 0, v12
	v_fmaak_f32 v13, v12, v13, 0x3da9a586
	v_fmaak_f32 v14, v12, v14, 0x3daf5e2d
	;; [unrolled: 1-line block ×8, first 2 shown]
	v_mov_b32_e32 v15, 0xbc3a3a12
	v_fmaak_f32 v13, v12, v13, 0x40a9b425
	v_fmaak_f32 v14, v12, v14, 0x40a9cb2f
	v_fmac_f32_e32 v15, 0, v12
	v_mov_b32_e32 v16, 0x4280a2ba
	v_fma_f32 v14, v12, v14, 1.0
	v_fmaak_f32 v15, v12, v15, 0xbfa429da
	v_fmac_f32_e32 v16, 0, v12
	v_fma_f32 v13, v12, v13, 1.0
	v_fmaak_f32 v15, v12, v15, 0xc19c6e80
	v_fmaak_f32 v16, v12, v16, 0x44561b86
	v_div_scale_f32 v17, s[2:3], v14, v14, v13
	v_fmaak_f32 v15, v12, v15, 0xc2ba697b
	v_fmaak_f32 v16, v12, v16, 0x4572a66e
	v_rcp_f32_e32 v18, v17
	v_fmaak_f32 v15, v12, v15, 0xc331ae61
	v_fmaak_f32 v16, v12, v16, 0x45e243be
	v_fmaak_f32 v15, v12, v15, 0xc31313d7
	v_fmaak_f32 v16, v12, v16, 0x45b955d1
	v_fmaak_f32 v15, v12, v15, 0xc24da463
	v_fmaak_f32 v16, v12, v16, 0x4500e17e
	v_fmaak_f32 v15, v12, v15, 0xc0c19ac7
	v_fmaak_f32 v12, v12, v16, 0x43720178
	v_fma_f32 v16, -v17, v18, 1.0
	v_fmac_f32_e32 v18, v16, v18
	v_div_scale_f32 v16, vcc, v13, v14, v13
	v_mul_f32_e32 v19, v16, v18
	v_fma_f32 v20, -v17, v19, v16
	v_fmac_f32_e32 v19, v20, v18
	v_fma_f32 v16, -v17, v19, v16
	v_div_fmas_f32 v16, v16, v18, v19
	v_div_fixup_f32 v13, v16, v14, v13
	v_mul_f32_e32 v14, v5, v5
	v_mov_b32_e32 v16, 0x3c0881c4
	v_fmamk_f32 v17, v14, 0xb94c1982, v16
	v_fmaak_f32 v17, v14, v17, 0xbe2aaa9d
	v_mul_f32_e32 v17, v14, v17
	v_fmac_f32_e32 v5, v5, v17
	v_mov_b32_e32 v17, 0xbab64f3b
	v_fmamk_f32 v19, v14, 0x37d75334, v17
	v_fmaak_f32 v19, v14, v19, 0x3d2aabf7
	v_fmaak_f32 v19, v14, v19, 0xbf000004
	v_fma_f32 v14, v14, v19, 1.0
	v_and_b32_e32 v19, 1, v4
	v_lshlrev_b32_e32 v4, 30, v4
	v_cmp_eq_u32_e32 vcc, 0, v19
	v_and_b32_e32 v4, 0x80000000, v4
	v_xor_b32_e32 v3, v3, v4
	v_cndmask_b32_e32 v5, v14, v5, vcc
	v_div_scale_f32 v4, s[2:3], v8, v8, s6
	v_xor_b32_e32 v3, v3, v5
	v_rcp_f32_e32 v5, v4
	s_movk_i32 s4, 0x1f8
	v_mov_b32_e32 v14, 0x7fc00000
	v_cmp_class_f32_e64 s[2:3], v2, s4
	v_mov_b32_e32 v18, 0xbe2aaa9d
	v_mov_b32_e32 v20, 0x3d2aabf7
	v_cndmask_b32_e64 v2, v14, v3, s[2:3]
	v_fma_f32 v3, -v4, v5, 1.0
	v_fmac_f32_e32 v5, v3, v5
	v_div_scale_f32 v3, vcc, s6, v8, s6
	v_mul_f32_e32 v19, v3, v5
	v_fma_f32 v22, -v4, v19, v3
	v_fmac_f32_e32 v19, v22, v5
	v_fma_f32 v3, -v4, v19, v3
	v_div_scale_f32 v4, s[4:5], v12, v12, v15
	v_rcp_f32_e32 v22, v4
	v_div_fmas_f32 v3, v3, v5, v19
	v_div_fixup_f32 v3, v3, v8, s6
	v_fma_f32 v5, -v4, v22, 1.0
	v_fmac_f32_e32 v22, v5, v22
	v_div_scale_f32 v5, vcc, v15, v12, v15
	v_mul_f32_e32 v19, v5, v22
	v_fma_f32 v23, -v4, v19, v5
	v_fmac_f32_e32 v19, v23, v22
	v_fma_f32 v4, -v4, v19, v5
	v_div_fmas_f32 v4, v4, v22, v19
	v_div_fixup_f32 v4, v4, v12, v15
	v_mul_f32_e32 v3, v3, v4
	v_mul_f32_e32 v4, v11, v11
	v_fmac_f32_e32 v16, 0xb94c1982, v4
	v_fmac_f32_e32 v18, v4, v16
	;; [unrolled: 1-line block ×3, first 2 shown]
	v_mul_f32_e32 v5, v4, v18
	v_fmac_f32_e32 v20, v4, v17
	v_fmac_f32_e32 v11, v11, v5
	;; [unrolled: 1-line block ×3, first 2 shown]
	v_and_b32_e32 v5, 1, v10
	v_fma_f32 v4, v4, v21, 1.0
	v_cmp_eq_u32_e32 vcc, 0, v5
	v_lshlrev_b32_e32 v5, 30, v10
	v_and_b32_e32 v5, 0x80000000, v5
	v_cndmask_b32_e64 v4, -v11, v4, vcc
	v_xor_b32_e32 v4, v5, v4
	v_cndmask_b32_e64 v4, v14, v4, s[2:3]
	s_mov_b32 s2, 0xf800000
	v_mul_f32_e32 v5, 0x4f800000, v8
	v_cmp_gt_f32_e32 vcc, s2, v8
	v_mul_f32_e32 v3, v3, v4
	v_fmac_f32_e32 v3, v13, v2
	v_cndmask_b32_e32 v5, v8, v5, vcc
	v_sqrt_f32_e32 v8, v5
	v_mul_f32_e32 v2, 0x3f4c422a, v3
	v_add_u32_e32 v3, -1, v8
	v_fma_f32 v4, -v3, v8, v5
	v_cmp_ge_f32_e64 s[2:3], 0, v4
	v_add_u32_e32 v4, 1, v8
	s_nop 0
	v_cndmask_b32_e64 v3, v8, v3, s[2:3]
	v_fma_f32 v8, -v4, v8, v5
	v_cmp_lt_f32_e64 s[2:3], 0, v8
	s_nop 1
	v_cndmask_b32_e64 v3, v3, v4, s[2:3]
	v_mul_f32_e32 v4, 0x37800000, v3
	v_cndmask_b32_e32 v3, v3, v4, vcc
	v_mov_b32_e32 v4, 0x260
	v_cmp_class_f32_e32 vcc, v5, v4
	s_nop 1
	v_cndmask_b32_e32 v3, v3, v5, vcc
	v_div_scale_f32 v4, s[2:3], v3, v3, v2
	v_rcp_f32_e32 v5, v4
	s_nop 0
	v_fma_f32 v8, -v4, v5, 1.0
	v_fmac_f32_e32 v5, v8, v5
	v_div_scale_f32 v8, vcc, v2, v3, v2
	v_mul_f32_e32 v10, v8, v5
	v_fma_f32 v11, -v4, v10, v8
	v_fmac_f32_e32 v10, v11, v5
	v_fma_f32 v4, -v4, v10, v8
	v_div_fmas_f32 v4, v4, v5, v10
	v_div_fixup_f32 v2, v4, v3, v2
.LBB20_29:
	s_or_b64 exec, exec, s[12:13]
.LBB20_30:
	s_or_b64 exec, exec, s[10:11]
	v_or_b32_e32 v12, 0x100, v0
	v_cmp_gt_i32_e32 vcc, s19, v12
	s_and_saveexec_b64 s[10:11], vcc
	s_cbranch_execz .LBB20_52
; %bb.31:
	s_mov_b32 s2, 0x40a00000
	s_waitcnt vmcnt(0)
	v_cmp_ge_f32_e32 vcc, s2, v9
	s_and_saveexec_b64 s[2:3], vcc
	s_xor_b64 s[4:5], exec, s[2:3]
	s_cbranch_execz .LBB20_41
; %bb.32:
	v_cmp_neq_f32_e32 vcc, 0, v9
	v_mov_b32_e32 v3, 0xff800000
	s_and_saveexec_b64 s[6:7], vcc
	s_cbranch_execz .LBB20_40
; %bb.33:
	v_cmp_ngt_f32_e32 vcc, 0, v9
	v_mov_b32_e32 v3, 0x7fc00000
	s_and_saveexec_b64 s[12:13], vcc
	s_cbranch_execz .LBB20_39
; %bb.34:
	v_mul_f32_e32 v8, v9, v9
	s_mov_b32 s2, 0x3727c5ac
	v_mul_f32_e32 v10, 0, v8
	v_cmp_ngt_f32_e32 vcc, s2, v9
                                        ; implicit-def: $vgpr11
	s_and_saveexec_b64 s[2:3], vcc
	s_xor_b64 s[2:3], exec, s[2:3]
	s_cbranch_execz .LBB20_36
; %bb.35:
	v_add_f32_e32 v3, 0x43f9c815, v10
	v_fmaak_f32 v3, v8, v3, 0x4829b65a
	v_fmaak_f32 v3, v8, v3, 0x4c38c9a1
	;; [unrolled: 1-line block ×3, first 2 shown]
	s_mov_b32 s14, 0xcf8ee29d
	v_mul_f32_e32 v11, v8, v3
	s_mov_b32 s15, 0x53f5f59c
	v_pk_add_f32 v[14:15], v[10:11], s[14:15]
	s_mov_b32 s14, 0x53e3ba8e
	s_mov_b32 s15, 0x578d3514
	v_pk_fma_f32 v[14:15], v[8:9], v[14:15], s[14:15] op_sel_hi:[0,1,1]
	s_mov_b32 s14, 0xd762b0a7
	s_mov_b32 s15, 0x5ae20a0c
	v_pk_fma_f32 v[14:15], v[8:9], v[14:15], s[14:15] op_sel_hi:[0,1,1]
	;; [unrolled: 3-line block ×3, first 2 shown]
	s_mov_b32 s14, 0xc0b90fdc
	s_mov_b32 s15, 0xc1f3c525
	v_pk_add_f32 v[16:17], v[8:9], s[14:15] op_sel_hi:[0,1]
	v_mul_f32_e32 v3, v16, v17
	v_mul_f32_e32 v3, v3, v14
	v_div_scale_f32 v11, s[14:15], v15, v15, v3
	v_rcp_f32_e32 v13, v11
	s_nop 0
	v_fma_f32 v14, -v11, v13, 1.0
	v_fmac_f32_e32 v13, v14, v13
	v_div_scale_f32 v14, vcc, v3, v15, v3
	v_mul_f32_e32 v16, v14, v13
	v_fma_f32 v17, -v11, v16, v14
	v_fmac_f32_e32 v16, v17, v13
	v_fma_f32 v11, -v11, v16, v14
	v_div_fmas_f32 v11, v11, v13, v16
	v_div_fixup_f32 v11, v11, v15, v3
.LBB20_36:
	s_andn2_saveexec_b64 s[2:3], s[2:3]
; %bb.37:
	v_mov_b32_e32 v3, 1.0
	v_fmamk_f32 v11, v8, 0xbe800000, v3
; %bb.38:
	s_or_b64 exec, exec, s[2:3]
	v_add_f32_e32 v3, 0x4673a1bf, v10
	v_fmaak_f32 v3, v8, v3, 0xcb5fc0fa
	v_add_f32_e32 v10, 0x44822913, v10
	v_fmaak_f32 v3, v8, v3, 0x4fa1fbc8
	v_fmaak_f32 v10, v8, v10, 0x4918dbb5
	;; [unrolled: 1-line block ×12, first 2 shown]
	v_div_scale_f32 v8, s[2:3], v10, v10, v3
	v_rcp_f32_e32 v13, v8
	s_mov_b32 s2, 0x800000
	v_cmp_gt_f32_e64 s[2:3], s2, v9
	s_mov_b32 s14, 0x3f317217
	v_fma_f32 v14, -v8, v13, 1.0
	v_fmac_f32_e32 v13, v14, v13
	v_div_scale_f32 v14, vcc, v3, v10, v3
	v_mul_f32_e32 v15, v14, v13
	v_fma_f32 v16, -v8, v15, v14
	v_fmac_f32_e32 v15, v16, v13
	v_fma_f32 v8, -v8, v15, v14
	v_mov_b32_e32 v14, 0x4f800000
	v_cndmask_b32_e64 v14, 1.0, v14, s[2:3]
	v_mul_f32_e32 v9, v9, v14
	v_log_f32_e32 v9, v9
	v_div_fmas_f32 v8, v8, v13, v15
	v_div_fixup_f32 v3, v8, v10, v3
	v_mul_f32_e32 v8, 0x3f317217, v9
	v_fma_f32 v10, v9, s14, -v8
	v_fmamk_f32 v10, v9, 0x3377d1cf, v10
	s_mov_b32 s14, 0x7f800000
	v_add_f32_e32 v8, v8, v10
	v_cmp_lt_f32_e64 vcc, |v9|, s14
	s_nop 1
	v_cndmask_b32_e32 v8, v9, v8, vcc
	v_mov_b32_e32 v9, 0x41b17218
	v_cndmask_b32_e64 v9, 0, v9, s[2:3]
	v_sub_f32_e32 v8, v8, v9
	v_mul_f32_e32 v8, 0x3f22f983, v8
	v_fmac_f32_e32 v3, v8, v11
.LBB20_39:
	s_or_b64 exec, exec, s[12:13]
.LBB20_40:
	s_or_b64 exec, exec, s[6:7]
                                        ; implicit-def: $vgpr9
.LBB20_41:
	s_andn2_saveexec_b64 s[12:13], s[4:5]
	s_cbranch_execz .LBB20_51
; %bb.42:
	v_add_f32_e32 v3, 0xbf490fdb, v9
	v_and_b32_e32 v8, 0x7fffffff, v3
	s_brev_b32 s2, 18
	v_cmp_nlt_f32_e64 s[14:15], |v3|, s2
	v_lshrrev_b32_e32 v15, 23, v8
                                        ; implicit-def: $vgpr10
                                        ; implicit-def: $vgpr11
	s_and_saveexec_b64 s[2:3], s[14:15]
	s_xor_b64 s[16:17], exec, s[2:3]
	s_cbranch_execz .LBB20_44
; %bb.43:
	v_add_u32_e32 v10, 0xffffff88, v15
	v_not_b32_e32 v13, 63
	v_cmp_lt_u32_e32 vcc, 63, v10
	s_mov_b32 s6, 0xfe5163ab
	v_mov_b32_e32 v11, 0
	v_cndmask_b32_e32 v13, 0, v13, vcc
	v_add_u32_e32 v10, v13, v10
	v_not_b32_e32 v13, 31
	v_cmp_lt_u32_e64 s[2:3], 31, v10
	s_nop 1
	v_cndmask_b32_e64 v14, 0, v13, s[2:3]
	v_add_u32_e32 v10, v14, v10
	v_cmp_lt_u32_e64 s[4:5], 31, v10
	s_nop 1
	v_cndmask_b32_e64 v13, 0, v13, s[4:5]
	v_add_u32_e32 v13, v13, v10
	v_and_b32_e32 v10, 0x7fffff, v8
	v_or_b32_e32 v14, 0x800000, v10
	v_mad_u64_u32 v[16:17], s[6:7], v14, s6, 0
	v_mov_b32_e32 v10, v17
	s_mov_b32 s6, 0x3c439041
	v_mad_u64_u32 v[18:19], s[6:7], v14, s6, v[10:11]
	v_mov_b32_e32 v10, v19
	s_mov_b32 s6, 0xdb629599
	;; [unrolled: 3-line block ×6, first 2 shown]
	v_mad_u64_u32 v[10:11], s[6:7], v14, s6, v[10:11]
	v_cndmask_b32_e32 v17, v26, v22, vcc
	v_cndmask_b32_e32 v10, v10, v24, vcc
	;; [unrolled: 1-line block ×3, first 2 shown]
	v_cndmask_b32_e64 v14, v10, v17, s[2:3]
	v_cndmask_b32_e64 v10, v11, v10, s[2:3]
	v_cndmask_b32_e32 v11, v24, v20, vcc
	v_cndmask_b32_e64 v17, v17, v11, s[2:3]
	v_sub_u32_e32 v19, 32, v13
	v_cmp_eq_u32_e64 s[6:7], 0, v13
	v_cndmask_b32_e32 v13, v22, v18, vcc
	v_cndmask_b32_e64 v10, v10, v14, s[4:5]
	v_cndmask_b32_e64 v14, v14, v17, s[4:5]
	;; [unrolled: 1-line block ×3, first 2 shown]
	v_alignbit_b32 v21, v10, v14, v19
	v_cndmask_b32_e64 v17, v17, v11, s[4:5]
	v_cndmask_b32_e64 v10, v21, v10, s[6:7]
	v_alignbit_b32 v18, v14, v17, v19
	v_cndmask_b32_e64 v14, v18, v14, s[6:7]
	v_bfe_u32 v22, v10, 29, 1
	v_cndmask_b32_e32 v16, v20, v16, vcc
	v_alignbit_b32 v18, v10, v14, 30
	v_sub_u32_e32 v23, 0, v22
	v_cndmask_b32_e64 v13, v13, v16, s[2:3]
	v_xor_b32_e32 v24, v18, v23
	v_cndmask_b32_e64 v11, v11, v13, s[4:5]
	v_alignbit_b32 v13, v17, v11, v19
	v_ffbh_u32_e32 v16, v24
	v_cndmask_b32_e64 v13, v13, v17, s[6:7]
	v_add_u32_e32 v16, 1, v16
	v_cmp_ne_u32_e32 vcc, v18, v23
	v_alignbit_b32 v14, v14, v13, 30
	v_alignbit_b32 v11, v13, v11, 30
	v_cndmask_b32_e32 v16, 33, v16, vcc
	v_xor_b32_e32 v14, v14, v23
	v_sub_u32_e32 v17, 32, v16
	v_xor_b32_e32 v11, v11, v23
	v_alignbit_b32 v18, v24, v14, v17
	v_alignbit_b32 v11, v14, v11, v17
	;; [unrolled: 1-line block ×3, first 2 shown]
	v_ffbh_u32_e32 v14, v13
	v_min_u32_e32 v14, 32, v14
	v_lshrrev_b32_e32 v21, 29, v10
	v_sub_u32_e32 v17, 31, v14
	v_alignbit_b32 v11, v13, v11, v17
	v_lshlrev_b32_e32 v13, 31, v21
	v_or_b32_e32 v17, 0x33800000, v13
	v_add_lshl_u32 v14, v14, v16, 23
	v_lshrrev_b32_e32 v11, 9, v11
	v_sub_u32_e32 v14, v17, v14
	v_or_b32_e32 v11, v14, v11
	v_alignbit_b32 v14, v16, v18, 9
	v_or_b32_e32 v13, v14, v13
	v_xor_b32_e32 v13, 1.0, v13
	s_mov_b32 s2, 0x3fc90fda
	v_mul_f32_e32 v14, 0x3fc90fda, v13
	v_fma_f32 v16, v13, s2, -v14
	v_fmamk_f32 v13, v13, 0x33a22168, v16
	v_fmac_f32_e32 v13, 0x3fc90fda, v11
	v_lshrrev_b32_e32 v10, 30, v10
	v_add_f32_e32 v11, v14, v13
	v_add_u32_e32 v10, v22, v10
	s_andn2_saveexec_b64 s[2:3], s[16:17]
	s_branch .LBB20_45
.LBB20_44:
	s_andn2_saveexec_b64 s[2:3], s[16:17]
.LBB20_45:
	s_mov_b32 s4, 0x3f22f983
	v_mul_f32_e64 v10, |v3|, s4
	v_rndne_f32_e32 v11, v10
	s_mov_b32 s4, 0xbfc90fda
	v_cvt_i32_f32_e32 v10, v11
	v_fma_f32 v13, v11, s4, |v3|
	v_fmamk_f32 v13, v11, 0xb3a22168, v13
	v_fmamk_f32 v11, v11, 0xa7c234c4, v13
; %bb.46:
	s_or_b64 exec, exec, s[2:3]
                                        ; implicit-def: $vgpr13
                                        ; implicit-def: $vgpr14
	s_and_saveexec_b64 s[2:3], s[14:15]
	s_xor_b64 s[14:15], exec, s[2:3]
	s_cbranch_execz .LBB20_48
; %bb.47:
	v_add_u32_e32 v13, 0xffffff88, v15
	v_not_b32_e32 v14, 63
	v_cmp_lt_u32_e32 vcc, 63, v13
	s_mov_b32 s6, 0xfe5163ab
	v_mov_b32_e32 v15, 0
	v_cndmask_b32_e32 v14, 0, v14, vcc
	v_add_u32_e32 v13, v14, v13
	v_not_b32_e32 v14, 31
	v_cmp_lt_u32_e64 s[2:3], 31, v13
	s_nop 1
	v_cndmask_b32_e64 v16, 0, v14, s[2:3]
	v_add_u32_e32 v13, v16, v13
	v_cmp_lt_u32_e64 s[4:5], 31, v13
	s_nop 1
	v_cndmask_b32_e64 v14, 0, v14, s[4:5]
	v_add_u32_e32 v13, v14, v13
	v_and_b32_e32 v14, 0x7fffff, v8
	v_or_b32_e32 v28, 0x800000, v14
	v_mad_u64_u32 v[16:17], s[6:7], v28, s6, 0
	v_mov_b32_e32 v14, v17
	s_mov_b32 s6, 0x3c439041
	v_mad_u64_u32 v[18:19], s[6:7], v28, s6, v[14:15]
	v_mov_b32_e32 v14, v19
	s_mov_b32 s6, 0xdb629599
	;; [unrolled: 3-line block ×6, first 2 shown]
	v_mad_u64_u32 v[14:15], s[6:7], v28, s6, v[14:15]
	v_cndmask_b32_e32 v17, v26, v22, vcc
	v_cndmask_b32_e32 v14, v14, v24, vcc
	;; [unrolled: 1-line block ×3, first 2 shown]
	v_cndmask_b32_e64 v19, v14, v17, s[2:3]
	v_cndmask_b32_e64 v14, v15, v14, s[2:3]
	v_cndmask_b32_e32 v15, v24, v20, vcc
	v_cndmask_b32_e64 v17, v17, v15, s[2:3]
	v_cndmask_b32_e64 v14, v14, v19, s[4:5]
	;; [unrolled: 1-line block ×3, first 2 shown]
	v_sub_u32_e32 v21, 32, v13
	v_alignbit_b32 v23, v14, v19, v21
	v_cmp_eq_u32_e64 s[6:7], 0, v13
	v_cndmask_b32_e32 v16, v20, v16, vcc
	s_nop 0
	v_cndmask_b32_e64 v13, v23, v14, s[6:7]
	v_cndmask_b32_e32 v14, v22, v18, vcc
	v_cndmask_b32_e64 v15, v15, v14, s[2:3]
	v_cndmask_b32_e64 v17, v17, v15, s[4:5]
	v_alignbit_b32 v18, v19, v17, v21
	v_cndmask_b32_e64 v18, v18, v19, s[6:7]
	v_bfe_u32 v23, v13, 29, 1
	v_cndmask_b32_e64 v14, v14, v16, s[2:3]
	v_alignbit_b32 v19, v13, v18, 30
	v_sub_u32_e32 v24, 0, v23
	v_cndmask_b32_e64 v14, v15, v14, s[4:5]
	v_xor_b32_e32 v25, v19, v24
	v_alignbit_b32 v15, v17, v14, v21
	v_cndmask_b32_e64 v15, v15, v17, s[6:7]
	v_ffbh_u32_e32 v17, v25
	v_add_u32_e32 v17, 1, v17
	v_cmp_ne_u32_e32 vcc, v19, v24
	v_alignbit_b32 v16, v18, v15, 30
	v_alignbit_b32 v14, v15, v14, 30
	v_cndmask_b32_e32 v17, 33, v17, vcc
	v_xor_b32_e32 v16, v16, v24
	v_sub_u32_e32 v18, 32, v17
	v_xor_b32_e32 v14, v14, v24
	v_alignbit_b32 v19, v25, v16, v18
	v_alignbit_b32 v14, v16, v14, v18
	v_alignbit_b32 v15, v19, v14, 9
	v_ffbh_u32_e32 v16, v15
	v_min_u32_e32 v16, 32, v16
	v_lshrrev_b32_e32 v22, 29, v13
	v_sub_u32_e32 v18, 31, v16
	v_alignbit_b32 v14, v15, v14, v18
	v_lshlrev_b32_e32 v15, 31, v22
	v_or_b32_e32 v18, 0x33800000, v15
	v_add_lshl_u32 v16, v16, v17, 23
	v_lshrrev_b32_e32 v14, 9, v14
	v_sub_u32_e32 v16, v18, v16
	v_or_b32_e32 v14, v16, v14
	v_alignbit_b32 v16, v17, v19, 9
	v_or_b32_e32 v15, v16, v15
	v_xor_b32_e32 v15, 1.0, v15
	s_mov_b32 s2, 0x3fc90fda
	v_mul_f32_e32 v16, 0x3fc90fda, v15
	v_fma_f32 v17, v15, s2, -v16
	v_fmamk_f32 v15, v15, 0x33a22168, v17
	v_fmac_f32_e32 v15, 0x3fc90fda, v14
	v_lshrrev_b32_e32 v13, 30, v13
	v_add_f32_e32 v14, v16, v15
	v_add_u32_e32 v13, v23, v13
	s_andn2_saveexec_b64 s[2:3], s[14:15]
	s_cbranch_execnz .LBB20_49
	s_branch .LBB20_50
.LBB20_48:
	s_andn2_saveexec_b64 s[2:3], s[14:15]
.LBB20_49:
	s_mov_b32 s4, 0x3f22f983
	v_mul_f32_e64 v13, |v3|, s4
	v_rndne_f32_e32 v14, v13
	s_mov_b32 s4, 0xbfc90fda
	v_cvt_i32_f32_e32 v13, v14
	v_fma_f32 v15, v14, s4, |v3|
	v_fmamk_f32 v15, v14, 0xb3a22168, v15
	v_fmamk_f32 v14, v14, 0xa7c234c4, v15
.LBB20_50:
	s_or_b64 exec, exec, s[2:3]
	v_mul_f32_e32 v15, v9, v9
	s_mov_b32 s4, 0x41c80000
	v_div_scale_f32 v16, s[2:3], v15, v15, s4
	v_rcp_f32_e32 v17, v16
	v_xor_b32_e32 v8, v8, v3
	s_mov_b32 s6, 0x40a00000
	v_mov_b32_e32 v24, 0xbf000004
	v_fma_f32 v18, -v16, v17, 1.0
	v_fmac_f32_e32 v17, v18, v17
	v_div_scale_f32 v18, vcc, s4, v15, s4
	v_mul_f32_e32 v19, v18, v17
	v_fma_f32 v20, -v16, v19, v18
	v_fmac_f32_e32 v19, v20, v17
	v_fma_f32 v16, -v16, v19, v18
	v_div_fmas_f32 v16, v16, v17, v19
	v_div_fixup_f32 v15, v16, v15, s4
	v_mov_b32_e32 v16, 0x3a50e985
	v_mov_b32_e32 v17, 0x3a725406
	v_fmac_f32_e32 v16, 0, v15
	v_fmac_f32_e32 v17, 0, v15
	v_fmaak_f32 v16, v15, v16, 0x3da9a586
	v_fmaak_f32 v17, v15, v17, 0x3daf5e2d
	;; [unrolled: 1-line block ×8, first 2 shown]
	v_mov_b32_e32 v18, 0xbc3a3a12
	v_fmaak_f32 v16, v15, v16, 0x40a9b425
	v_fmaak_f32 v17, v15, v17, 0x40a9cb2f
	v_fmac_f32_e32 v18, 0, v15
	v_mov_b32_e32 v19, 0x4280a2ba
	v_fma_f32 v17, v15, v17, 1.0
	v_fmaak_f32 v18, v15, v18, 0xbfa429da
	v_fmac_f32_e32 v19, 0, v15
	v_fma_f32 v16, v15, v16, 1.0
	v_fmaak_f32 v18, v15, v18, 0xc19c6e80
	v_fmaak_f32 v19, v15, v19, 0x44561b86
	v_div_scale_f32 v20, s[2:3], v17, v17, v16
	v_fmaak_f32 v18, v15, v18, 0xc2ba697b
	v_fmaak_f32 v19, v15, v19, 0x4572a66e
	v_rcp_f32_e32 v21, v20
	v_fmaak_f32 v18, v15, v18, 0xc331ae61
	v_fmaak_f32 v19, v15, v19, 0x45e243be
	;; [unrolled: 1-line block ×8, first 2 shown]
	v_fma_f32 v19, -v20, v21, 1.0
	v_fmac_f32_e32 v21, v19, v21
	v_div_scale_f32 v19, vcc, v16, v17, v16
	v_mul_f32_e32 v22, v19, v21
	v_fma_f32 v23, -v20, v22, v19
	v_fmac_f32_e32 v22, v23, v21
	v_fma_f32 v19, -v20, v22, v19
	v_div_fmas_f32 v19, v19, v21, v22
	v_div_fixup_f32 v16, v19, v17, v16
	v_mul_f32_e32 v17, v11, v11
	v_mov_b32_e32 v19, 0x3c0881c4
	v_fmamk_f32 v20, v17, 0xb94c1982, v19
	v_fmaak_f32 v20, v17, v20, 0xbe2aaa9d
	v_mul_f32_e32 v20, v17, v20
	v_fmac_f32_e32 v11, v11, v20
	v_mov_b32_e32 v20, 0xbab64f3b
	v_fmamk_f32 v22, v17, 0x37d75334, v20
	v_fmaak_f32 v22, v17, v22, 0x3d2aabf7
	v_fmaak_f32 v22, v17, v22, 0xbf000004
	v_fma_f32 v17, v17, v22, 1.0
	v_and_b32_e32 v22, 1, v10
	v_lshlrev_b32_e32 v10, 30, v10
	v_cmp_eq_u32_e32 vcc, 0, v22
	v_and_b32_e32 v10, 0x80000000, v10
	v_xor_b32_e32 v8, v8, v10
	v_cndmask_b32_e32 v11, v17, v11, vcc
	v_div_scale_f32 v10, s[2:3], v9, v9, s6
	v_xor_b32_e32 v8, v8, v11
	v_rcp_f32_e32 v11, v10
	s_movk_i32 s4, 0x1f8
	v_mov_b32_e32 v17, 0x7fc00000
	v_cmp_class_f32_e64 s[2:3], v3, s4
	v_mov_b32_e32 v21, 0xbe2aaa9d
	v_mov_b32_e32 v23, 0x3d2aabf7
	v_cndmask_b32_e64 v3, v17, v8, s[2:3]
	v_fma_f32 v8, -v10, v11, 1.0
	v_fmac_f32_e32 v11, v8, v11
	v_div_scale_f32 v8, vcc, s6, v9, s6
	v_mul_f32_e32 v22, v8, v11
	v_fma_f32 v25, -v10, v22, v8
	v_fmac_f32_e32 v22, v25, v11
	v_fma_f32 v8, -v10, v22, v8
	v_div_scale_f32 v10, s[4:5], v15, v15, v18
	v_rcp_f32_e32 v25, v10
	v_div_fmas_f32 v8, v8, v11, v22
	v_div_fixup_f32 v8, v8, v9, s6
	v_fma_f32 v11, -v10, v25, 1.0
	v_fmac_f32_e32 v25, v11, v25
	v_div_scale_f32 v11, vcc, v18, v15, v18
	v_mul_f32_e32 v22, v11, v25
	v_fma_f32 v26, -v10, v22, v11
	v_fmac_f32_e32 v22, v26, v25
	v_fma_f32 v10, -v10, v22, v11
	v_div_fmas_f32 v10, v10, v25, v22
	v_div_fixup_f32 v10, v10, v15, v18
	v_mul_f32_e32 v8, v8, v10
	v_mul_f32_e32 v10, v14, v14
	v_fmac_f32_e32 v19, 0xb94c1982, v10
	v_fmac_f32_e32 v21, v10, v19
	;; [unrolled: 1-line block ×3, first 2 shown]
	v_mul_f32_e32 v11, v10, v21
	v_fmac_f32_e32 v23, v10, v20
	v_fmac_f32_e32 v14, v14, v11
	;; [unrolled: 1-line block ×3, first 2 shown]
	v_and_b32_e32 v11, 1, v13
	v_fma_f32 v10, v10, v24, 1.0
	v_cmp_eq_u32_e32 vcc, 0, v11
	v_lshlrev_b32_e32 v11, 30, v13
	v_and_b32_e32 v11, 0x80000000, v11
	v_cndmask_b32_e64 v10, -v14, v10, vcc
	v_xor_b32_e32 v10, v11, v10
	v_cndmask_b32_e64 v10, v17, v10, s[2:3]
	s_mov_b32 s2, 0xf800000
	v_mul_f32_e32 v11, 0x4f800000, v9
	v_cmp_gt_f32_e32 vcc, s2, v9
	v_mul_f32_e32 v8, v8, v10
	v_fmac_f32_e32 v8, v16, v3
	v_cndmask_b32_e32 v9, v9, v11, vcc
	v_sqrt_f32_e32 v11, v9
	v_mul_f32_e32 v3, 0x3f4c422a, v8
	v_add_u32_e32 v8, -1, v11
	v_fma_f32 v10, -v8, v11, v9
	v_cmp_ge_f32_e64 s[2:3], 0, v10
	v_add_u32_e32 v10, 1, v11
	s_nop 0
	v_cndmask_b32_e64 v8, v11, v8, s[2:3]
	v_fma_f32 v11, -v10, v11, v9
	v_cmp_lt_f32_e64 s[2:3], 0, v11
	s_nop 1
	v_cndmask_b32_e64 v8, v8, v10, s[2:3]
	v_mul_f32_e32 v10, 0x37800000, v8
	v_cndmask_b32_e32 v8, v8, v10, vcc
	v_mov_b32_e32 v10, 0x260
	v_cmp_class_f32_e32 vcc, v9, v10
	s_nop 1
	v_cndmask_b32_e32 v8, v8, v9, vcc
	v_div_scale_f32 v9, s[2:3], v8, v8, v3
	v_rcp_f32_e32 v10, v9
	s_nop 0
	v_fma_f32 v11, -v9, v10, 1.0
	v_fmac_f32_e32 v10, v11, v10
	v_div_scale_f32 v11, vcc, v3, v8, v3
	v_mul_f32_e32 v13, v11, v10
	v_fma_f32 v14, -v9, v13, v11
	v_fmac_f32_e32 v13, v14, v10
	v_fma_f32 v9, -v9, v13, v11
	v_div_fmas_f32 v9, v9, v10, v13
	v_div_fixup_f32 v3, v9, v8, v3
.LBB20_51:
	s_or_b64 exec, exec, s[12:13]
.LBB20_52:
	s_or_b64 exec, exec, s[10:11]
	s_waitcnt vmcnt(0)
	v_or_b32_e32 v8, 0x200, v0
	v_cmp_gt_i32_e32 vcc, s19, v8
	s_and_saveexec_b64 s[10:11], vcc
	s_cbranch_execz .LBB20_74
; %bb.53:
	s_mov_b32 s2, 0x40a00000
	v_cmp_ge_f32_e32 vcc, s2, v7
	s_and_saveexec_b64 s[2:3], vcc
	s_xor_b64 s[4:5], exec, s[2:3]
	s_cbranch_execz .LBB20_63
; %bb.54:
	v_cmp_neq_f32_e32 vcc, 0, v7
	v_mov_b32_e32 v4, 0xff800000
	s_and_saveexec_b64 s[6:7], vcc
	s_cbranch_execz .LBB20_62
; %bb.55:
	v_cmp_ngt_f32_e32 vcc, 0, v7
	v_mov_b32_e32 v4, 0x7fc00000
	s_and_saveexec_b64 s[12:13], vcc
	s_cbranch_execz .LBB20_61
; %bb.56:
	v_mul_f32_e32 v4, v7, v7
	s_mov_b32 s2, 0x3727c5ac
	v_mul_f32_e32 v8, 0, v4
	v_cmp_ngt_f32_e32 vcc, s2, v7
                                        ; implicit-def: $vgpr9
	s_and_saveexec_b64 s[2:3], vcc
	s_xor_b64 s[2:3], exec, s[2:3]
	s_cbranch_execz .LBB20_58
; %bb.57:
	v_add_f32_e32 v9, 0x43f9c815, v8
	v_fmaak_f32 v9, v4, v9, 0x4829b65a
	v_fmaak_f32 v9, v4, v9, 0x4c38c9a1
	;; [unrolled: 1-line block ×3, first 2 shown]
	s_mov_b32 s14, 0xcf8ee29d
	v_mul_f32_e32 v9, v4, v9
	s_mov_b32 s15, 0x53f5f59c
	v_pk_add_f32 v[10:11], v[8:9], s[14:15]
	s_mov_b32 s14, 0x53e3ba8e
	s_mov_b32 s15, 0x578d3514
	v_pk_fma_f32 v[10:11], v[4:5], v[10:11], s[14:15] op_sel_hi:[0,1,1]
	s_mov_b32 s14, 0xd762b0a7
	s_mov_b32 s15, 0x5ae20a0c
	v_pk_fma_f32 v[10:11], v[4:5], v[10:11], s[14:15] op_sel_hi:[0,1,1]
	;; [unrolled: 3-line block ×3, first 2 shown]
	s_mov_b32 s14, 0xc0b90fdc
	s_mov_b32 s15, 0xc1f3c525
	v_pk_add_f32 v[14:15], v[4:5], s[14:15] op_sel_hi:[0,1]
	v_mul_f32_e32 v9, v14, v15
	v_mul_f32_e32 v9, v9, v10
	v_div_scale_f32 v10, s[14:15], v11, v11, v9
	v_rcp_f32_e32 v13, v10
	s_nop 0
	v_fma_f32 v14, -v10, v13, 1.0
	v_fmac_f32_e32 v13, v14, v13
	v_div_scale_f32 v14, vcc, v9, v11, v9
	v_mul_f32_e32 v15, v14, v13
	v_fma_f32 v16, -v10, v15, v14
	v_fmac_f32_e32 v15, v16, v13
	v_fma_f32 v10, -v10, v15, v14
	v_div_fmas_f32 v10, v10, v13, v15
	v_div_fixup_f32 v9, v10, v11, v9
.LBB20_58:
	s_andn2_saveexec_b64 s[2:3], s[2:3]
; %bb.59:
	v_mov_b32_e32 v9, 1.0
	v_fmamk_f32 v9, v4, 0xbe800000, v9
; %bb.60:
	s_or_b64 exec, exec, s[2:3]
	v_add_f32_e32 v10, 0x4673a1bf, v8
	v_fmaak_f32 v10, v4, v10, 0xcb5fc0fa
	v_add_f32_e32 v8, 0x44822913, v8
	v_fmaak_f32 v10, v4, v10, 0x4fa1fbc8
	v_fmaak_f32 v8, v4, v8, 0x4918dbb5
	;; [unrolled: 1-line block ×12, first 2 shown]
	v_div_scale_f32 v10, s[2:3], v8, v8, v4
	v_rcp_f32_e32 v11, v10
	s_mov_b32 s2, 0x800000
	v_cmp_gt_f32_e64 s[2:3], s2, v7
	s_mov_b32 s14, 0x3f317217
	v_fma_f32 v13, -v10, v11, 1.0
	v_fmac_f32_e32 v11, v13, v11
	v_div_scale_f32 v13, vcc, v4, v8, v4
	v_mul_f32_e32 v14, v13, v11
	v_fma_f32 v15, -v10, v14, v13
	v_fmac_f32_e32 v14, v15, v11
	v_fma_f32 v10, -v10, v14, v13
	v_mov_b32_e32 v13, 0x4f800000
	v_cndmask_b32_e64 v13, 1.0, v13, s[2:3]
	v_mul_f32_e32 v7, v7, v13
	v_log_f32_e32 v7, v7
	v_div_fmas_f32 v10, v10, v11, v14
	v_div_fixup_f32 v4, v10, v8, v4
	v_mul_f32_e32 v8, 0x3f317217, v7
	v_fma_f32 v10, v7, s14, -v8
	v_fmamk_f32 v10, v7, 0x3377d1cf, v10
	s_mov_b32 s14, 0x7f800000
	v_add_f32_e32 v8, v8, v10
	v_cmp_lt_f32_e64 vcc, |v7|, s14
	s_nop 1
	v_cndmask_b32_e32 v7, v7, v8, vcc
	v_mov_b32_e32 v8, 0x41b17218
	v_cndmask_b32_e64 v8, 0, v8, s[2:3]
	v_sub_f32_e32 v7, v7, v8
	v_mul_f32_e32 v7, 0x3f22f983, v7
	v_fmac_f32_e32 v4, v7, v9
.LBB20_61:
	s_or_b64 exec, exec, s[12:13]
.LBB20_62:
	s_or_b64 exec, exec, s[6:7]
                                        ; implicit-def: $vgpr7
.LBB20_63:
	s_andn2_saveexec_b64 s[12:13], s[4:5]
	s_cbranch_execz .LBB20_73
; %bb.64:
	v_add_f32_e32 v4, 0xbf490fdb, v7
	v_and_b32_e32 v8, 0x7fffffff, v4
	s_brev_b32 s2, 18
	v_cmp_nlt_f32_e64 s[14:15], |v4|, s2
	v_lshrrev_b32_e32 v14, 23, v8
                                        ; implicit-def: $vgpr9
                                        ; implicit-def: $vgpr10
	s_and_saveexec_b64 s[2:3], s[14:15]
	s_xor_b64 s[16:17], exec, s[2:3]
	s_cbranch_execz .LBB20_66
; %bb.65:
	v_add_u32_e32 v9, 0xffffff88, v14
	v_not_b32_e32 v10, 63
	v_cmp_lt_u32_e32 vcc, 63, v9
	s_mov_b32 s6, 0xfe5163ab
	v_mov_b32_e32 v11, 0
	v_cndmask_b32_e32 v10, 0, v10, vcc
	v_add_u32_e32 v9, v10, v9
	v_not_b32_e32 v10, 31
	v_cmp_lt_u32_e64 s[2:3], 31, v9
	s_nop 1
	v_cndmask_b32_e64 v13, 0, v10, s[2:3]
	v_add_u32_e32 v9, v13, v9
	v_cmp_lt_u32_e64 s[4:5], 31, v9
	s_nop 1
	v_cndmask_b32_e64 v10, 0, v10, s[4:5]
	v_add_u32_e32 v9, v10, v9
	v_and_b32_e32 v10, 0x7fffff, v8
	v_or_b32_e32 v13, 0x800000, v10
	v_mad_u64_u32 v[16:17], s[6:7], v13, s6, 0
	v_mov_b32_e32 v10, v17
	s_mov_b32 s6, 0x3c439041
	v_mad_u64_u32 v[18:19], s[6:7], v13, s6, v[10:11]
	v_mov_b32_e32 v10, v19
	s_mov_b32 s6, 0xdb629599
	;; [unrolled: 3-line block ×6, first 2 shown]
	v_mad_u64_u32 v[10:11], s[6:7], v13, s6, v[10:11]
	v_cndmask_b32_e32 v15, v26, v22, vcc
	v_cndmask_b32_e32 v10, v10, v24, vcc
	;; [unrolled: 1-line block ×3, first 2 shown]
	v_cndmask_b32_e64 v13, v10, v15, s[2:3]
	v_cndmask_b32_e64 v10, v11, v10, s[2:3]
	v_cndmask_b32_e32 v11, v24, v20, vcc
	v_cndmask_b32_e64 v15, v15, v11, s[2:3]
	v_cndmask_b32_e64 v10, v10, v13, s[4:5]
	;; [unrolled: 1-line block ×3, first 2 shown]
	v_sub_u32_e32 v17, 32, v9
	v_alignbit_b32 v19, v10, v13, v17
	v_cmp_eq_u32_e64 s[6:7], 0, v9
	v_cndmask_b32_e32 v16, v20, v16, vcc
	s_nop 0
	v_cndmask_b32_e64 v9, v19, v10, s[6:7]
	v_cndmask_b32_e32 v10, v22, v18, vcc
	v_cndmask_b32_e64 v11, v11, v10, s[2:3]
	v_cndmask_b32_e64 v15, v15, v11, s[4:5]
	v_alignbit_b32 v18, v13, v15, v17
	v_cndmask_b32_e64 v13, v18, v13, s[6:7]
	v_bfe_u32 v21, v9, 29, 1
	v_cndmask_b32_e64 v10, v10, v16, s[2:3]
	v_alignbit_b32 v18, v9, v13, 30
	v_sub_u32_e32 v22, 0, v21
	v_cndmask_b32_e64 v10, v11, v10, s[4:5]
	v_xor_b32_e32 v23, v18, v22
	v_alignbit_b32 v11, v15, v10, v17
	v_cndmask_b32_e64 v11, v11, v15, s[6:7]
	v_ffbh_u32_e32 v15, v23
	v_add_u32_e32 v15, 1, v15
	v_cmp_ne_u32_e32 vcc, v18, v22
	v_alignbit_b32 v13, v13, v11, 30
	v_alignbit_b32 v10, v11, v10, 30
	v_cndmask_b32_e32 v15, 33, v15, vcc
	v_xor_b32_e32 v13, v13, v22
	v_sub_u32_e32 v16, 32, v15
	v_xor_b32_e32 v10, v10, v22
	v_alignbit_b32 v17, v23, v13, v16
	v_alignbit_b32 v10, v13, v10, v16
	;; [unrolled: 1-line block ×3, first 2 shown]
	v_ffbh_u32_e32 v13, v11
	v_min_u32_e32 v13, 32, v13
	v_lshrrev_b32_e32 v19, 29, v9
	v_sub_u32_e32 v16, 31, v13
	v_alignbit_b32 v10, v11, v10, v16
	v_lshlrev_b32_e32 v11, 31, v19
	v_or_b32_e32 v16, 0x33800000, v11
	v_add_lshl_u32 v13, v13, v15, 23
	v_lshrrev_b32_e32 v10, 9, v10
	v_sub_u32_e32 v13, v16, v13
	v_or_b32_e32 v10, v13, v10
	v_alignbit_b32 v13, v15, v17, 9
	v_or_b32_e32 v11, v13, v11
	v_xor_b32_e32 v11, 1.0, v11
	s_mov_b32 s2, 0x3fc90fda
	v_mul_f32_e32 v13, 0x3fc90fda, v11
	v_fma_f32 v15, v11, s2, -v13
	v_fmamk_f32 v11, v11, 0x33a22168, v15
	v_fmac_f32_e32 v11, 0x3fc90fda, v10
	v_lshrrev_b32_e32 v9, 30, v9
	v_add_f32_e32 v10, v13, v11
	v_add_u32_e32 v9, v21, v9
	s_andn2_saveexec_b64 s[2:3], s[16:17]
	s_branch .LBB20_67
.LBB20_66:
	s_andn2_saveexec_b64 s[2:3], s[16:17]
.LBB20_67:
	s_mov_b32 s4, 0x3f22f983
	v_mul_f32_e64 v9, |v4|, s4
	v_rndne_f32_e32 v10, v9
	s_mov_b32 s4, 0xbfc90fda
	v_cvt_i32_f32_e32 v9, v10
	v_fma_f32 v11, v10, s4, |v4|
	v_fmamk_f32 v11, v10, 0xb3a22168, v11
	v_fmamk_f32 v10, v10, 0xa7c234c4, v11
; %bb.68:
	s_or_b64 exec, exec, s[2:3]
                                        ; implicit-def: $vgpr11
                                        ; implicit-def: $vgpr13
	s_and_saveexec_b64 s[2:3], s[14:15]
	s_xor_b64 s[14:15], exec, s[2:3]
	s_cbranch_execz .LBB20_70
; %bb.69:
	v_add_u32_e32 v11, 0xffffff88, v14
	v_not_b32_e32 v13, 63
	v_cmp_lt_u32_e32 vcc, 63, v11
	s_mov_b32 s6, 0xfe5163ab
	v_mov_b32_e32 v15, 0
	v_cndmask_b32_e32 v13, 0, v13, vcc
	v_add_u32_e32 v11, v13, v11
	v_not_b32_e32 v13, 31
	v_cmp_lt_u32_e64 s[2:3], 31, v11
	s_nop 1
	v_cndmask_b32_e64 v14, 0, v13, s[2:3]
	v_add_u32_e32 v11, v14, v11
	v_cmp_lt_u32_e64 s[4:5], 31, v11
	s_nop 1
	v_cndmask_b32_e64 v13, 0, v13, s[4:5]
	v_add_u32_e32 v11, v13, v11
	v_and_b32_e32 v13, 0x7fffff, v8
	v_or_b32_e32 v13, 0x800000, v13
	v_mad_u64_u32 v[16:17], s[6:7], v13, s6, 0
	v_mov_b32_e32 v14, v17
	s_mov_b32 s6, 0x3c439041
	v_mad_u64_u32 v[18:19], s[6:7], v13, s6, v[14:15]
	v_mov_b32_e32 v14, v19
	s_mov_b32 s6, 0xdb629599
	;; [unrolled: 3-line block ×6, first 2 shown]
	v_mad_u64_u32 v[14:15], s[6:7], v13, s6, v[14:15]
	v_cndmask_b32_e32 v17, v26, v22, vcc
	v_cndmask_b32_e32 v13, v14, v24, vcc
	;; [unrolled: 1-line block ×3, first 2 shown]
	v_cndmask_b32_e64 v14, v13, v17, s[2:3]
	v_cndmask_b32_e64 v13, v15, v13, s[2:3]
	v_cndmask_b32_e32 v15, v24, v20, vcc
	v_cndmask_b32_e64 v17, v17, v15, s[2:3]
	v_cndmask_b32_e64 v13, v13, v14, s[4:5]
	;; [unrolled: 1-line block ×3, first 2 shown]
	v_sub_u32_e32 v19, 32, v11
	v_alignbit_b32 v21, v13, v14, v19
	v_cmp_eq_u32_e64 s[6:7], 0, v11
	v_cndmask_b32_e32 v16, v20, v16, vcc
	s_nop 0
	v_cndmask_b32_e64 v11, v21, v13, s[6:7]
	v_cndmask_b32_e32 v13, v22, v18, vcc
	v_cndmask_b32_e64 v15, v15, v13, s[2:3]
	v_cndmask_b32_e64 v17, v17, v15, s[4:5]
	v_alignbit_b32 v18, v14, v17, v19
	v_cndmask_b32_e64 v14, v18, v14, s[6:7]
	v_bfe_u32 v22, v11, 29, 1
	v_alignbit_b32 v18, v11, v14, 30
	v_sub_u32_e32 v23, 0, v22
	v_cndmask_b32_e64 v13, v13, v16, s[2:3]
	v_xor_b32_e32 v24, v18, v23
	v_cndmask_b32_e64 v13, v15, v13, s[4:5]
	v_alignbit_b32 v15, v17, v13, v19
	v_ffbh_u32_e32 v16, v24
	v_cndmask_b32_e64 v15, v15, v17, s[6:7]
	v_add_u32_e32 v16, 1, v16
	v_cmp_ne_u32_e32 vcc, v18, v23
	v_alignbit_b32 v14, v14, v15, 30
	v_alignbit_b32 v13, v15, v13, 30
	v_cndmask_b32_e32 v16, 33, v16, vcc
	v_xor_b32_e32 v14, v14, v23
	v_sub_u32_e32 v17, 32, v16
	v_xor_b32_e32 v13, v13, v23
	v_alignbit_b32 v18, v24, v14, v17
	v_alignbit_b32 v13, v14, v13, v17
	;; [unrolled: 1-line block ×3, first 2 shown]
	v_ffbh_u32_e32 v15, v14
	v_min_u32_e32 v15, 32, v15
	v_lshrrev_b32_e32 v21, 29, v11
	v_sub_u32_e32 v17, 31, v15
	v_alignbit_b32 v13, v14, v13, v17
	v_lshlrev_b32_e32 v14, 31, v21
	v_or_b32_e32 v17, 0x33800000, v14
	v_add_lshl_u32 v15, v15, v16, 23
	v_lshrrev_b32_e32 v13, 9, v13
	v_sub_u32_e32 v15, v17, v15
	v_or_b32_e32 v13, v15, v13
	v_alignbit_b32 v15, v16, v18, 9
	v_or_b32_e32 v14, v15, v14
	v_xor_b32_e32 v14, 1.0, v14
	s_mov_b32 s2, 0x3fc90fda
	v_mul_f32_e32 v15, 0x3fc90fda, v14
	v_fma_f32 v16, v14, s2, -v15
	v_fmamk_f32 v14, v14, 0x33a22168, v16
	v_fmac_f32_e32 v14, 0x3fc90fda, v13
	v_lshrrev_b32_e32 v11, 30, v11
	v_add_f32_e32 v13, v15, v14
	v_add_u32_e32 v11, v22, v11
	s_andn2_saveexec_b64 s[2:3], s[14:15]
	s_cbranch_execnz .LBB20_71
	s_branch .LBB20_72
.LBB20_70:
	s_andn2_saveexec_b64 s[2:3], s[14:15]
.LBB20_71:
	s_mov_b32 s4, 0x3f22f983
	v_mul_f32_e64 v11, |v4|, s4
	v_rndne_f32_e32 v13, v11
	s_mov_b32 s4, 0xbfc90fda
	v_cvt_i32_f32_e32 v11, v13
	v_fma_f32 v14, v13, s4, |v4|
	v_fmamk_f32 v14, v13, 0xb3a22168, v14
	v_fmamk_f32 v13, v13, 0xa7c234c4, v14
.LBB20_72:
	s_or_b64 exec, exec, s[2:3]
	v_mul_f32_e32 v14, v7, v7
	s_mov_b32 s4, 0x41c80000
	v_div_scale_f32 v15, s[2:3], v14, v14, s4
	v_rcp_f32_e32 v16, v15
	v_xor_b32_e32 v8, v8, v4
	s_mov_b32 s6, 0x40a00000
	v_mov_b32_e32 v23, 0xbf000004
	v_fma_f32 v17, -v15, v16, 1.0
	v_fmac_f32_e32 v16, v17, v16
	v_div_scale_f32 v17, vcc, s4, v14, s4
	v_mul_f32_e32 v18, v17, v16
	v_fma_f32 v19, -v15, v18, v17
	v_fmac_f32_e32 v18, v19, v16
	v_fma_f32 v15, -v15, v18, v17
	v_div_fmas_f32 v15, v15, v16, v18
	v_div_fixup_f32 v14, v15, v14, s4
	v_mov_b32_e32 v15, 0x3a50e985
	v_mov_b32_e32 v16, 0x3a725406
	v_fmac_f32_e32 v15, 0, v14
	v_fmac_f32_e32 v16, 0, v14
	v_fmaak_f32 v15, v14, v15, 0x3da9a586
	v_fmaak_f32 v16, v14, v16, 0x3daf5e2d
	;; [unrolled: 1-line block ×8, first 2 shown]
	v_mov_b32_e32 v17, 0xbc3a3a12
	v_fmaak_f32 v15, v14, v15, 0x40a9b425
	v_fmaak_f32 v16, v14, v16, 0x40a9cb2f
	v_fmac_f32_e32 v17, 0, v14
	v_mov_b32_e32 v18, 0x4280a2ba
	v_fma_f32 v16, v14, v16, 1.0
	v_fmaak_f32 v17, v14, v17, 0xbfa429da
	v_fmac_f32_e32 v18, 0, v14
	v_fma_f32 v15, v14, v15, 1.0
	v_fmaak_f32 v17, v14, v17, 0xc19c6e80
	v_fmaak_f32 v18, v14, v18, 0x44561b86
	v_div_scale_f32 v19, s[2:3], v16, v16, v15
	v_fmaak_f32 v17, v14, v17, 0xc2ba697b
	v_fmaak_f32 v18, v14, v18, 0x4572a66e
	v_rcp_f32_e32 v20, v19
	v_fmaak_f32 v17, v14, v17, 0xc331ae61
	v_fmaak_f32 v18, v14, v18, 0x45e243be
	;; [unrolled: 1-line block ×8, first 2 shown]
	v_fma_f32 v18, -v19, v20, 1.0
	v_fmac_f32_e32 v20, v18, v20
	v_div_scale_f32 v18, vcc, v15, v16, v15
	v_mul_f32_e32 v21, v18, v20
	v_fma_f32 v22, -v19, v21, v18
	v_fmac_f32_e32 v21, v22, v20
	v_fma_f32 v18, -v19, v21, v18
	v_div_fmas_f32 v18, v18, v20, v21
	v_div_fixup_f32 v15, v18, v16, v15
	v_mul_f32_e32 v16, v10, v10
	v_mov_b32_e32 v18, 0x3c0881c4
	v_fmamk_f32 v19, v16, 0xb94c1982, v18
	v_fmaak_f32 v19, v16, v19, 0xbe2aaa9d
	v_mul_f32_e32 v19, v16, v19
	v_fmac_f32_e32 v10, v10, v19
	v_mov_b32_e32 v19, 0xbab64f3b
	v_fmamk_f32 v21, v16, 0x37d75334, v19
	v_fmaak_f32 v21, v16, v21, 0x3d2aabf7
	v_fmaak_f32 v21, v16, v21, 0xbf000004
	v_fma_f32 v16, v16, v21, 1.0
	v_and_b32_e32 v21, 1, v9
	v_lshlrev_b32_e32 v9, 30, v9
	v_cmp_eq_u32_e32 vcc, 0, v21
	v_and_b32_e32 v9, 0x80000000, v9
	v_xor_b32_e32 v8, v8, v9
	v_cndmask_b32_e32 v10, v16, v10, vcc
	v_div_scale_f32 v9, s[2:3], v7, v7, s6
	v_xor_b32_e32 v8, v8, v10
	v_rcp_f32_e32 v10, v9
	s_movk_i32 s4, 0x1f8
	v_mov_b32_e32 v16, 0x7fc00000
	v_cmp_class_f32_e64 s[2:3], v4, s4
	v_mov_b32_e32 v20, 0xbe2aaa9d
	v_mov_b32_e32 v22, 0x3d2aabf7
	v_cndmask_b32_e64 v4, v16, v8, s[2:3]
	v_fma_f32 v8, -v9, v10, 1.0
	v_fmac_f32_e32 v10, v8, v10
	v_div_scale_f32 v8, vcc, s6, v7, s6
	v_mul_f32_e32 v21, v8, v10
	v_fma_f32 v24, -v9, v21, v8
	v_fmac_f32_e32 v21, v24, v10
	v_fma_f32 v8, -v9, v21, v8
	v_div_scale_f32 v9, s[4:5], v14, v14, v17
	v_rcp_f32_e32 v24, v9
	v_div_fmas_f32 v8, v8, v10, v21
	v_div_fixup_f32 v8, v8, v7, s6
	v_fma_f32 v10, -v9, v24, 1.0
	v_fmac_f32_e32 v24, v10, v24
	v_div_scale_f32 v10, vcc, v17, v14, v17
	v_mul_f32_e32 v21, v10, v24
	v_fma_f32 v25, -v9, v21, v10
	v_fmac_f32_e32 v21, v25, v24
	v_fma_f32 v9, -v9, v21, v10
	v_div_fmas_f32 v9, v9, v24, v21
	v_div_fixup_f32 v9, v9, v14, v17
	v_mul_f32_e32 v8, v8, v9
	v_mul_f32_e32 v9, v13, v13
	v_fmac_f32_e32 v18, 0xb94c1982, v9
	v_fmac_f32_e32 v20, v9, v18
	;; [unrolled: 1-line block ×3, first 2 shown]
	v_mul_f32_e32 v10, v9, v20
	v_fmac_f32_e32 v22, v9, v19
	v_fmac_f32_e32 v13, v13, v10
	v_fmac_f32_e32 v23, v9, v22
	v_and_b32_e32 v10, 1, v11
	v_fma_f32 v9, v9, v23, 1.0
	v_cmp_eq_u32_e32 vcc, 0, v10
	v_lshlrev_b32_e32 v10, 30, v11
	v_and_b32_e32 v10, 0x80000000, v10
	v_cndmask_b32_e64 v9, -v13, v9, vcc
	v_xor_b32_e32 v9, v10, v9
	v_cndmask_b32_e64 v9, v16, v9, s[2:3]
	s_mov_b32 s2, 0xf800000
	v_mul_f32_e32 v10, 0x4f800000, v7
	v_cmp_gt_f32_e32 vcc, s2, v7
	v_mul_f32_e32 v8, v8, v9
	v_fmac_f32_e32 v8, v15, v4
	v_cndmask_b32_e32 v7, v7, v10, vcc
	v_sqrt_f32_e32 v10, v7
	v_mul_f32_e32 v4, 0x3f4c422a, v8
	v_add_u32_e32 v8, -1, v10
	v_fma_f32 v9, -v8, v10, v7
	v_cmp_ge_f32_e64 s[2:3], 0, v9
	v_add_u32_e32 v9, 1, v10
	s_nop 0
	v_cndmask_b32_e64 v8, v10, v8, s[2:3]
	v_fma_f32 v10, -v9, v10, v7
	v_cmp_lt_f32_e64 s[2:3], 0, v10
	s_nop 1
	v_cndmask_b32_e64 v8, v8, v9, s[2:3]
	v_mul_f32_e32 v9, 0x37800000, v8
	v_cndmask_b32_e32 v8, v8, v9, vcc
	v_mov_b32_e32 v9, 0x260
	v_cmp_class_f32_e32 vcc, v7, v9
	s_nop 1
	v_cndmask_b32_e32 v7, v8, v7, vcc
	v_div_scale_f32 v8, s[2:3], v7, v7, v4
	v_rcp_f32_e32 v9, v8
	s_nop 0
	v_fma_f32 v10, -v8, v9, 1.0
	v_fmac_f32_e32 v9, v10, v9
	v_div_scale_f32 v10, vcc, v4, v7, v4
	v_mul_f32_e32 v11, v10, v9
	v_fma_f32 v13, -v8, v11, v10
	v_fmac_f32_e32 v11, v13, v9
	v_fma_f32 v8, -v8, v11, v10
	v_div_fmas_f32 v8, v8, v9, v11
	v_div_fixup_f32 v4, v8, v7, v4
.LBB20_73:
	s_or_b64 exec, exec, s[12:13]
.LBB20_74:
	s_or_b64 exec, exec, s[10:11]
	v_or_b32_e32 v7, 0x300, v0
	v_cmp_gt_i32_e32 vcc, s19, v7
	s_and_saveexec_b64 s[10:11], vcc
	s_cbranch_execz .LBB20_88
; %bb.75:
	s_mov_b32 s2, 0x40a00000
	v_cmp_ge_f32_e32 vcc, s2, v1
	s_and_saveexec_b64 s[2:3], vcc
	s_xor_b64 s[4:5], exec, s[2:3]
	s_cbranch_execz .LBB20_85
; %bb.76:
	v_cmp_neq_f32_e32 vcc, 0, v1
	v_mov_b32_e32 v5, 0xff800000
	s_and_saveexec_b64 s[6:7], vcc
	s_cbranch_execz .LBB20_84
; %bb.77:
	v_cmp_ngt_f32_e32 vcc, 0, v1
	v_mov_b32_e32 v5, 0x7fc00000
	s_and_saveexec_b64 s[12:13], vcc
	s_cbranch_execz .LBB20_83
; %bb.78:
	v_mul_f32_e32 v8, v1, v1
	s_mov_b32 s2, 0x3727c5ac
	v_mul_f32_e32 v10, 0, v8
	v_cmp_ngt_f32_e32 vcc, s2, v1
                                        ; implicit-def: $vgpr7
	s_and_saveexec_b64 s[2:3], vcc
	s_xor_b64 s[2:3], exec, s[2:3]
	s_cbranch_execz .LBB20_80
; %bb.79:
	v_add_f32_e32 v5, 0x43f9c815, v10
	v_fmaak_f32 v5, v8, v5, 0x4829b65a
	v_fmaak_f32 v5, v8, v5, 0x4c38c9a1
	v_fmaak_f32 v5, v8, v5, 0x5026ad80
	s_mov_b32 s14, 0xcf8ee29d
	v_mul_f32_e32 v11, v8, v5
	s_mov_b32 s15, 0x53f5f59c
	v_pk_add_f32 v[14:15], v[10:11], s[14:15]
	s_mov_b32 s14, 0x53e3ba8e
	s_mov_b32 s15, 0x578d3514
	v_pk_fma_f32 v[14:15], v[8:9], v[14:15], s[14:15] op_sel_hi:[0,1,1]
	s_mov_b32 s14, 0xd762b0a7
	s_mov_b32 s15, 0x5ae20a0c
	v_pk_fma_f32 v[14:15], v[8:9], v[14:15], s[14:15] op_sel_hi:[0,1,1]
	;; [unrolled: 3-line block ×3, first 2 shown]
	s_mov_b32 s14, 0xc0b90fdc
	s_mov_b32 s15, 0xc1f3c525
	v_pk_add_f32 v[16:17], v[8:9], s[14:15] op_sel_hi:[0,1]
	v_mul_f32_e32 v5, v16, v17
	v_mul_f32_e32 v5, v5, v14
	v_div_scale_f32 v7, s[14:15], v15, v15, v5
	v_rcp_f32_e32 v9, v7
	s_nop 0
	v_fma_f32 v11, -v7, v9, 1.0
	v_fmac_f32_e32 v9, v11, v9
	v_div_scale_f32 v11, vcc, v5, v15, v5
	v_mul_f32_e32 v13, v11, v9
	v_fma_f32 v14, -v7, v13, v11
	v_fmac_f32_e32 v13, v14, v9
	v_fma_f32 v7, -v7, v13, v11
	v_div_fmas_f32 v7, v7, v9, v13
	v_div_fixup_f32 v7, v7, v15, v5
.LBB20_80:
	s_andn2_saveexec_b64 s[2:3], s[2:3]
; %bb.81:
	v_mov_b32_e32 v5, 1.0
	v_fmamk_f32 v7, v8, 0xbe800000, v5
; %bb.82:
	s_or_b64 exec, exec, s[2:3]
	v_add_f32_e32 v5, 0x4673a1bf, v10
	v_fmaak_f32 v5, v8, v5, 0xcb5fc0fa
	v_add_f32_e32 v9, 0x44822913, v10
	v_fmaak_f32 v5, v8, v5, 0x4fa1fbc8
	v_fmaak_f32 v9, v8, v9, 0x4918dbb5
	;; [unrolled: 1-line block ×12, first 2 shown]
	v_div_scale_f32 v8, s[2:3], v9, v9, v5
	v_rcp_f32_e32 v10, v8
	s_mov_b32 s2, 0x800000
	v_cmp_gt_f32_e64 s[2:3], s2, v1
	s_mov_b32 s14, 0x3f317217
	v_fma_f32 v11, -v8, v10, 1.0
	v_fmac_f32_e32 v10, v11, v10
	v_div_scale_f32 v11, vcc, v5, v9, v5
	v_mul_f32_e32 v13, v11, v10
	v_fma_f32 v14, -v8, v13, v11
	v_fmac_f32_e32 v13, v14, v10
	v_fma_f32 v8, -v8, v13, v11
	v_mov_b32_e32 v11, 0x4f800000
	v_cndmask_b32_e64 v11, 1.0, v11, s[2:3]
	v_mul_f32_e32 v1, v1, v11
	v_log_f32_e32 v1, v1
	v_div_fmas_f32 v8, v8, v10, v13
	v_div_fixup_f32 v5, v8, v9, v5
	v_mul_f32_e32 v8, 0x3f317217, v1
	v_fma_f32 v9, v1, s14, -v8
	v_fmamk_f32 v9, v1, 0x3377d1cf, v9
	s_mov_b32 s14, 0x7f800000
	v_add_f32_e32 v8, v8, v9
	v_cmp_lt_f32_e64 vcc, |v1|, s14
	s_nop 1
	v_cndmask_b32_e32 v1, v1, v8, vcc
	v_mov_b32_e32 v8, 0x41b17218
	v_cndmask_b32_e64 v8, 0, v8, s[2:3]
	v_sub_f32_e32 v1, v1, v8
	v_mul_f32_e32 v1, 0x3f22f983, v1
	v_fmac_f32_e32 v5, v1, v7
.LBB20_83:
	s_or_b64 exec, exec, s[12:13]
.LBB20_84:
	s_or_b64 exec, exec, s[6:7]
                                        ; implicit-def: $vgpr1
.LBB20_85:
	s_andn2_saveexec_b64 s[12:13], s[4:5]
	s_cbranch_execz .LBB20_100
; %bb.86:
	v_add_f32_e32 v5, 0xbf490fdb, v1
	v_and_b32_e32 v7, 0x7fffffff, v5
	s_brev_b32 s2, 18
	v_cmp_nlt_f32_e64 s[14:15], |v5|, s2
	v_lshrrev_b32_e32 v13, 23, v7
                                        ; implicit-def: $vgpr8
                                        ; implicit-def: $vgpr9
	s_and_saveexec_b64 s[2:3], s[14:15]
	s_xor_b64 s[16:17], exec, s[2:3]
	s_cbranch_execz .LBB20_93
; %bb.87:
	v_add_u32_e32 v8, 0xffffff88, v13
	v_not_b32_e32 v10, 63
	v_cmp_lt_u32_e32 vcc, 63, v8
	s_mov_b32 s6, 0xfe5163ab
	v_mov_b32_e32 v9, 0
	v_cndmask_b32_e32 v10, 0, v10, vcc
	v_add_u32_e32 v8, v10, v8
	v_not_b32_e32 v10, 31
	v_cmp_lt_u32_e64 s[2:3], 31, v8
	s_nop 1
	v_cndmask_b32_e64 v11, 0, v10, s[2:3]
	v_add_u32_e32 v8, v11, v8
	v_cmp_lt_u32_e64 s[4:5], 31, v8
	s_nop 1
	v_cndmask_b32_e64 v10, 0, v10, s[4:5]
	v_add_u32_e32 v24, v10, v8
	v_and_b32_e32 v8, 0x7fffff, v7
	v_or_b32_e32 v25, 0x800000, v8
	v_mad_u64_u32 v[10:11], s[6:7], v25, s6, 0
	v_mov_b32_e32 v8, v11
	s_mov_b32 s6, 0x3c439041
	v_mad_u64_u32 v[14:15], s[6:7], v25, s6, v[8:9]
	v_mov_b32_e32 v8, v15
	s_mov_b32 s6, 0xdb629599
	;; [unrolled: 3-line block ×6, first 2 shown]
	v_mad_u64_u32 v[8:9], s[6:7], v25, s6, v[8:9]
	v_cndmask_b32_e32 v11, v22, v18, vcc
	v_cndmask_b32_e32 v8, v8, v20, vcc
	;; [unrolled: 1-line block ×3, first 2 shown]
	v_cndmask_b32_e64 v15, v8, v11, s[2:3]
	v_cndmask_b32_e64 v8, v9, v8, s[2:3]
	v_cndmask_b32_e32 v9, v20, v16, vcc
	v_cndmask_b32_e64 v11, v11, v9, s[2:3]
	v_cndmask_b32_e32 v14, v18, v14, vcc
	v_cndmask_b32_e64 v8, v8, v15, s[4:5]
	v_cndmask_b32_e64 v15, v15, v11, s[4:5]
	v_sub_u32_e32 v17, 32, v24
	v_cndmask_b32_e64 v9, v9, v14, s[2:3]
	v_alignbit_b32 v19, v8, v15, v17
	v_cmp_eq_u32_e64 s[6:7], 0, v24
	v_cndmask_b32_e64 v11, v11, v9, s[4:5]
	v_alignbit_b32 v18, v15, v11, v17
	v_cndmask_b32_e64 v8, v19, v8, s[6:7]
	v_cndmask_b32_e64 v15, v18, v15, s[6:7]
	v_bfe_u32 v20, v8, 29, 1
	v_cndmask_b32_e32 v10, v16, v10, vcc
	v_alignbit_b32 v18, v8, v15, 30
	v_sub_u32_e32 v21, 0, v20
	v_cndmask_b32_e64 v10, v14, v10, s[2:3]
	v_xor_b32_e32 v22, v18, v21
	v_cndmask_b32_e64 v9, v9, v10, s[4:5]
	v_alignbit_b32 v10, v11, v9, v17
	v_ffbh_u32_e32 v14, v22
	v_cndmask_b32_e64 v10, v10, v11, s[6:7]
	v_add_u32_e32 v14, 1, v14
	v_cmp_ne_u32_e32 vcc, v18, v21
	v_alignbit_b32 v11, v15, v10, 30
	v_alignbit_b32 v9, v10, v9, 30
	v_cndmask_b32_e32 v14, 33, v14, vcc
	v_xor_b32_e32 v11, v11, v21
	v_sub_u32_e32 v15, 32, v14
	v_xor_b32_e32 v9, v9, v21
	v_alignbit_b32 v16, v22, v11, v15
	v_alignbit_b32 v9, v11, v9, v15
	;; [unrolled: 1-line block ×3, first 2 shown]
	v_ffbh_u32_e32 v11, v10
	v_min_u32_e32 v11, 32, v11
	v_lshrrev_b32_e32 v19, 29, v8
	v_sub_u32_e32 v15, 31, v11
	v_alignbit_b32 v9, v10, v9, v15
	v_lshlrev_b32_e32 v10, 31, v19
	v_or_b32_e32 v15, 0x33800000, v10
	v_add_lshl_u32 v11, v11, v14, 23
	v_lshrrev_b32_e32 v9, 9, v9
	v_sub_u32_e32 v11, v15, v11
	v_or_b32_e32 v9, v11, v9
	v_alignbit_b32 v11, v14, v16, 9
	v_or_b32_e32 v10, v11, v10
	v_xor_b32_e32 v10, 1.0, v10
	s_mov_b32 s2, 0x3fc90fda
	v_mul_f32_e32 v11, 0x3fc90fda, v10
	v_fma_f32 v14, v10, s2, -v11
	v_fmamk_f32 v10, v10, 0x33a22168, v14
	v_fmac_f32_e32 v10, 0x3fc90fda, v9
	v_lshrrev_b32_e32 v8, 30, v8
	v_add_f32_e32 v9, v11, v10
	v_add_u32_e32 v8, v20, v8
	s_andn2_saveexec_b64 s[2:3], s[16:17]
	s_branch .LBB20_94
.LBB20_88:
	s_or_b64 exec, exec, s[10:11]
	s_and_saveexec_b64 s[2:3], s[0:1]
	s_xor_b64 s[0:1], exec, s[2:3]
	s_cbranch_execz .LBB20_101
.LBB20_89:
	v_mov_b32_e32 v7, 0
	v_lshl_add_u64 v[0:1], v[6:7], 2, s[8:9]
	global_store_dword v[0:1], v2, off
	v_mov_b32_e32 v0, v12
	s_or_b64 exec, exec, s[0:1]
	v_cmp_gt_i32_e32 vcc, s19, v0
	s_and_saveexec_b64 s[0:1], vcc
	s_cbranch_execnz .LBB20_102
.LBB20_90:
	s_or_b64 exec, exec, s[0:1]
	v_cmp_gt_i32_e32 vcc, s19, v0
	s_and_saveexec_b64 s[0:1], vcc
	s_cbranch_execz .LBB20_103
.LBB20_91:
	v_add_u32_e32 v2, 0x100, v0
	v_add_u32_e32 v0, s18, v0
	v_mov_b32_e32 v1, 0
	v_lshl_add_u64 v[0:1], v[0:1], 2, s[8:9]
	global_store_dword v[0:1], v4, off
	v_mov_b32_e32 v0, v2
	s_or_b64 exec, exec, s[0:1]
	v_cmp_gt_i32_e32 vcc, s19, v0
	s_and_saveexec_b64 s[0:1], vcc
	s_cbranch_execnz .LBB20_104
.LBB20_92:
	s_endpgm
.LBB20_93:
	s_andn2_saveexec_b64 s[2:3], s[16:17]
.LBB20_94:
	s_mov_b32 s4, 0x3f22f983
	v_mul_f32_e64 v8, |v5|, s4
	v_rndne_f32_e32 v9, v8
	s_mov_b32 s4, 0xbfc90fda
	v_cvt_i32_f32_e32 v8, v9
	v_fma_f32 v10, v9, s4, |v5|
	v_fmamk_f32 v10, v9, 0xb3a22168, v10
	v_fmamk_f32 v9, v9, 0xa7c234c4, v10
; %bb.95:
	s_or_b64 exec, exec, s[2:3]
                                        ; implicit-def: $vgpr10
                                        ; implicit-def: $vgpr11
	s_and_saveexec_b64 s[2:3], s[14:15]
	s_xor_b64 s[14:15], exec, s[2:3]
	s_cbranch_execz .LBB20_97
; %bb.96:
	v_add_u32_e32 v10, 0xffffff88, v13
	v_not_b32_e32 v13, 63
	v_cmp_lt_u32_e32 vcc, 63, v10
	s_mov_b32 s6, 0xfe5163ab
	v_mov_b32_e32 v11, 0
	v_cndmask_b32_e32 v13, 0, v13, vcc
	v_add_u32_e32 v10, v13, v10
	v_not_b32_e32 v13, 31
	v_cmp_lt_u32_e64 s[2:3], 31, v10
	s_nop 1
	v_cndmask_b32_e64 v14, 0, v13, s[2:3]
	v_add_u32_e32 v10, v14, v10
	v_cmp_lt_u32_e64 s[4:5], 31, v10
	s_nop 1
	v_cndmask_b32_e64 v13, 0, v13, s[4:5]
	v_add_u32_e32 v13, v13, v10
	v_and_b32_e32 v10, 0x7fffff, v7
	v_or_b32_e32 v26, 0x800000, v10
	v_mad_u64_u32 v[14:15], s[6:7], v26, s6, 0
	v_mov_b32_e32 v10, v15
	s_mov_b32 s6, 0x3c439041
	v_mad_u64_u32 v[16:17], s[6:7], v26, s6, v[10:11]
	v_mov_b32_e32 v10, v17
	s_mov_b32 s6, 0xdb629599
	v_mad_u64_u32 v[18:19], s[6:7], v26, s6, v[10:11]
	v_mov_b32_e32 v10, v19
	s_mov_b32 s6, 0xf534ddc0
	v_mad_u64_u32 v[20:21], s[6:7], v26, s6, v[10:11]
	v_mov_b32_e32 v10, v21
	s_mov_b32 s6, 0xfc2757d1
	v_mad_u64_u32 v[22:23], s[6:7], v26, s6, v[10:11]
	v_mov_b32_e32 v10, v23
	s_mov_b32 s6, 0x4e441529
	v_mad_u64_u32 v[24:25], s[6:7], v26, s6, v[10:11]
	v_mov_b32_e32 v10, v25
	s_mov_b32 s6, 0xa2f9836e
	v_mad_u64_u32 v[10:11], s[6:7], v26, s6, v[10:11]
	v_cndmask_b32_e32 v15, v24, v20, vcc
	v_cndmask_b32_e32 v10, v10, v22, vcc
	;; [unrolled: 1-line block ×3, first 2 shown]
	v_cndmask_b32_e64 v17, v10, v15, s[2:3]
	v_cndmask_b32_e64 v10, v11, v10, s[2:3]
	v_cndmask_b32_e32 v11, v22, v18, vcc
	v_cndmask_b32_e64 v15, v15, v11, s[2:3]
	v_sub_u32_e32 v19, 32, v13
	v_cmp_eq_u32_e64 s[6:7], 0, v13
	v_cndmask_b32_e32 v13, v20, v16, vcc
	v_cndmask_b32_e64 v10, v10, v17, s[4:5]
	v_cndmask_b32_e64 v17, v17, v15, s[4:5]
	;; [unrolled: 1-line block ×3, first 2 shown]
	v_alignbit_b32 v21, v10, v17, v19
	v_cndmask_b32_e64 v15, v15, v11, s[4:5]
	v_cndmask_b32_e64 v10, v21, v10, s[6:7]
	v_alignbit_b32 v16, v17, v15, v19
	v_cndmask_b32_e32 v14, v18, v14, vcc
	v_cndmask_b32_e64 v16, v16, v17, s[6:7]
	v_bfe_u32 v21, v10, 29, 1
	v_cndmask_b32_e64 v13, v13, v14, s[2:3]
	v_alignbit_b32 v17, v10, v16, 30
	v_sub_u32_e32 v22, 0, v21
	v_cndmask_b32_e64 v11, v11, v13, s[4:5]
	v_xor_b32_e32 v23, v17, v22
	v_alignbit_b32 v13, v15, v11, v19
	v_cndmask_b32_e64 v13, v13, v15, s[6:7]
	v_ffbh_u32_e32 v15, v23
	v_add_u32_e32 v15, 1, v15
	v_cmp_ne_u32_e32 vcc, v17, v22
	v_alignbit_b32 v14, v16, v13, 30
	v_alignbit_b32 v11, v13, v11, 30
	v_cndmask_b32_e32 v15, 33, v15, vcc
	v_xor_b32_e32 v14, v14, v22
	v_sub_u32_e32 v16, 32, v15
	v_xor_b32_e32 v11, v11, v22
	v_alignbit_b32 v17, v23, v14, v16
	v_alignbit_b32 v11, v14, v11, v16
	;; [unrolled: 1-line block ×3, first 2 shown]
	v_ffbh_u32_e32 v14, v13
	v_min_u32_e32 v14, 32, v14
	v_lshrrev_b32_e32 v20, 29, v10
	v_sub_u32_e32 v16, 31, v14
	v_alignbit_b32 v11, v13, v11, v16
	v_lshlrev_b32_e32 v13, 31, v20
	v_or_b32_e32 v16, 0x33800000, v13
	v_add_lshl_u32 v14, v14, v15, 23
	v_lshrrev_b32_e32 v11, 9, v11
	v_sub_u32_e32 v14, v16, v14
	v_or_b32_e32 v11, v14, v11
	v_alignbit_b32 v14, v15, v17, 9
	v_or_b32_e32 v13, v14, v13
	v_xor_b32_e32 v13, 1.0, v13
	s_mov_b32 s2, 0x3fc90fda
	v_mul_f32_e32 v14, 0x3fc90fda, v13
	v_fma_f32 v15, v13, s2, -v14
	v_fmamk_f32 v13, v13, 0x33a22168, v15
	v_fmac_f32_e32 v13, 0x3fc90fda, v11
	v_lshrrev_b32_e32 v10, 30, v10
	v_add_f32_e32 v11, v14, v13
	v_add_u32_e32 v10, v21, v10
	s_andn2_saveexec_b64 s[2:3], s[14:15]
	s_cbranch_execnz .LBB20_98
	s_branch .LBB20_99
.LBB20_97:
	s_andn2_saveexec_b64 s[2:3], s[14:15]
.LBB20_98:
	s_mov_b32 s4, 0x3f22f983
	v_mul_f32_e64 v10, |v5|, s4
	v_rndne_f32_e32 v11, v10
	s_mov_b32 s4, 0xbfc90fda
	v_cvt_i32_f32_e32 v10, v11
	v_fma_f32 v13, v11, s4, |v5|
	v_fmamk_f32 v13, v11, 0xb3a22168, v13
	v_fmamk_f32 v11, v11, 0xa7c234c4, v13
.LBB20_99:
	s_or_b64 exec, exec, s[2:3]
	v_mul_f32_e32 v13, v1, v1
	s_mov_b32 s4, 0x41c80000
	v_div_scale_f32 v14, s[2:3], v13, v13, s4
	v_rcp_f32_e32 v15, v14
	v_xor_b32_e32 v7, v7, v5
	s_mov_b32 s6, 0x40a00000
	v_mov_b32_e32 v22, 0xbf000004
	v_fma_f32 v16, -v14, v15, 1.0
	v_fmac_f32_e32 v15, v16, v15
	v_div_scale_f32 v16, vcc, s4, v13, s4
	v_mul_f32_e32 v17, v16, v15
	v_fma_f32 v18, -v14, v17, v16
	v_fmac_f32_e32 v17, v18, v15
	v_fma_f32 v14, -v14, v17, v16
	v_div_fmas_f32 v14, v14, v15, v17
	v_div_fixup_f32 v13, v14, v13, s4
	v_mov_b32_e32 v14, 0x3a50e985
	v_mov_b32_e32 v15, 0x3a725406
	v_fmac_f32_e32 v14, 0, v13
	v_fmac_f32_e32 v15, 0, v13
	v_fmaak_f32 v14, v13, v14, 0x3da9a586
	v_fmaak_f32 v15, v13, v15, 0x3daf5e2d
	;; [unrolled: 1-line block ×8, first 2 shown]
	v_mov_b32_e32 v16, 0xbc3a3a12
	v_fmaak_f32 v14, v13, v14, 0x40a9b425
	v_fmaak_f32 v15, v13, v15, 0x40a9cb2f
	v_fmac_f32_e32 v16, 0, v13
	v_mov_b32_e32 v17, 0x4280a2ba
	v_fma_f32 v15, v13, v15, 1.0
	v_fmaak_f32 v16, v13, v16, 0xbfa429da
	v_fmac_f32_e32 v17, 0, v13
	v_fma_f32 v14, v13, v14, 1.0
	v_fmaak_f32 v16, v13, v16, 0xc19c6e80
	v_fmaak_f32 v17, v13, v17, 0x44561b86
	v_div_scale_f32 v18, s[2:3], v15, v15, v14
	v_fmaak_f32 v16, v13, v16, 0xc2ba697b
	v_fmaak_f32 v17, v13, v17, 0x4572a66e
	v_rcp_f32_e32 v19, v18
	v_fmaak_f32 v16, v13, v16, 0xc331ae61
	v_fmaak_f32 v17, v13, v17, 0x45e243be
	;; [unrolled: 1-line block ×8, first 2 shown]
	v_fma_f32 v17, -v18, v19, 1.0
	v_fmac_f32_e32 v19, v17, v19
	v_div_scale_f32 v17, vcc, v14, v15, v14
	v_mul_f32_e32 v20, v17, v19
	v_fma_f32 v21, -v18, v20, v17
	v_fmac_f32_e32 v20, v21, v19
	v_fma_f32 v17, -v18, v20, v17
	v_div_fmas_f32 v17, v17, v19, v20
	v_div_fixup_f32 v14, v17, v15, v14
	v_mul_f32_e32 v15, v9, v9
	v_mov_b32_e32 v17, 0x3c0881c4
	v_fmamk_f32 v18, v15, 0xb94c1982, v17
	v_fmaak_f32 v18, v15, v18, 0xbe2aaa9d
	v_mul_f32_e32 v18, v15, v18
	v_fmac_f32_e32 v9, v9, v18
	v_mov_b32_e32 v18, 0xbab64f3b
	v_fmamk_f32 v20, v15, 0x37d75334, v18
	v_fmaak_f32 v20, v15, v20, 0x3d2aabf7
	v_fmaak_f32 v20, v15, v20, 0xbf000004
	v_fma_f32 v15, v15, v20, 1.0
	v_and_b32_e32 v20, 1, v8
	v_lshlrev_b32_e32 v8, 30, v8
	v_cmp_eq_u32_e32 vcc, 0, v20
	v_and_b32_e32 v8, 0x80000000, v8
	v_xor_b32_e32 v7, v7, v8
	v_cndmask_b32_e32 v9, v15, v9, vcc
	v_div_scale_f32 v8, s[2:3], v1, v1, s6
	v_xor_b32_e32 v7, v7, v9
	v_rcp_f32_e32 v9, v8
	s_movk_i32 s4, 0x1f8
	v_mov_b32_e32 v15, 0x7fc00000
	v_cmp_class_f32_e64 s[2:3], v5, s4
	v_mov_b32_e32 v19, 0xbe2aaa9d
	v_mov_b32_e32 v21, 0x3d2aabf7
	v_cndmask_b32_e64 v5, v15, v7, s[2:3]
	v_fma_f32 v7, -v8, v9, 1.0
	v_fmac_f32_e32 v9, v7, v9
	v_div_scale_f32 v7, vcc, s6, v1, s6
	v_mul_f32_e32 v20, v7, v9
	v_fma_f32 v23, -v8, v20, v7
	v_fmac_f32_e32 v20, v23, v9
	v_fma_f32 v7, -v8, v20, v7
	v_div_scale_f32 v8, s[4:5], v13, v13, v16
	v_rcp_f32_e32 v23, v8
	v_div_fmas_f32 v7, v7, v9, v20
	v_div_fixup_f32 v7, v7, v1, s6
	v_fma_f32 v9, -v8, v23, 1.0
	v_fmac_f32_e32 v23, v9, v23
	v_div_scale_f32 v9, vcc, v16, v13, v16
	v_mul_f32_e32 v20, v9, v23
	v_fma_f32 v24, -v8, v20, v9
	v_fmac_f32_e32 v20, v24, v23
	v_fma_f32 v8, -v8, v20, v9
	v_div_fmas_f32 v8, v8, v23, v20
	v_div_fixup_f32 v8, v8, v13, v16
	v_mul_f32_e32 v7, v7, v8
	v_mul_f32_e32 v8, v11, v11
	v_fmac_f32_e32 v17, 0xb94c1982, v8
	v_fmac_f32_e32 v19, v8, v17
	;; [unrolled: 1-line block ×3, first 2 shown]
	v_mul_f32_e32 v9, v8, v19
	v_fmac_f32_e32 v21, v8, v18
	v_fmac_f32_e32 v11, v11, v9
	;; [unrolled: 1-line block ×3, first 2 shown]
	v_and_b32_e32 v9, 1, v10
	v_fma_f32 v8, v8, v22, 1.0
	v_cmp_eq_u32_e32 vcc, 0, v9
	v_lshlrev_b32_e32 v9, 30, v10
	v_and_b32_e32 v9, 0x80000000, v9
	v_cndmask_b32_e64 v8, -v11, v8, vcc
	v_xor_b32_e32 v8, v9, v8
	v_cndmask_b32_e64 v8, v15, v8, s[2:3]
	s_mov_b32 s2, 0xf800000
	v_mul_f32_e32 v9, 0x4f800000, v1
	v_cmp_gt_f32_e32 vcc, s2, v1
	v_mul_f32_e32 v7, v7, v8
	v_fmac_f32_e32 v7, v14, v5
	v_cndmask_b32_e32 v1, v1, v9, vcc
	v_sqrt_f32_e32 v9, v1
	v_mul_f32_e32 v5, 0x3f4c422a, v7
	v_add_u32_e32 v7, -1, v9
	v_fma_f32 v8, -v7, v9, v1
	v_cmp_ge_f32_e64 s[2:3], 0, v8
	v_add_u32_e32 v8, 1, v9
	s_nop 0
	v_cndmask_b32_e64 v7, v9, v7, s[2:3]
	v_fma_f32 v9, -v8, v9, v1
	v_cmp_lt_f32_e64 s[2:3], 0, v9
	s_nop 1
	v_cndmask_b32_e64 v7, v7, v8, s[2:3]
	v_mul_f32_e32 v8, 0x37800000, v7
	v_cndmask_b32_e32 v7, v7, v8, vcc
	v_mov_b32_e32 v8, 0x260
	v_cmp_class_f32_e32 vcc, v1, v8
	s_nop 1
	v_cndmask_b32_e32 v1, v7, v1, vcc
	v_div_scale_f32 v7, s[2:3], v1, v1, v5
	v_rcp_f32_e32 v8, v7
	s_nop 0
	v_fma_f32 v9, -v7, v8, 1.0
	v_fmac_f32_e32 v8, v9, v8
	v_div_scale_f32 v9, vcc, v5, v1, v5
	v_mul_f32_e32 v10, v9, v8
	v_fma_f32 v11, -v7, v10, v9
	v_fmac_f32_e32 v10, v11, v8
	v_fma_f32 v7, -v7, v10, v9
	v_div_fmas_f32 v7, v7, v8, v10
	v_div_fixup_f32 v5, v7, v1, v5
.LBB20_100:
	s_or_b64 exec, exec, s[12:13]
	s_or_b64 exec, exec, s[10:11]
	s_and_saveexec_b64 s[2:3], s[0:1]
	s_xor_b64 s[0:1], exec, s[2:3]
	s_cbranch_execnz .LBB20_89
.LBB20_101:
	s_or_b64 exec, exec, s[0:1]
	v_cmp_gt_i32_e32 vcc, s19, v0
	s_and_saveexec_b64 s[0:1], vcc
	s_cbranch_execz .LBB20_90
.LBB20_102:
	v_add_u32_e32 v2, 0x100, v0
	v_add_u32_e32 v0, s18, v0
	v_mov_b32_e32 v1, 0
	v_lshl_add_u64 v[0:1], v[0:1], 2, s[8:9]
	global_store_dword v[0:1], v3, off
	v_mov_b32_e32 v0, v2
	s_or_b64 exec, exec, s[0:1]
	v_cmp_gt_i32_e32 vcc, s19, v0
	s_and_saveexec_b64 s[0:1], vcc
	s_cbranch_execnz .LBB20_91
.LBB20_103:
	s_or_b64 exec, exec, s[0:1]
	v_cmp_gt_i32_e32 vcc, s19, v0
	s_and_saveexec_b64 s[0:1], vcc
	s_cbranch_execz .LBB20_92
.LBB20_104:
	v_add_u32_e32 v0, s18, v0
	v_mov_b32_e32 v1, 0
	v_lshl_add_u64 v[0:1], v[0:1], 2, s[8:9]
	global_store_dword v[0:1], v5, off
	s_endpgm
	.section	.rodata,"a",@progbits
	.p2align	6, 0x0
	.amdhsa_kernel _ZN2at6native27unrolled_elementwise_kernelIZZZNS0_12_GLOBAL__N_121bessel_y0_kernel_cudaERNS_18TensorIteratorBaseEENKUlvE_clEvENKUlvE0_clEvEUlfE_St5arrayIPcLm2EELi4E23TrivialOffsetCalculatorILi1EjESC_NS0_6memory15LoadWithoutCastENSD_16StoreWithoutCastEEEviT_T0_T2_T3_T4_T5_
		.amdhsa_group_segment_fixed_size 0
		.amdhsa_private_segment_fixed_size 0
		.amdhsa_kernarg_size 28
		.amdhsa_user_sgpr_count 2
		.amdhsa_user_sgpr_dispatch_ptr 0
		.amdhsa_user_sgpr_queue_ptr 0
		.amdhsa_user_sgpr_kernarg_segment_ptr 1
		.amdhsa_user_sgpr_dispatch_id 0
		.amdhsa_user_sgpr_kernarg_preload_length 0
		.amdhsa_user_sgpr_kernarg_preload_offset 0
		.amdhsa_user_sgpr_private_segment_size 0
		.amdhsa_uses_dynamic_stack 0
		.amdhsa_enable_private_segment 0
		.amdhsa_system_sgpr_workgroup_id_x 1
		.amdhsa_system_sgpr_workgroup_id_y 0
		.amdhsa_system_sgpr_workgroup_id_z 0
		.amdhsa_system_sgpr_workgroup_info 0
		.amdhsa_system_vgpr_workitem_id 0
		.amdhsa_next_free_vgpr 29
		.amdhsa_next_free_sgpr 20
		.amdhsa_accum_offset 32
		.amdhsa_reserve_vcc 1
		.amdhsa_float_round_mode_32 0
		.amdhsa_float_round_mode_16_64 0
		.amdhsa_float_denorm_mode_32 3
		.amdhsa_float_denorm_mode_16_64 3
		.amdhsa_dx10_clamp 1
		.amdhsa_ieee_mode 1
		.amdhsa_fp16_overflow 0
		.amdhsa_tg_split 0
		.amdhsa_exception_fp_ieee_invalid_op 0
		.amdhsa_exception_fp_denorm_src 0
		.amdhsa_exception_fp_ieee_div_zero 0
		.amdhsa_exception_fp_ieee_overflow 0
		.amdhsa_exception_fp_ieee_underflow 0
		.amdhsa_exception_fp_ieee_inexact 0
		.amdhsa_exception_int_div_zero 0
	.end_amdhsa_kernel
	.section	.text._ZN2at6native27unrolled_elementwise_kernelIZZZNS0_12_GLOBAL__N_121bessel_y0_kernel_cudaERNS_18TensorIteratorBaseEENKUlvE_clEvENKUlvE0_clEvEUlfE_St5arrayIPcLm2EELi4E23TrivialOffsetCalculatorILi1EjESC_NS0_6memory15LoadWithoutCastENSD_16StoreWithoutCastEEEviT_T0_T2_T3_T4_T5_,"axG",@progbits,_ZN2at6native27unrolled_elementwise_kernelIZZZNS0_12_GLOBAL__N_121bessel_y0_kernel_cudaERNS_18TensorIteratorBaseEENKUlvE_clEvENKUlvE0_clEvEUlfE_St5arrayIPcLm2EELi4E23TrivialOffsetCalculatorILi1EjESC_NS0_6memory15LoadWithoutCastENSD_16StoreWithoutCastEEEviT_T0_T2_T3_T4_T5_,comdat
.Lfunc_end20:
	.size	_ZN2at6native27unrolled_elementwise_kernelIZZZNS0_12_GLOBAL__N_121bessel_y0_kernel_cudaERNS_18TensorIteratorBaseEENKUlvE_clEvENKUlvE0_clEvEUlfE_St5arrayIPcLm2EELi4E23TrivialOffsetCalculatorILi1EjESC_NS0_6memory15LoadWithoutCastENSD_16StoreWithoutCastEEEviT_T0_T2_T3_T4_T5_, .Lfunc_end20-_ZN2at6native27unrolled_elementwise_kernelIZZZNS0_12_GLOBAL__N_121bessel_y0_kernel_cudaERNS_18TensorIteratorBaseEENKUlvE_clEvENKUlvE0_clEvEUlfE_St5arrayIPcLm2EELi4E23TrivialOffsetCalculatorILi1EjESC_NS0_6memory15LoadWithoutCastENSD_16StoreWithoutCastEEEviT_T0_T2_T3_T4_T5_
                                        ; -- End function
	.section	.AMDGPU.csdata,"",@progbits
; Kernel info:
; codeLenInByte = 13184
; NumSgprs: 26
; NumVgprs: 29
; NumAgprs: 0
; TotalNumVgprs: 29
; ScratchSize: 0
; MemoryBound: 0
; FloatMode: 240
; IeeeMode: 1
; LDSByteSize: 0 bytes/workgroup (compile time only)
; SGPRBlocks: 3
; VGPRBlocks: 3
; NumSGPRsForWavesPerEU: 26
; NumVGPRsForWavesPerEU: 29
; AccumOffset: 32
; Occupancy: 8
; WaveLimiterHint : 0
; COMPUTE_PGM_RSRC2:SCRATCH_EN: 0
; COMPUTE_PGM_RSRC2:USER_SGPR: 2
; COMPUTE_PGM_RSRC2:TRAP_HANDLER: 0
; COMPUTE_PGM_RSRC2:TGID_X_EN: 1
; COMPUTE_PGM_RSRC2:TGID_Y_EN: 0
; COMPUTE_PGM_RSRC2:TGID_Z_EN: 0
; COMPUTE_PGM_RSRC2:TIDIG_COMP_CNT: 0
; COMPUTE_PGM_RSRC3_GFX90A:ACCUM_OFFSET: 7
; COMPUTE_PGM_RSRC3_GFX90A:TG_SPLIT: 0
	.section	.text._ZN2at6native32elementwise_kernel_manual_unrollILi128ELi4EZNS0_22gpu_kernel_impl_nocastIZZZNS0_12_GLOBAL__N_121bessel_y0_kernel_cudaERNS_18TensorIteratorBaseEENKUlvE_clEvENKUlvE0_clEvEUlfE_EEvS5_RKT_EUlibE_EEviT1_,"axG",@progbits,_ZN2at6native32elementwise_kernel_manual_unrollILi128ELi4EZNS0_22gpu_kernel_impl_nocastIZZZNS0_12_GLOBAL__N_121bessel_y0_kernel_cudaERNS_18TensorIteratorBaseEENKUlvE_clEvENKUlvE0_clEvEUlfE_EEvS5_RKT_EUlibE_EEviT1_,comdat
	.globl	_ZN2at6native32elementwise_kernel_manual_unrollILi128ELi4EZNS0_22gpu_kernel_impl_nocastIZZZNS0_12_GLOBAL__N_121bessel_y0_kernel_cudaERNS_18TensorIteratorBaseEENKUlvE_clEvENKUlvE0_clEvEUlfE_EEvS5_RKT_EUlibE_EEviT1_ ; -- Begin function _ZN2at6native32elementwise_kernel_manual_unrollILi128ELi4EZNS0_22gpu_kernel_impl_nocastIZZZNS0_12_GLOBAL__N_121bessel_y0_kernel_cudaERNS_18TensorIteratorBaseEENKUlvE_clEvENKUlvE0_clEvEUlfE_EEvS5_RKT_EUlibE_EEviT1_
	.p2align	8
	.type	_ZN2at6native32elementwise_kernel_manual_unrollILi128ELi4EZNS0_22gpu_kernel_impl_nocastIZZZNS0_12_GLOBAL__N_121bessel_y0_kernel_cudaERNS_18TensorIteratorBaseEENKUlvE_clEvENKUlvE0_clEvEUlfE_EEvS5_RKT_EUlibE_EEviT1_,@function
_ZN2at6native32elementwise_kernel_manual_unrollILi128ELi4EZNS0_22gpu_kernel_impl_nocastIZZZNS0_12_GLOBAL__N_121bessel_y0_kernel_cudaERNS_18TensorIteratorBaseEENKUlvE_clEvENKUlvE0_clEvEUlfE_EEvS5_RKT_EUlibE_EEviT1_: ; @_ZN2at6native32elementwise_kernel_manual_unrollILi128ELi4EZNS0_22gpu_kernel_impl_nocastIZZZNS0_12_GLOBAL__N_121bessel_y0_kernel_cudaERNS_18TensorIteratorBaseEENKUlvE_clEvENKUlvE0_clEvEUlfE_EEvS5_RKT_EUlibE_EEviT1_
; %bb.0:
	s_load_dword s57, s[0:1], 0x0
	s_load_dword s33, s[0:1], 0x8
	s_or_b32 s0, s0, 8
	v_lshl_or_b32 v6, s2, 9, v0
	v_or_b32_e32 v9, 0x180, v6
	s_waitcnt lgkmcnt(0)
	v_cmp_le_i32_e32 vcc, s57, v9
	s_add_i32 s56, s33, -1
	s_cmp_gt_u32 s56, 1
	s_cselect_b64 s[34:35], -1, 0
	s_and_saveexec_b64 s[2:3], vcc
	s_xor_b64 s[40:41], exec, s[2:3]
	s_cbranch_execz .LBB21_8
; %bb.1:
	s_load_dwordx4 s[28:31], s[0:1], 0x4
	s_load_dwordx2 s[42:43], s[0:1], 0x14
	s_load_dwordx4 s[24:27], s[0:1], 0xc4
	s_load_dwordx4 s[20:23], s[0:1], 0x148
	s_cmp_lg_u32 s33, 0
	s_cselect_b64 s[48:49], -1, 0
	s_add_u32 s46, s0, 0xc4
	s_addc_u32 s47, s1, 0
	s_min_u32 s58, s56, 15
	s_cmp_gt_u32 s33, 1
	s_cselect_b64 s[44:45], -1, 0
	v_cmp_gt_i32_e32 vcc, s57, v6
	s_and_saveexec_b64 s[50:51], vcc
	s_cbranch_execz .LBB21_16
; %bb.2:
	s_andn2_b64 vcc, exec, s[34:35]
	s_cbranch_vccnz .LBB21_24
; %bb.3:
	s_mov_b32 s2, 0
	s_andn2_b64 vcc, exec, s[48:49]
	v_mov_b32_e32 v2, 0
	v_mov_b32_e32 v0, 0
	s_cbranch_vccnz .LBB21_160
; %bb.4:
	s_add_i32 s59, s58, 1
	s_cmp_eq_u32 s56, 2
	s_cbranch_scc1 .LBB21_155
; %bb.5:
	s_and_b32 s2, s59, 28
	s_mov_b32 s3, 0
	v_mov_b32_e32 v0, 0
	s_mov_b64 s[52:53], s[0:1]
	s_mov_b64 s[54:55], s[46:47]
	v_mov_b32_e32 v3, v6
	v_mov_b32_e32 v2, 0
.LBB21_6:                               ; =>This Inner Loop Header: Depth=1
	s_load_dwordx8 s[12:19], s[52:53], 0x4
	s_load_dwordx4 s[36:39], s[52:53], 0x24
	s_load_dwordx8 s[4:11], s[54:55], 0x0
	s_add_u32 s52, s52, 48
	s_addc_u32 s53, s53, 0
	s_waitcnt lgkmcnt(0)
	v_mul_hi_u32 v1, s13, v3
	v_add_u32_e32 v1, v3, v1
	v_lshrrev_b32_e32 v1, s14, v1
	v_mul_lo_u32 v4, v1, s12
	v_mul_hi_u32 v5, s16, v1
	v_sub_u32_e32 v3, v3, v4
	v_add_u32_e32 v4, v1, v5
	v_lshrrev_b32_e32 v4, s17, v4
	v_mul_lo_u32 v7, v4, s15
	v_mul_hi_u32 v8, s19, v4
	v_sub_u32_e32 v1, v1, v7
	v_add_u32_e32 v7, v4, v8
	v_mul_lo_u32 v5, v3, s5
	v_mul_lo_u32 v3, v3, s4
	;; [unrolled: 1-line block ×4, first 2 shown]
	v_lshrrev_b32_e32 v7, s36, v7
	v_add3_u32 v0, v3, v0, v1
	v_mul_hi_u32 v3, s38, v7
	v_add_u32_e32 v3, v7, v3
	v_lshrrev_b32_e32 v3, s39, v3
	s_add_i32 s3, s3, 4
	v_add3_u32 v1, v5, v2, v8
	v_mul_lo_u32 v2, v7, s18
	v_mul_lo_u32 v5, v3, s37
	s_add_u32 s54, s54, 32
	v_sub_u32_e32 v2, v4, v2
	v_sub_u32_e32 v5, v7, v5
	s_addc_u32 s55, s55, 0
	v_mul_lo_u32 v4, v2, s8
	v_mul_lo_u32 v2, v2, s9
	;; [unrolled: 1-line block ×4, first 2 shown]
	s_cmp_lg_u32 s2, s3
	v_add3_u32 v2, v2, v1, v5
	v_add3_u32 v0, v4, v0, v7
	s_cbranch_scc1 .LBB21_6
; %bb.7:
	v_mov_b32_e32 v1, v2
	s_branch .LBB21_156
.LBB21_8:
	s_andn2_saveexec_b64 s[2:3], s[40:41]
	s_cbranch_execz .LBB21_223
.LBB21_9:
	v_cndmask_b32_e64 v0, 0, 1, s[34:35]
	v_cmp_ne_u32_e64 s[2:3], 1, v0
	s_andn2_b64 vcc, exec, s[34:35]
	s_cbranch_vccnz .LBB21_23
; %bb.10:
	s_waitcnt lgkmcnt(0)
	s_mov_b32 s24, 0
	s_cmp_lg_u32 s33, 0
	v_mov_b32_e32 v14, 0
	v_mov_b32_e32 v0, 0
	s_cbranch_scc0 .LBB21_15
; %bb.11:
	s_min_u32 s30, s56, 15
	s_add_i32 s30, s30, 1
	s_cmp_eq_u32 s56, 2
	s_cbranch_scc1 .LBB21_26
; %bb.12:
	s_add_u32 s26, s0, 0xc4
	s_addc_u32 s27, s1, 0
	s_and_b32 s24, s30, 28
	s_mov_b32 s25, 0
	v_mov_b32_e32 v0, 0
	s_mov_b64 s[28:29], s[0:1]
	v_mov_b32_e32 v2, v6
	v_mov_b32_e32 v14, 0
.LBB21_13:                              ; =>This Inner Loop Header: Depth=1
	s_load_dwordx8 s[12:19], s[28:29], 0x4
	s_load_dwordx4 s[20:23], s[28:29], 0x24
	s_load_dwordx8 s[4:11], s[26:27], 0x0
	s_add_u32 s28, s28, 48
	s_addc_u32 s29, s29, 0
	s_waitcnt lgkmcnt(0)
	v_mul_hi_u32 v1, s13, v2
	v_add_u32_e32 v1, v2, v1
	v_lshrrev_b32_e32 v1, s14, v1
	v_mul_lo_u32 v3, v1, s12
	v_mul_hi_u32 v4, s16, v1
	v_sub_u32_e32 v2, v2, v3
	v_add_u32_e32 v3, v1, v4
	v_lshrrev_b32_e32 v3, s17, v3
	v_mul_lo_u32 v5, v3, s15
	v_mul_hi_u32 v7, s19, v3
	v_sub_u32_e32 v1, v1, v5
	v_add_u32_e32 v5, v3, v7
	v_mul_lo_u32 v4, v2, s5
	v_mul_lo_u32 v2, v2, s4
	;; [unrolled: 1-line block ×4, first 2 shown]
	v_lshrrev_b32_e32 v5, s20, v5
	v_add3_u32 v0, v2, v0, v1
	v_add3_u32 v1, v4, v14, v7
	v_mul_lo_u32 v2, v5, s18
	v_mul_hi_u32 v4, s22, v5
	v_sub_u32_e32 v2, v3, v2
	v_add_u32_e32 v3, v5, v4
	v_mul_lo_u32 v4, v2, s8
	v_mul_lo_u32 v7, v2, s9
	v_lshrrev_b32_e32 v2, s23, v3
	s_add_i32 s25, s25, 4
	v_mul_lo_u32 v3, v2, s21
	s_add_u32 s26, s26, 32
	v_sub_u32_e32 v3, v5, v3
	s_addc_u32 s27, s27, 0
	v_mul_lo_u32 v5, v3, s10
	v_mul_lo_u32 v3, v3, s11
	s_cmp_lg_u32 s24, s25
	v_add3_u32 v14, v7, v1, v3
	v_add3_u32 v0, v4, v0, v5
	s_cbranch_scc1 .LBB21_13
; %bb.14:
	v_mov_b32_e32 v1, v14
	s_and_b32 s8, s30, 3
	s_cmp_eq_u32 s8, 0
	s_cbranch_scc0 .LBB21_27
.LBB21_15:
	s_cbranch_execz .LBB21_30
	s_branch .LBB21_32
.LBB21_16:
	s_or_b64 exec, exec, s[50:51]
	v_cmp_gt_i32_e32 vcc, s57, v6
	s_and_saveexec_b64 s[50:51], vcc
	s_cbranch_execz .LBB21_184
.LBB21_17:
	s_andn2_b64 vcc, exec, s[34:35]
	s_cbranch_vccnz .LBB21_25
; %bb.18:
	s_mov_b32 s2, 0
	s_andn2_b64 vcc, exec, s[48:49]
	v_mov_b32_e32 v2, 0
	v_mov_b32_e32 v0, 0
	s_cbranch_vccnz .LBB21_197
; %bb.19:
	s_add_i32 s59, s58, 1
	s_cmp_eq_u32 s56, 2
	s_cbranch_scc1 .LBB21_192
; %bb.20:
	s_and_b32 s2, s59, 28
	s_mov_b32 s3, 0
	v_mov_b32_e32 v0, 0
	s_mov_b64 s[52:53], s[0:1]
	s_mov_b64 s[54:55], s[46:47]
	v_mov_b32_e32 v3, v6
	v_mov_b32_e32 v2, 0
.LBB21_21:                              ; =>This Inner Loop Header: Depth=1
	s_load_dwordx8 s[12:19], s[52:53], 0x4
	s_load_dwordx4 s[36:39], s[52:53], 0x24
	s_load_dwordx8 s[4:11], s[54:55], 0x0
	s_add_u32 s52, s52, 48
	s_addc_u32 s53, s53, 0
	s_waitcnt lgkmcnt(0)
	v_mul_hi_u32 v1, s13, v3
	v_add_u32_e32 v1, v3, v1
	v_lshrrev_b32_e32 v1, s14, v1
	v_mul_lo_u32 v4, v1, s12
	v_mul_hi_u32 v5, s16, v1
	v_sub_u32_e32 v3, v3, v4
	v_add_u32_e32 v4, v1, v5
	v_lshrrev_b32_e32 v4, s17, v4
	v_mul_lo_u32 v7, v4, s15
	v_mul_hi_u32 v8, s19, v4
	v_sub_u32_e32 v1, v1, v7
	v_add_u32_e32 v7, v4, v8
	v_mul_lo_u32 v5, v3, s5
	v_mul_lo_u32 v3, v3, s4
	;; [unrolled: 1-line block ×4, first 2 shown]
	v_lshrrev_b32_e32 v7, s36, v7
	v_add3_u32 v0, v3, v0, v1
	v_mul_hi_u32 v3, s38, v7
	v_add_u32_e32 v3, v7, v3
	v_lshrrev_b32_e32 v3, s39, v3
	s_add_i32 s3, s3, 4
	v_add3_u32 v1, v5, v2, v8
	v_mul_lo_u32 v2, v7, s18
	v_mul_lo_u32 v5, v3, s37
	s_add_u32 s54, s54, 32
	v_sub_u32_e32 v2, v4, v2
	v_sub_u32_e32 v5, v7, v5
	s_addc_u32 s55, s55, 0
	v_mul_lo_u32 v4, v2, s8
	v_mul_lo_u32 v2, v2, s9
	;; [unrolled: 1-line block ×4, first 2 shown]
	s_cmp_eq_u32 s2, s3
	v_add3_u32 v2, v2, v1, v5
	v_add3_u32 v0, v4, v0, v7
	s_cbranch_scc0 .LBB21_21
; %bb.22:
	v_mov_b32_e32 v1, v2
	s_branch .LBB21_193
.LBB21_23:
                                        ; implicit-def: $vgpr14
                                        ; implicit-def: $vgpr0
	s_branch .LBB21_30
.LBB21_24:
                                        ; implicit-def: $vgpr2
                                        ; implicit-def: $vgpr0
	s_branch .LBB21_161
.LBB21_25:
                                        ; implicit-def: $vgpr2
                                        ; implicit-def: $vgpr0
	s_branch .LBB21_198
.LBB21_26:
	s_mov_b32 s25, s24
	v_mov_b64_e32 v[0:1], s[24:25]
                                        ; implicit-def: $vgpr14
	v_mov_b32_e32 v2, v6
	s_and_b32 s8, s30, 3
	s_cmp_eq_u32 s8, 0
	s_cbranch_scc1 .LBB21_15
.LBB21_27:
	s_lshl_b32 s4, s24, 3
	s_add_u32 s4, s4, s0
	s_addc_u32 s5, 0, s1
	s_add_u32 s4, s4, 0xc4
	s_addc_u32 s5, s5, 0
	s_mul_i32 s6, s24, 12
	s_add_u32 s6, s0, s6
	s_addc_u32 s7, 0, s1
.LBB21_28:                              ; =>This Inner Loop Header: Depth=1
	s_load_dwordx2 s[10:11], s[6:7], 0x4
	s_load_dword s9, s[6:7], 0xc
	s_load_dwordx2 s[12:13], s[4:5], 0x0
	v_mov_b32_e32 v4, v1
	s_add_u32 s6, s6, 12
	s_waitcnt lgkmcnt(0)
	v_mul_hi_u32 v1, s11, v2
	v_add_u32_e32 v1, v2, v1
	v_lshrrev_b32_e32 v1, s9, v1
	s_addc_u32 s7, s7, 0
	v_mul_lo_u32 v3, v1, s10
	s_add_u32 s4, s4, 8
	v_sub_u32_e32 v3, v2, v3
	s_addc_u32 s5, s5, 0
	s_add_i32 s8, s8, -1
	v_mov_b32_e32 v2, v1
	v_mad_u64_u32 v[4:5], s[10:11], v3, s13, v[4:5]
	v_mad_u64_u32 v[0:1], s[10:11], v3, s12, v[0:1]
	s_cmp_lg_u32 s8, 0
	v_mov_b32_e32 v1, v4
	s_cbranch_scc1 .LBB21_28
; %bb.29:
	v_mov_b32_e32 v14, v1
	s_cbranch_execnz .LBB21_32
.LBB21_30:
	s_load_dwordx4 s[4:7], s[0:1], 0x4
	s_load_dwordx2 s[8:9], s[0:1], 0xc4
	s_cmp_lt_u32 s33, 2
	s_waitcnt lgkmcnt(0)
	v_mul_hi_u32 v0, s5, v6
	v_add_u32_e32 v0, v6, v0
	v_lshrrev_b32_e32 v1, s6, v0
	v_mul_lo_u32 v0, v1, s4
	v_sub_u32_e32 v0, v6, v0
	v_mul_lo_u32 v14, v0, s9
	v_mul_lo_u32 v0, v0, s8
	s_cbranch_scc1 .LBB21_32
; %bb.31:
	s_load_dwordx4 s[4:7], s[0:1], 0x10
	s_load_dwordx2 s[8:9], s[0:1], 0xcc
	s_waitcnt lgkmcnt(0)
	v_mul_hi_u32 v2, s5, v1
	v_add_u32_e32 v2, v1, v2
	v_lshrrev_b32_e32 v2, s6, v2
	v_mul_lo_u32 v2, v2, s4
	v_sub_u32_e32 v2, v1, v2
	v_mad_u64_u32 v[0:1], s[4:5], v2, s8, v[0:1]
	v_mad_u64_u32 v[14:15], s[4:5], v2, s9, v[14:15]
.LBB21_32:
	s_and_b64 vcc, exec, s[2:3]
	v_add_u32_e32 v1, 0x80, v6
	s_cbranch_vccnz .LBB21_39
; %bb.33:
	s_waitcnt lgkmcnt(0)
	s_mov_b32 s24, 0
	s_cmp_lg_u32 s33, 0
	v_mov_b32_e32 v12, 0
	v_mov_b32_e32 v2, 0
	s_cbranch_scc0 .LBB21_38
; %bb.34:
	s_min_u32 s30, s56, 15
	s_add_i32 s30, s30, 1
	s_cmp_eq_u32 s56, 2
	s_cbranch_scc1 .LBB21_40
; %bb.35:
	s_add_u32 s26, s0, 0xc4
	s_addc_u32 s27, s1, 0
	s_and_b32 s24, s30, 28
	s_mov_b32 s25, 0
	v_mov_b32_e32 v2, 0
	s_mov_b64 s[28:29], s[0:1]
	v_mov_b32_e32 v4, v1
	v_mov_b32_e32 v12, 0
.LBB21_36:                              ; =>This Inner Loop Header: Depth=1
	s_load_dwordx8 s[12:19], s[28:29], 0x4
	s_load_dwordx4 s[20:23], s[28:29], 0x24
	s_load_dwordx8 s[4:11], s[26:27], 0x0
	s_add_u32 s28, s28, 48
	s_addc_u32 s29, s29, 0
	s_waitcnt lgkmcnt(0)
	v_mul_hi_u32 v3, s13, v4
	v_add_u32_e32 v3, v4, v3
	v_lshrrev_b32_e32 v3, s14, v3
	v_mul_lo_u32 v5, v3, s12
	v_mul_hi_u32 v7, s16, v3
	v_sub_u32_e32 v4, v4, v5
	v_add_u32_e32 v5, v3, v7
	v_lshrrev_b32_e32 v5, s17, v5
	v_mul_lo_u32 v8, v5, s15
	v_mul_hi_u32 v10, s19, v5
	v_sub_u32_e32 v3, v3, v8
	v_add_u32_e32 v8, v5, v10
	v_mul_lo_u32 v7, v4, s5
	v_mul_lo_u32 v4, v4, s4
	;; [unrolled: 1-line block ×4, first 2 shown]
	v_lshrrev_b32_e32 v8, s20, v8
	v_add3_u32 v2, v4, v2, v3
	v_add3_u32 v3, v7, v12, v10
	v_mul_lo_u32 v4, v8, s18
	v_mul_hi_u32 v7, s22, v8
	v_sub_u32_e32 v4, v5, v4
	v_add_u32_e32 v5, v8, v7
	v_mul_lo_u32 v7, v4, s8
	v_mul_lo_u32 v10, v4, s9
	v_lshrrev_b32_e32 v4, s23, v5
	s_add_i32 s25, s25, 4
	v_mul_lo_u32 v5, v4, s21
	s_add_u32 s26, s26, 32
	v_sub_u32_e32 v5, v8, v5
	s_addc_u32 s27, s27, 0
	v_mul_lo_u32 v8, v5, s10
	v_mul_lo_u32 v5, v5, s11
	s_cmp_lg_u32 s24, s25
	v_add3_u32 v12, v10, v3, v5
	v_add3_u32 v2, v7, v2, v8
	s_cbranch_scc1 .LBB21_36
; %bb.37:
	v_mov_b32_e32 v3, v12
	s_and_b32 s8, s30, 3
	s_cmp_eq_u32 s8, 0
	s_cbranch_scc0 .LBB21_41
.LBB21_38:
	s_cbranch_execz .LBB21_44
	s_branch .LBB21_46
.LBB21_39:
                                        ; implicit-def: $vgpr12
                                        ; implicit-def: $vgpr2
	s_branch .LBB21_44
.LBB21_40:
	s_mov_b32 s25, s24
	v_mov_b64_e32 v[2:3], s[24:25]
                                        ; implicit-def: $vgpr12
	v_mov_b32_e32 v4, v1
	s_and_b32 s8, s30, 3
	s_cmp_eq_u32 s8, 0
	s_cbranch_scc1 .LBB21_38
.LBB21_41:
	s_lshl_b32 s4, s24, 3
	s_add_u32 s4, s4, s0
	s_addc_u32 s5, 0, s1
	s_add_u32 s4, s4, 0xc4
	s_addc_u32 s5, s5, 0
	s_mul_i32 s6, s24, 12
	s_add_u32 s6, s0, s6
	s_addc_u32 s7, 0, s1
.LBB21_42:                              ; =>This Inner Loop Header: Depth=1
	s_load_dwordx2 s[10:11], s[6:7], 0x4
	s_load_dword s9, s[6:7], 0xc
	s_load_dwordx2 s[12:13], s[4:5], 0x0
	v_mov_b32_e32 v8, v3
	s_add_u32 s6, s6, 12
	s_waitcnt lgkmcnt(0)
	v_mul_hi_u32 v3, s11, v4
	v_add_u32_e32 v3, v4, v3
	v_lshrrev_b32_e32 v3, s9, v3
	s_addc_u32 s7, s7, 0
	v_mul_lo_u32 v5, v3, s10
	s_add_u32 s4, s4, 8
	v_sub_u32_e32 v5, v4, v5
	s_addc_u32 s5, s5, 0
	s_add_i32 s8, s8, -1
	v_mov_b32_e32 v4, v3
	v_mad_u64_u32 v[10:11], s[10:11], v5, s13, v[8:9]
	v_mad_u64_u32 v[2:3], s[10:11], v5, s12, v[2:3]
	s_cmp_lg_u32 s8, 0
	v_mov_b32_e32 v3, v10
	s_cbranch_scc1 .LBB21_42
; %bb.43:
	v_mov_b32_e32 v12, v3
	s_cbranch_execnz .LBB21_46
.LBB21_44:
	s_load_dwordx4 s[4:7], s[0:1], 0x4
	s_load_dwordx2 s[8:9], s[0:1], 0xc4
	s_cmp_lt_u32 s33, 2
	s_waitcnt lgkmcnt(0)
	v_mul_hi_u32 v2, s5, v1
	v_add_u32_e32 v2, v1, v2
	v_lshrrev_b32_e32 v3, s6, v2
	v_mul_lo_u32 v2, v3, s4
	v_sub_u32_e32 v1, v1, v2
	v_mul_lo_u32 v12, v1, s9
	v_mul_lo_u32 v2, v1, s8
	s_cbranch_scc1 .LBB21_46
; %bb.45:
	s_load_dwordx4 s[4:7], s[0:1], 0x10
	s_load_dwordx2 s[8:9], s[0:1], 0xcc
	s_waitcnt lgkmcnt(0)
	v_mul_hi_u32 v1, s5, v3
	v_add_u32_e32 v1, v3, v1
	v_lshrrev_b32_e32 v1, s6, v1
	v_mul_lo_u32 v1, v1, s4
	v_sub_u32_e32 v1, v3, v1
	v_mad_u64_u32 v[2:3], s[4:5], v1, s8, v[2:3]
	v_mad_u64_u32 v[12:13], s[4:5], v1, s9, v[12:13]
.LBB21_46:
	s_and_b64 vcc, exec, s[2:3]
	v_add_u32_e32 v1, 0x100, v6
	s_cbranch_vccnz .LBB21_53
; %bb.47:
	s_waitcnt lgkmcnt(0)
	s_mov_b32 s24, 0
	s_cmp_lg_u32 s33, 0
	v_mov_b32_e32 v10, 0
	v_mov_b32_e32 v4, 0
	s_cbranch_scc0 .LBB21_52
; %bb.48:
	s_min_u32 s30, s56, 15
	s_add_i32 s30, s30, 1
	s_cmp_eq_u32 s56, 2
	s_cbranch_scc1 .LBB21_54
; %bb.49:
	s_add_u32 s26, s0, 0xc4
	s_addc_u32 s27, s1, 0
	s_and_b32 s24, s30, 28
	s_mov_b32 s25, 0
	v_mov_b32_e32 v4, 0
	s_mov_b64 s[28:29], s[0:1]
	v_mov_b32_e32 v3, v1
	v_mov_b32_e32 v10, 0
.LBB21_50:                              ; =>This Inner Loop Header: Depth=1
	s_load_dwordx8 s[12:19], s[28:29], 0x4
	s_load_dwordx4 s[20:23], s[28:29], 0x24
	s_load_dwordx8 s[4:11], s[26:27], 0x0
	s_add_u32 s28, s28, 48
	s_addc_u32 s29, s29, 0
	s_waitcnt lgkmcnt(0)
	v_mul_hi_u32 v5, s13, v3
	v_add_u32_e32 v5, v3, v5
	v_lshrrev_b32_e32 v5, s14, v5
	v_mul_lo_u32 v6, v5, s12
	v_mul_hi_u32 v7, s16, v5
	v_sub_u32_e32 v3, v3, v6
	v_add_u32_e32 v6, v5, v7
	v_lshrrev_b32_e32 v6, s17, v6
	v_mul_lo_u32 v8, v6, s15
	v_mul_hi_u32 v11, s19, v6
	v_sub_u32_e32 v5, v5, v8
	v_add_u32_e32 v8, v6, v11
	v_mul_lo_u32 v7, v3, s5
	v_mul_lo_u32 v3, v3, s4
	;; [unrolled: 1-line block ×4, first 2 shown]
	v_lshrrev_b32_e32 v8, s20, v8
	v_add3_u32 v4, v3, v4, v5
	v_add3_u32 v5, v7, v10, v11
	v_mul_lo_u32 v3, v8, s18
	v_mul_hi_u32 v7, s22, v8
	v_sub_u32_e32 v3, v6, v3
	v_add_u32_e32 v6, v8, v7
	v_mul_lo_u32 v7, v3, s8
	v_mul_lo_u32 v10, v3, s9
	v_lshrrev_b32_e32 v3, s23, v6
	s_add_i32 s25, s25, 4
	v_mul_lo_u32 v6, v3, s21
	s_add_u32 s26, s26, 32
	v_sub_u32_e32 v6, v8, v6
	s_addc_u32 s27, s27, 0
	v_mul_lo_u32 v8, v6, s10
	v_mul_lo_u32 v6, v6, s11
	s_cmp_lg_u32 s24, s25
	v_add3_u32 v10, v10, v5, v6
	v_add3_u32 v4, v7, v4, v8
	s_cbranch_scc1 .LBB21_50
; %bb.51:
	v_mov_b32_e32 v5, v10
	s_and_b32 s8, s30, 3
	s_cmp_eq_u32 s8, 0
	s_cbranch_scc0 .LBB21_55
.LBB21_52:
	s_cbranch_execz .LBB21_58
	s_branch .LBB21_60
.LBB21_53:
                                        ; implicit-def: $vgpr10
                                        ; implicit-def: $vgpr4
	s_branch .LBB21_58
.LBB21_54:
	s_mov_b32 s25, s24
	v_mov_b64_e32 v[4:5], s[24:25]
                                        ; implicit-def: $vgpr10
	v_mov_b32_e32 v3, v1
	s_and_b32 s8, s30, 3
	s_cmp_eq_u32 s8, 0
	s_cbranch_scc1 .LBB21_52
.LBB21_55:
	s_lshl_b32 s4, s24, 3
	s_add_u32 s4, s4, s0
	s_addc_u32 s5, 0, s1
	s_add_u32 s4, s4, 0xc4
	s_addc_u32 s5, s5, 0
	s_mul_i32 s6, s24, 12
	s_add_u32 s6, s0, s6
	s_addc_u32 s7, 0, s1
.LBB21_56:                              ; =>This Inner Loop Header: Depth=1
	s_load_dwordx2 s[10:11], s[6:7], 0x4
	s_load_dword s9, s[6:7], 0xc
	s_load_dwordx2 s[12:13], s[4:5], 0x0
	v_mov_b32_e32 v6, v5
	s_add_u32 s6, s6, 12
	s_waitcnt lgkmcnt(0)
	v_mul_hi_u32 v5, s11, v3
	v_add_u32_e32 v5, v3, v5
	v_lshrrev_b32_e32 v5, s9, v5
	s_addc_u32 s7, s7, 0
	v_mul_lo_u32 v7, v5, s10
	s_add_u32 s4, s4, 8
	v_sub_u32_e32 v8, v3, v7
	s_addc_u32 s5, s5, 0
	s_add_i32 s8, s8, -1
	v_mov_b32_e32 v3, v5
	v_mad_u64_u32 v[6:7], s[10:11], v8, s13, v[6:7]
	v_mad_u64_u32 v[4:5], s[10:11], v8, s12, v[4:5]
	s_cmp_lg_u32 s8, 0
	v_mov_b32_e32 v5, v6
	s_cbranch_scc1 .LBB21_56
; %bb.57:
	v_mov_b32_e32 v10, v5
	s_cbranch_execnz .LBB21_60
.LBB21_58:
	s_load_dwordx4 s[4:7], s[0:1], 0x4
	s_load_dwordx2 s[8:9], s[0:1], 0xc4
	s_cmp_lt_u32 s33, 2
	s_waitcnt lgkmcnt(0)
	v_mul_hi_u32 v3, s5, v1
	v_add_u32_e32 v3, v1, v3
	v_lshrrev_b32_e32 v3, s6, v3
	v_mul_lo_u32 v4, v3, s4
	v_sub_u32_e32 v1, v1, v4
	v_mul_lo_u32 v10, v1, s9
	v_mul_lo_u32 v4, v1, s8
	s_cbranch_scc1 .LBB21_60
; %bb.59:
	s_load_dwordx4 s[4:7], s[0:1], 0x10
	s_load_dwordx2 s[8:9], s[0:1], 0xcc
	s_waitcnt lgkmcnt(0)
	v_mul_hi_u32 v1, s5, v3
	v_add_u32_e32 v1, v3, v1
	v_lshrrev_b32_e32 v1, s6, v1
	v_mul_lo_u32 v1, v1, s4
	v_sub_u32_e32 v1, v3, v1
	v_mad_u64_u32 v[4:5], s[4:5], v1, s8, v[4:5]
	v_mad_u64_u32 v[10:11], s[4:5], v1, s9, v[10:11]
.LBB21_60:
	s_and_b64 vcc, exec, s[2:3]
	s_cbranch_vccnz .LBB21_67
; %bb.61:
	s_mov_b32 s2, 0
	s_cmp_lg_u32 s33, 0
	v_mov_b32_e32 v8, 0
	v_mov_b32_e32 v6, 0
	s_cbranch_scc0 .LBB21_66
; %bb.62:
	s_waitcnt lgkmcnt(0)
	s_min_u32 s28, s56, 15
	s_add_i32 s28, s28, 1
	s_cmp_eq_u32 s56, 2
	s_cbranch_scc1 .LBB21_68
; %bb.63:
	s_add_u32 s24, s0, 0xc4
	s_addc_u32 s25, s1, 0
	s_and_b32 s2, s28, 28
	s_mov_b32 s3, 0
	v_mov_b32_e32 v6, 0
	s_mov_b64 s[26:27], s[0:1]
	v_mov_b32_e32 v1, v9
	v_mov_b32_e32 v8, 0
.LBB21_64:                              ; =>This Inner Loop Header: Depth=1
	s_load_dwordx8 s[12:19], s[26:27], 0x4
	s_load_dwordx4 s[20:23], s[26:27], 0x24
	s_load_dwordx8 s[4:11], s[24:25], 0x0
	s_add_u32 s26, s26, 48
	s_addc_u32 s27, s27, 0
	s_waitcnt lgkmcnt(0)
	v_mul_hi_u32 v3, s13, v1
	v_add_u32_e32 v3, v1, v3
	v_lshrrev_b32_e32 v3, s14, v3
	v_mul_lo_u32 v5, v3, s12
	v_mul_hi_u32 v7, s16, v3
	v_sub_u32_e32 v1, v1, v5
	v_add_u32_e32 v5, v3, v7
	v_lshrrev_b32_e32 v5, s17, v5
	v_mul_lo_u32 v11, v5, s15
	v_mul_hi_u32 v13, s19, v5
	v_sub_u32_e32 v3, v3, v11
	v_add_u32_e32 v11, v5, v13
	v_mul_lo_u32 v7, v1, s5
	v_mul_lo_u32 v1, v1, s4
	v_mul_lo_u32 v13, v3, s7
	v_mul_lo_u32 v3, v3, s6
	v_lshrrev_b32_e32 v11, s20, v11
	v_add3_u32 v3, v1, v6, v3
	v_add3_u32 v6, v7, v8, v13
	v_mul_lo_u32 v1, v11, s18
	v_mul_hi_u32 v7, s22, v11
	v_sub_u32_e32 v1, v5, v1
	v_add_u32_e32 v5, v11, v7
	v_mul_lo_u32 v7, v1, s8
	v_mul_lo_u32 v8, v1, s9
	v_lshrrev_b32_e32 v1, s23, v5
	s_add_i32 s3, s3, 4
	v_mul_lo_u32 v5, v1, s21
	s_add_u32 s24, s24, 32
	v_sub_u32_e32 v5, v11, v5
	s_addc_u32 s25, s25, 0
	v_mul_lo_u32 v11, v5, s10
	v_mul_lo_u32 v5, v5, s11
	s_cmp_lg_u32 s2, s3
	v_add3_u32 v8, v8, v6, v5
	v_add3_u32 v6, v7, v3, v11
	s_cbranch_scc1 .LBB21_64
; %bb.65:
	v_mov_b32_e32 v7, v8
	s_and_b32 s6, s28, 3
	s_cmp_eq_u32 s6, 0
	s_cbranch_scc0 .LBB21_69
.LBB21_66:
	s_cbranch_execz .LBB21_72
	s_branch .LBB21_74
.LBB21_67:
                                        ; implicit-def: $vgpr8
                                        ; implicit-def: $vgpr6
	s_branch .LBB21_72
.LBB21_68:
	s_mov_b32 s3, s2
	v_mov_b64_e32 v[6:7], s[2:3]
                                        ; implicit-def: $vgpr8
	v_mov_b32_e32 v1, v9
	s_and_b32 s6, s28, 3
	s_cmp_eq_u32 s6, 0
	s_cbranch_scc1 .LBB21_66
.LBB21_69:
	s_lshl_b32 s3, s2, 3
	s_add_u32 s3, s3, s0
	s_addc_u32 s5, 0, s1
	s_add_u32 s4, s3, 0xc4
	s_addc_u32 s5, s5, 0
	s_mul_i32 s2, s2, 12
	s_add_u32 s2, s0, s2
	s_addc_u32 s3, 0, s1
.LBB21_70:                              ; =>This Inner Loop Header: Depth=1
	s_load_dwordx2 s[8:9], s[2:3], 0x4
	s_load_dword s7, s[2:3], 0xc
	s_load_dwordx2 s[10:11], s[4:5], 0x0
	s_add_u32 s2, s2, 12
	s_addc_u32 s3, s3, 0
	s_waitcnt lgkmcnt(0)
	v_mul_hi_u32 v3, s9, v1
	v_add_u32_e32 v3, v1, v3
	v_lshrrev_b32_e32 v3, s7, v3
	v_mul_lo_u32 v5, v3, s8
	v_mov_b32_e32 v8, v7
	s_add_u32 s4, s4, 8
	v_sub_u32_e32 v5, v1, v5
	s_addc_u32 s5, s5, 0
	s_add_i32 s6, s6, -1
	v_mad_u64_u32 v[16:17], s[8:9], v5, s11, v[8:9]
	v_mad_u64_u32 v[6:7], s[8:9], v5, s10, v[6:7]
	s_cmp_lg_u32 s6, 0
	v_mov_b32_e32 v1, v3
	v_mov_b32_e32 v7, v16
	s_cbranch_scc1 .LBB21_70
; %bb.71:
	v_mov_b32_e32 v8, v7
	s_cbranch_execnz .LBB21_74
.LBB21_72:
	s_load_dwordx4 s[4:7], s[0:1], 0x4
	s_load_dwordx2 s[2:3], s[0:1], 0xc4
	s_cmp_lt_u32 s33, 2
	s_waitcnt lgkmcnt(0)
	v_mul_hi_u32 v1, s5, v9
	v_add_u32_e32 v1, v9, v1
	v_lshrrev_b32_e32 v1, s6, v1
	v_mul_lo_u32 v3, v1, s4
	v_sub_u32_e32 v3, v9, v3
	v_mul_lo_u32 v8, v3, s3
	v_mul_lo_u32 v6, v3, s2
	s_cbranch_scc1 .LBB21_74
; %bb.73:
	s_load_dwordx4 s[4:7], s[0:1], 0x10
	s_load_dwordx2 s[2:3], s[0:1], 0xcc
	s_waitcnt lgkmcnt(0)
	v_mul_hi_u32 v3, s5, v1
	v_add_u32_e32 v3, v1, v3
	v_lshrrev_b32_e32 v3, s6, v3
	v_mul_lo_u32 v3, v3, s4
	v_sub_u32_e32 v1, v1, v3
	v_mad_u64_u32 v[6:7], s[4:5], v1, s2, v[6:7]
	v_mad_u64_u32 v[8:9], s[2:3], v1, s3, v[8:9]
.LBB21_74:
	s_load_dwordx4 s[8:11], s[0:1], 0x148
	s_mov_b32 s0, 0x40a00000
                                        ; implicit-def: $vgpr1
	s_waitcnt lgkmcnt(0)
	global_load_dword v3, v14, s[10:11]
	s_waitcnt vmcnt(0)
	v_cmp_ge_f32_e32 vcc, s0, v3
	s_and_saveexec_b64 s[0:1], vcc
	s_xor_b64 s[2:3], exec, s[0:1]
	s_cbranch_execz .LBB21_84
; %bb.75:
	v_cmp_neq_f32_e32 vcc, 0, v3
	v_mov_b32_e32 v1, 0xff800000
	s_and_saveexec_b64 s[4:5], vcc
	s_cbranch_execz .LBB21_83
; %bb.76:
	v_cmp_ngt_f32_e32 vcc, 0, v3
	v_mov_b32_e32 v1, 0x7fc00000
	s_and_saveexec_b64 s[6:7], vcc
	s_cbranch_execz .LBB21_82
; %bb.77:
	v_mul_f32_e32 v14, v3, v3
	s_mov_b32 s0, 0x3727c5ac
	v_mul_f32_e32 v16, 0, v14
	v_cmp_ngt_f32_e32 vcc, s0, v3
                                        ; implicit-def: $vgpr5
	s_and_saveexec_b64 s[0:1], vcc
	s_xor_b64 s[0:1], exec, s[0:1]
	s_cbranch_execz .LBB21_79
; %bb.78:
	v_add_f32_e32 v1, 0x43f9c815, v16
	v_fmaak_f32 v1, v14, v1, 0x4829b65a
	v_fmaak_f32 v1, v14, v1, 0x4c38c9a1
	;; [unrolled: 1-line block ×3, first 2 shown]
	s_mov_b32 s12, 0xcf8ee29d
	v_mul_f32_e32 v17, v14, v1
	s_mov_b32 s13, 0x53f5f59c
	v_pk_add_f32 v[18:19], v[16:17], s[12:13]
	s_mov_b32 s12, 0x53e3ba8e
	s_mov_b32 s13, 0x578d3514
	v_pk_fma_f32 v[18:19], v[14:15], v[18:19], s[12:13] op_sel_hi:[0,1,1]
	s_mov_b32 s12, 0xd762b0a7
	s_mov_b32 s13, 0x5ae20a0c
	v_pk_fma_f32 v[18:19], v[14:15], v[18:19], s[12:13] op_sel_hi:[0,1,1]
	;; [unrolled: 3-line block ×3, first 2 shown]
	s_mov_b32 s12, 0xc0b90fdc
	s_mov_b32 s13, 0xc1f3c525
	v_pk_add_f32 v[20:21], v[14:15], s[12:13] op_sel_hi:[0,1]
	v_mul_f32_e32 v1, v20, v21
	v_mul_f32_e32 v1, v1, v18
	v_div_scale_f32 v5, s[12:13], v19, v19, v1
	v_rcp_f32_e32 v7, v5
	s_nop 0
	v_fma_f32 v9, -v5, v7, 1.0
	v_fmac_f32_e32 v7, v9, v7
	v_div_scale_f32 v9, vcc, v1, v19, v1
	v_mul_f32_e32 v11, v9, v7
	v_fma_f32 v13, -v5, v11, v9
	v_fmac_f32_e32 v11, v13, v7
	v_fma_f32 v5, -v5, v11, v9
	v_div_fmas_f32 v5, v5, v7, v11
	v_div_fixup_f32 v5, v5, v19, v1
.LBB21_79:
	s_andn2_saveexec_b64 s[0:1], s[0:1]
; %bb.80:
	v_mov_b32_e32 v1, 1.0
	v_fmamk_f32 v5, v14, 0xbe800000, v1
; %bb.81:
	s_or_b64 exec, exec, s[0:1]
	v_add_f32_e32 v1, 0x4673a1bf, v16
	v_fmaak_f32 v1, v14, v1, 0xcb5fc0fa
	v_add_f32_e32 v7, 0x44822913, v16
	v_fmaak_f32 v1, v14, v1, 0x4fa1fbc8
	v_fmaak_f32 v7, v14, v7, 0x4918dbb5
	;; [unrolled: 1-line block ×12, first 2 shown]
	v_div_scale_f32 v9, s[0:1], v7, v7, v1
	v_rcp_f32_e32 v11, v9
	s_mov_b32 s0, 0x800000
	v_cmp_gt_f32_e64 s[0:1], s0, v3
	s_mov_b32 s12, 0x3f317217
	v_fma_f32 v13, -v9, v11, 1.0
	v_fmac_f32_e32 v11, v13, v11
	v_div_scale_f32 v13, vcc, v1, v7, v1
	v_mul_f32_e32 v14, v13, v11
	v_fma_f32 v15, -v9, v14, v13
	v_fmac_f32_e32 v14, v15, v11
	v_fma_f32 v9, -v9, v14, v13
	v_mov_b32_e32 v13, 0x4f800000
	v_cndmask_b32_e64 v13, 1.0, v13, s[0:1]
	v_mul_f32_e32 v3, v3, v13
	v_log_f32_e32 v3, v3
	v_div_fmas_f32 v9, v9, v11, v14
	v_div_fixup_f32 v1, v9, v7, v1
	v_mul_f32_e32 v7, 0x3f317217, v3
	v_fma_f32 v9, v3, s12, -v7
	v_fmamk_f32 v9, v3, 0x3377d1cf, v9
	s_mov_b32 s12, 0x7f800000
	v_add_f32_e32 v7, v7, v9
	v_cmp_lt_f32_e64 vcc, |v3|, s12
	s_nop 1
	v_cndmask_b32_e32 v3, v3, v7, vcc
	v_mov_b32_e32 v7, 0x41b17218
	v_cndmask_b32_e64 v7, 0, v7, s[0:1]
	v_sub_f32_e32 v3, v3, v7
	v_mul_f32_e32 v3, 0x3f22f983, v3
	v_fmac_f32_e32 v1, v3, v5
.LBB21_82:
	s_or_b64 exec, exec, s[6:7]
.LBB21_83:
	s_or_b64 exec, exec, s[4:5]
                                        ; implicit-def: $vgpr3
.LBB21_84:
	s_andn2_saveexec_b64 s[6:7], s[2:3]
	s_cbranch_execz .LBB21_94
; %bb.85:
	v_add_f32_e32 v1, 0xbf490fdb, v3
	v_and_b32_e32 v5, 0x7fffffff, v1
	s_brev_b32 s0, 18
	v_cmp_nlt_f32_e64 s[12:13], |v1|, s0
	v_lshrrev_b32_e32 v14, 23, v5
                                        ; implicit-def: $vgpr7
                                        ; implicit-def: $vgpr9
	s_and_saveexec_b64 s[0:1], s[12:13]
	s_xor_b64 s[14:15], exec, s[0:1]
	s_cbranch_execz .LBB21_87
; %bb.86:
	v_add_u32_e32 v7, 0xffffff88, v14
	v_not_b32_e32 v9, 63
	v_cmp_lt_u32_e32 vcc, 63, v7
	s_mov_b32 s4, 0xfe5163ab
	v_mov_b32_e32 v17, 0
	v_cndmask_b32_e32 v9, 0, v9, vcc
	v_add_u32_e32 v7, v9, v7
	v_not_b32_e32 v9, 31
	v_cmp_lt_u32_e64 s[0:1], 31, v7
	s_nop 1
	v_cndmask_b32_e64 v11, 0, v9, s[0:1]
	v_add_u32_e32 v7, v11, v7
	v_cmp_lt_u32_e64 s[2:3], 31, v7
	s_nop 1
	v_cndmask_b32_e64 v9, 0, v9, s[2:3]
	v_add_u32_e32 v7, v9, v7
	v_and_b32_e32 v9, 0x7fffff, v5
	v_or_b32_e32 v9, 0x800000, v9
	v_mad_u64_u32 v[18:19], s[4:5], v9, s4, 0
	v_mov_b32_e32 v16, v19
	s_mov_b32 s4, 0x3c439041
	v_mad_u64_u32 v[20:21], s[4:5], v9, s4, v[16:17]
	v_mov_b32_e32 v16, v21
	s_mov_b32 s4, 0xdb629599
	;; [unrolled: 3-line block ×6, first 2 shown]
	v_mad_u64_u32 v[16:17], s[4:5], v9, s4, v[16:17]
	v_cndmask_b32_e32 v11, v28, v24, vcc
	v_cndmask_b32_e32 v9, v16, v26, vcc
	;; [unrolled: 1-line block ×3, first 2 shown]
	v_cndmask_b32_e64 v13, v9, v11, s[0:1]
	v_cndmask_b32_e64 v9, v15, v9, s[0:1]
	v_cndmask_b32_e32 v15, v26, v22, vcc
	v_cndmask_b32_e64 v11, v11, v15, s[0:1]
	v_cndmask_b32_e64 v9, v9, v13, s[2:3]
	;; [unrolled: 1-line block ×3, first 2 shown]
	v_sub_u32_e32 v16, 32, v7
	v_alignbit_b32 v17, v9, v13, v16
	v_cmp_eq_u32_e64 s[4:5], 0, v7
	v_cndmask_b32_e32 v18, v22, v18, vcc
	s_nop 0
	v_cndmask_b32_e64 v7, v17, v9, s[4:5]
	v_cndmask_b32_e32 v9, v24, v20, vcc
	v_cndmask_b32_e64 v15, v15, v9, s[0:1]
	v_cndmask_b32_e64 v11, v11, v15, s[2:3]
	v_alignbit_b32 v17, v13, v11, v16
	v_cndmask_b32_e64 v13, v17, v13, s[4:5]
	v_bfe_u32 v20, v7, 29, 1
	v_cndmask_b32_e64 v9, v9, v18, s[0:1]
	v_alignbit_b32 v17, v7, v13, 30
	v_sub_u32_e32 v21, 0, v20
	v_cndmask_b32_e64 v9, v15, v9, s[2:3]
	v_xor_b32_e32 v23, v17, v21
	v_alignbit_b32 v15, v11, v9, v16
	v_cndmask_b32_e64 v11, v15, v11, s[4:5]
	v_ffbh_u32_e32 v15, v23
	v_add_u32_e32 v15, 1, v15
	v_cmp_ne_u32_e32 vcc, v17, v21
	v_alignbit_b32 v13, v13, v11, 30
	v_alignbit_b32 v9, v11, v9, 30
	v_cndmask_b32_e32 v15, 33, v15, vcc
	v_xor_b32_e32 v13, v13, v21
	v_sub_u32_e32 v16, 32, v15
	v_xor_b32_e32 v9, v9, v21
	v_alignbit_b32 v17, v23, v13, v16
	v_alignbit_b32 v9, v13, v9, v16
	;; [unrolled: 1-line block ×3, first 2 shown]
	v_ffbh_u32_e32 v13, v11
	v_min_u32_e32 v13, 32, v13
	v_lshrrev_b32_e32 v19, 29, v7
	v_sub_u32_e32 v16, 31, v13
	v_alignbit_b32 v9, v11, v9, v16
	v_lshlrev_b32_e32 v11, 31, v19
	v_or_b32_e32 v16, 0x33800000, v11
	v_add_lshl_u32 v13, v13, v15, 23
	v_lshrrev_b32_e32 v9, 9, v9
	v_sub_u32_e32 v13, v16, v13
	v_or_b32_e32 v9, v13, v9
	v_alignbit_b32 v13, v15, v17, 9
	v_or_b32_e32 v11, v13, v11
	v_xor_b32_e32 v11, 1.0, v11
	s_mov_b32 s0, 0x3fc90fda
	v_mul_f32_e32 v13, 0x3fc90fda, v11
	v_fma_f32 v15, v11, s0, -v13
	v_fmamk_f32 v11, v11, 0x33a22168, v15
	v_fmac_f32_e32 v11, 0x3fc90fda, v9
	v_lshrrev_b32_e32 v7, 30, v7
	v_add_f32_e32 v9, v13, v11
	v_add_u32_e32 v7, v20, v7
	s_andn2_saveexec_b64 s[0:1], s[14:15]
	s_branch .LBB21_88
.LBB21_87:
	s_andn2_saveexec_b64 s[0:1], s[14:15]
.LBB21_88:
	s_mov_b32 s2, 0x3f22f983
	v_mul_f32_e64 v7, |v1|, s2
	v_rndne_f32_e32 v9, v7
	s_mov_b32 s2, 0xbfc90fda
	v_cvt_i32_f32_e32 v7, v9
	v_fma_f32 v11, v9, s2, |v1|
	v_fmamk_f32 v11, v9, 0xb3a22168, v11
	v_fmamk_f32 v9, v9, 0xa7c234c4, v11
; %bb.89:
	s_or_b64 exec, exec, s[0:1]
                                        ; implicit-def: $vgpr11
                                        ; implicit-def: $vgpr13
	s_and_saveexec_b64 s[0:1], s[12:13]
	s_xor_b64 s[12:13], exec, s[0:1]
	s_cbranch_execz .LBB21_91
; %bb.90:
	v_add_u32_e32 v11, 0xffffff88, v14
	v_not_b32_e32 v13, 63
	v_cmp_lt_u32_e32 vcc, 63, v11
	s_mov_b32 s4, 0xfe5163ab
	v_mov_b32_e32 v15, 0
	v_cndmask_b32_e32 v13, 0, v13, vcc
	v_add_u32_e32 v11, v13, v11
	v_not_b32_e32 v13, 31
	v_cmp_lt_u32_e64 s[0:1], 31, v11
	s_nop 1
	v_cndmask_b32_e64 v14, 0, v13, s[0:1]
	v_add_u32_e32 v11, v14, v11
	v_cmp_lt_u32_e64 s[2:3], 31, v11
	s_nop 1
	v_cndmask_b32_e64 v13, 0, v13, s[2:3]
	v_add_u32_e32 v11, v13, v11
	v_and_b32_e32 v13, 0x7fffff, v5
	v_or_b32_e32 v13, 0x800000, v13
	v_mad_u64_u32 v[16:17], s[4:5], v13, s4, 0
	v_mov_b32_e32 v14, v17
	s_mov_b32 s4, 0x3c439041
	v_mad_u64_u32 v[18:19], s[4:5], v13, s4, v[14:15]
	v_mov_b32_e32 v14, v19
	s_mov_b32 s4, 0xdb629599
	;; [unrolled: 3-line block ×6, first 2 shown]
	v_mad_u64_u32 v[14:15], s[4:5], v13, s4, v[14:15]
	v_cndmask_b32_e32 v17, v26, v22, vcc
	v_cndmask_b32_e32 v13, v14, v24, vcc
	;; [unrolled: 1-line block ×3, first 2 shown]
	v_cndmask_b32_e64 v14, v13, v17, s[0:1]
	v_cndmask_b32_e64 v13, v15, v13, s[0:1]
	v_cndmask_b32_e32 v15, v24, v20, vcc
	v_cndmask_b32_e64 v17, v17, v15, s[0:1]
	v_cndmask_b32_e64 v13, v13, v14, s[2:3]
	;; [unrolled: 1-line block ×3, first 2 shown]
	v_sub_u32_e32 v19, 32, v11
	v_alignbit_b32 v21, v13, v14, v19
	v_cmp_eq_u32_e64 s[4:5], 0, v11
	v_cndmask_b32_e32 v16, v20, v16, vcc
	s_nop 0
	v_cndmask_b32_e64 v11, v21, v13, s[4:5]
	v_cndmask_b32_e32 v13, v22, v18, vcc
	v_cndmask_b32_e64 v15, v15, v13, s[0:1]
	v_cndmask_b32_e64 v17, v17, v15, s[2:3]
	v_alignbit_b32 v18, v14, v17, v19
	v_cndmask_b32_e64 v14, v18, v14, s[4:5]
	v_bfe_u32 v22, v11, 29, 1
	v_alignbit_b32 v18, v11, v14, 30
	v_sub_u32_e32 v23, 0, v22
	v_cndmask_b32_e64 v13, v13, v16, s[0:1]
	v_xor_b32_e32 v24, v18, v23
	v_cndmask_b32_e64 v13, v15, v13, s[2:3]
	v_alignbit_b32 v15, v17, v13, v19
	v_ffbh_u32_e32 v16, v24
	v_cndmask_b32_e64 v15, v15, v17, s[4:5]
	v_add_u32_e32 v16, 1, v16
	v_cmp_ne_u32_e32 vcc, v18, v23
	v_alignbit_b32 v14, v14, v15, 30
	v_alignbit_b32 v13, v15, v13, 30
	v_cndmask_b32_e32 v16, 33, v16, vcc
	v_xor_b32_e32 v14, v14, v23
	v_sub_u32_e32 v17, 32, v16
	v_xor_b32_e32 v13, v13, v23
	v_alignbit_b32 v18, v24, v14, v17
	v_alignbit_b32 v13, v14, v13, v17
	;; [unrolled: 1-line block ×3, first 2 shown]
	v_ffbh_u32_e32 v15, v14
	v_min_u32_e32 v15, 32, v15
	v_lshrrev_b32_e32 v21, 29, v11
	v_sub_u32_e32 v17, 31, v15
	v_alignbit_b32 v13, v14, v13, v17
	v_lshlrev_b32_e32 v14, 31, v21
	v_or_b32_e32 v17, 0x33800000, v14
	v_add_lshl_u32 v15, v15, v16, 23
	v_lshrrev_b32_e32 v13, 9, v13
	v_sub_u32_e32 v15, v17, v15
	v_or_b32_e32 v13, v15, v13
	v_alignbit_b32 v15, v16, v18, 9
	v_or_b32_e32 v14, v15, v14
	v_xor_b32_e32 v14, 1.0, v14
	s_mov_b32 s0, 0x3fc90fda
	v_mul_f32_e32 v15, 0x3fc90fda, v14
	v_fma_f32 v16, v14, s0, -v15
	v_fmamk_f32 v14, v14, 0x33a22168, v16
	v_fmac_f32_e32 v14, 0x3fc90fda, v13
	v_lshrrev_b32_e32 v11, 30, v11
	v_add_f32_e32 v13, v15, v14
	v_add_u32_e32 v11, v22, v11
	s_andn2_saveexec_b64 s[0:1], s[12:13]
	s_cbranch_execnz .LBB21_92
	s_branch .LBB21_93
.LBB21_91:
	s_andn2_saveexec_b64 s[0:1], s[12:13]
.LBB21_92:
	s_mov_b32 s2, 0x3f22f983
	v_mul_f32_e64 v11, |v1|, s2
	v_rndne_f32_e32 v13, v11
	s_mov_b32 s2, 0xbfc90fda
	v_cvt_i32_f32_e32 v11, v13
	v_fma_f32 v14, v13, s2, |v1|
	v_fmamk_f32 v14, v13, 0xb3a22168, v14
	v_fmamk_f32 v13, v13, 0xa7c234c4, v14
.LBB21_93:
	s_or_b64 exec, exec, s[0:1]
	v_mul_f32_e32 v14, v3, v3
	s_mov_b32 s2, 0x41c80000
	v_div_scale_f32 v15, s[0:1], v14, v14, s2
	v_rcp_f32_e32 v16, v15
	v_xor_b32_e32 v5, v5, v1
	s_mov_b32 s4, 0x40a00000
	v_mov_b32_e32 v23, 0xbf000004
	v_fma_f32 v17, -v15, v16, 1.0
	v_fmac_f32_e32 v16, v17, v16
	v_div_scale_f32 v17, vcc, s2, v14, s2
	v_mul_f32_e32 v18, v17, v16
	v_fma_f32 v19, -v15, v18, v17
	v_fmac_f32_e32 v18, v19, v16
	v_fma_f32 v15, -v15, v18, v17
	v_div_fmas_f32 v15, v15, v16, v18
	v_div_fixup_f32 v14, v15, v14, s2
	v_mov_b32_e32 v15, 0x3a50e985
	v_mov_b32_e32 v16, 0x3a725406
	v_fmac_f32_e32 v15, 0, v14
	v_fmac_f32_e32 v16, 0, v14
	v_fmaak_f32 v15, v14, v15, 0x3da9a586
	v_fmaak_f32 v16, v14, v16, 0x3daf5e2d
	v_fmaak_f32 v15, v14, v15, 0x3f9ea90a
	v_fmaak_f32 v16, v14, v16, 0x3fa07396
	v_fmaak_f32 v15, v14, v15, 0x40ae4fdf
	v_fmaak_f32 v16, v14, v16, 0x40af123f
	v_fmaak_f32 v15, v14, v15, 0x410bf463
	v_fmaak_f32 v16, v14, v16, 0x410c30c7
	v_mov_b32_e32 v17, 0xbc3a3a12
	v_fmaak_f32 v15, v14, v15, 0x40a9b425
	v_fmaak_f32 v16, v14, v16, 0x40a9cb2f
	v_fmac_f32_e32 v17, 0, v14
	v_mov_b32_e32 v18, 0x4280a2ba
	v_fma_f32 v16, v14, v16, 1.0
	v_fmaak_f32 v17, v14, v17, 0xbfa429da
	v_fmac_f32_e32 v18, 0, v14
	v_fma_f32 v15, v14, v15, 1.0
	v_fmaak_f32 v17, v14, v17, 0xc19c6e80
	v_fmaak_f32 v18, v14, v18, 0x44561b86
	v_div_scale_f32 v19, s[0:1], v16, v16, v15
	v_fmaak_f32 v17, v14, v17, 0xc2ba697b
	v_fmaak_f32 v18, v14, v18, 0x4572a66e
	v_rcp_f32_e32 v20, v19
	v_fmaak_f32 v17, v14, v17, 0xc331ae61
	v_fmaak_f32 v18, v14, v18, 0x45e243be
	;; [unrolled: 1-line block ×8, first 2 shown]
	v_fma_f32 v18, -v19, v20, 1.0
	v_fmac_f32_e32 v20, v18, v20
	v_div_scale_f32 v18, vcc, v15, v16, v15
	v_mul_f32_e32 v21, v18, v20
	v_fma_f32 v22, -v19, v21, v18
	v_fmac_f32_e32 v21, v22, v20
	v_fma_f32 v18, -v19, v21, v18
	v_div_fmas_f32 v18, v18, v20, v21
	v_div_fixup_f32 v15, v18, v16, v15
	v_mul_f32_e32 v16, v9, v9
	v_mov_b32_e32 v18, 0x3c0881c4
	v_fmamk_f32 v19, v16, 0xb94c1982, v18
	v_fmaak_f32 v19, v16, v19, 0xbe2aaa9d
	v_mul_f32_e32 v19, v16, v19
	v_fmac_f32_e32 v9, v9, v19
	v_mov_b32_e32 v19, 0xbab64f3b
	v_fmamk_f32 v21, v16, 0x37d75334, v19
	v_fmaak_f32 v21, v16, v21, 0x3d2aabf7
	v_fmaak_f32 v21, v16, v21, 0xbf000004
	v_fma_f32 v16, v16, v21, 1.0
	v_and_b32_e32 v21, 1, v7
	v_lshlrev_b32_e32 v7, 30, v7
	v_cmp_eq_u32_e32 vcc, 0, v21
	v_and_b32_e32 v7, 0x80000000, v7
	v_xor_b32_e32 v5, v5, v7
	v_cndmask_b32_e32 v9, v16, v9, vcc
	v_div_scale_f32 v7, s[0:1], v3, v3, s4
	v_xor_b32_e32 v5, v5, v9
	v_rcp_f32_e32 v9, v7
	s_movk_i32 s2, 0x1f8
	v_mov_b32_e32 v16, 0x7fc00000
	v_cmp_class_f32_e64 s[0:1], v1, s2
	v_mov_b32_e32 v20, 0xbe2aaa9d
	v_mov_b32_e32 v22, 0x3d2aabf7
	v_cndmask_b32_e64 v1, v16, v5, s[0:1]
	v_fma_f32 v5, -v7, v9, 1.0
	v_fmac_f32_e32 v9, v5, v9
	v_div_scale_f32 v5, vcc, s4, v3, s4
	v_mul_f32_e32 v21, v5, v9
	v_fma_f32 v24, -v7, v21, v5
	v_fmac_f32_e32 v21, v24, v9
	v_fma_f32 v5, -v7, v21, v5
	v_div_scale_f32 v7, s[2:3], v14, v14, v17
	v_rcp_f32_e32 v24, v7
	v_div_fmas_f32 v5, v5, v9, v21
	v_div_fixup_f32 v5, v5, v3, s4
	v_fma_f32 v9, -v7, v24, 1.0
	v_fmac_f32_e32 v24, v9, v24
	v_div_scale_f32 v9, vcc, v17, v14, v17
	v_mul_f32_e32 v21, v9, v24
	v_fma_f32 v25, -v7, v21, v9
	v_fmac_f32_e32 v21, v25, v24
	v_fma_f32 v7, -v7, v21, v9
	v_div_fmas_f32 v7, v7, v24, v21
	v_div_fixup_f32 v7, v7, v14, v17
	v_mul_f32_e32 v5, v5, v7
	v_mul_f32_e32 v7, v13, v13
	v_fmac_f32_e32 v18, 0xb94c1982, v7
	v_fmac_f32_e32 v20, v7, v18
	;; [unrolled: 1-line block ×3, first 2 shown]
	v_mul_f32_e32 v9, v7, v20
	v_fmac_f32_e32 v22, v7, v19
	v_fmac_f32_e32 v13, v13, v9
	;; [unrolled: 1-line block ×3, first 2 shown]
	v_and_b32_e32 v9, 1, v11
	v_fma_f32 v7, v7, v23, 1.0
	v_cmp_eq_u32_e32 vcc, 0, v9
	v_lshlrev_b32_e32 v9, 30, v11
	v_and_b32_e32 v9, 0x80000000, v9
	v_cndmask_b32_e64 v7, -v13, v7, vcc
	v_xor_b32_e32 v7, v9, v7
	v_cndmask_b32_e64 v7, v16, v7, s[0:1]
	s_mov_b32 s0, 0xf800000
	v_mul_f32_e32 v9, 0x4f800000, v3
	v_cmp_gt_f32_e32 vcc, s0, v3
	v_mul_f32_e32 v5, v5, v7
	v_fmac_f32_e32 v5, v15, v1
	v_cndmask_b32_e32 v3, v3, v9, vcc
	v_sqrt_f32_e32 v9, v3
	v_mul_f32_e32 v1, 0x3f4c422a, v5
	v_add_u32_e32 v5, -1, v9
	v_fma_f32 v7, -v5, v9, v3
	v_cmp_ge_f32_e64 s[0:1], 0, v7
	v_add_u32_e32 v7, 1, v9
	s_nop 0
	v_cndmask_b32_e64 v5, v9, v5, s[0:1]
	v_fma_f32 v9, -v7, v9, v3
	v_cmp_lt_f32_e64 s[0:1], 0, v9
	s_nop 1
	v_cndmask_b32_e64 v5, v5, v7, s[0:1]
	v_mul_f32_e32 v7, 0x37800000, v5
	v_cndmask_b32_e32 v5, v5, v7, vcc
	v_mov_b32_e32 v7, 0x260
	v_cmp_class_f32_e32 vcc, v3, v7
	s_nop 1
	v_cndmask_b32_e32 v3, v5, v3, vcc
	v_div_scale_f32 v5, s[0:1], v3, v3, v1
	v_rcp_f32_e32 v7, v5
	s_nop 0
	v_fma_f32 v9, -v5, v7, 1.0
	v_fmac_f32_e32 v7, v9, v7
	v_div_scale_f32 v9, vcc, v1, v3, v1
	v_mul_f32_e32 v11, v9, v7
	v_fma_f32 v13, -v5, v11, v9
	v_fmac_f32_e32 v11, v13, v7
	v_fma_f32 v5, -v5, v11, v9
	v_div_fmas_f32 v5, v5, v7, v11
	v_div_fixup_f32 v1, v5, v3, v1
.LBB21_94:
	s_or_b64 exec, exec, s[6:7]
	global_load_dword v5, v12, s[10:11]
	s_mov_b32 s0, 0x40a00000
                                        ; implicit-def: $vgpr3
	s_waitcnt vmcnt(0)
	v_cmp_ge_f32_e32 vcc, s0, v5
	s_and_saveexec_b64 s[0:1], vcc
	s_xor_b64 s[2:3], exec, s[0:1]
	s_cbranch_execz .LBB21_104
; %bb.95:
	v_cmp_neq_f32_e32 vcc, 0, v5
	v_mov_b32_e32 v3, 0xff800000
	s_and_saveexec_b64 s[4:5], vcc
	s_cbranch_execz .LBB21_103
; %bb.96:
	v_cmp_ngt_f32_e32 vcc, 0, v5
	v_mov_b32_e32 v3, 0x7fc00000
	s_and_saveexec_b64 s[6:7], vcc
	s_cbranch_execz .LBB21_102
; %bb.97:
	v_mul_f32_e32 v12, v5, v5
	s_mov_b32 s0, 0x3727c5ac
	v_mul_f32_e32 v14, 0, v12
	v_cmp_ngt_f32_e32 vcc, s0, v5
                                        ; implicit-def: $vgpr7
	s_and_saveexec_b64 s[0:1], vcc
	s_xor_b64 s[0:1], exec, s[0:1]
	s_cbranch_execz .LBB21_99
; %bb.98:
	v_add_f32_e32 v3, 0x43f9c815, v14
	v_fmaak_f32 v3, v12, v3, 0x4829b65a
	v_fmaak_f32 v3, v12, v3, 0x4c38c9a1
	;; [unrolled: 1-line block ×3, first 2 shown]
	s_mov_b32 s12, 0xcf8ee29d
	v_mul_f32_e32 v15, v12, v3
	s_mov_b32 s13, 0x53f5f59c
	v_pk_add_f32 v[16:17], v[14:15], s[12:13]
	s_mov_b32 s12, 0x53e3ba8e
	s_mov_b32 s13, 0x578d3514
	v_pk_fma_f32 v[16:17], v[12:13], v[16:17], s[12:13] op_sel_hi:[0,1,1]
	s_mov_b32 s12, 0xd762b0a7
	s_mov_b32 s13, 0x5ae20a0c
	v_pk_fma_f32 v[16:17], v[12:13], v[16:17], s[12:13] op_sel_hi:[0,1,1]
	;; [unrolled: 3-line block ×3, first 2 shown]
	s_mov_b32 s12, 0xc0b90fdc
	s_mov_b32 s13, 0xc1f3c525
	v_pk_add_f32 v[18:19], v[12:13], s[12:13] op_sel_hi:[0,1]
	v_mul_f32_e32 v3, v18, v19
	v_mul_f32_e32 v3, v3, v16
	v_div_scale_f32 v7, s[12:13], v17, v17, v3
	v_rcp_f32_e32 v9, v7
	s_nop 0
	v_fma_f32 v11, -v7, v9, 1.0
	v_fmac_f32_e32 v9, v11, v9
	v_div_scale_f32 v11, vcc, v3, v17, v3
	v_mul_f32_e32 v13, v11, v9
	v_fma_f32 v15, -v7, v13, v11
	v_fmac_f32_e32 v13, v15, v9
	v_fma_f32 v7, -v7, v13, v11
	v_div_fmas_f32 v7, v7, v9, v13
	v_div_fixup_f32 v7, v7, v17, v3
.LBB21_99:
	s_andn2_saveexec_b64 s[0:1], s[0:1]
; %bb.100:
	v_mov_b32_e32 v3, 1.0
	v_fmamk_f32 v7, v12, 0xbe800000, v3
; %bb.101:
	s_or_b64 exec, exec, s[0:1]
	v_add_f32_e32 v3, 0x4673a1bf, v14
	v_fmaak_f32 v3, v12, v3, 0xcb5fc0fa
	v_add_f32_e32 v9, 0x44822913, v14
	v_fmaak_f32 v3, v12, v3, 0x4fa1fbc8
	v_fmaak_f32 v9, v12, v9, 0x4918dbb5
	;; [unrolled: 1-line block ×12, first 2 shown]
	v_div_scale_f32 v11, s[0:1], v9, v9, v3
	v_rcp_f32_e32 v12, v11
	s_mov_b32 s0, 0x800000
	v_cmp_gt_f32_e64 s[0:1], s0, v5
	s_mov_b32 s12, 0x3f317217
	v_fma_f32 v13, -v11, v12, 1.0
	v_fmac_f32_e32 v12, v13, v12
	v_div_scale_f32 v13, vcc, v3, v9, v3
	v_mul_f32_e32 v14, v13, v12
	v_fma_f32 v15, -v11, v14, v13
	v_fmac_f32_e32 v14, v15, v12
	v_fma_f32 v11, -v11, v14, v13
	v_mov_b32_e32 v13, 0x4f800000
	v_cndmask_b32_e64 v13, 1.0, v13, s[0:1]
	v_mul_f32_e32 v5, v5, v13
	v_log_f32_e32 v5, v5
	v_div_fmas_f32 v11, v11, v12, v14
	v_div_fixup_f32 v3, v11, v9, v3
	v_mul_f32_e32 v9, 0x3f317217, v5
	v_fma_f32 v11, v5, s12, -v9
	v_fmamk_f32 v11, v5, 0x3377d1cf, v11
	s_mov_b32 s12, 0x7f800000
	v_add_f32_e32 v9, v9, v11
	v_cmp_lt_f32_e64 vcc, |v5|, s12
	s_nop 1
	v_cndmask_b32_e32 v5, v5, v9, vcc
	v_mov_b32_e32 v9, 0x41b17218
	v_cndmask_b32_e64 v9, 0, v9, s[0:1]
	v_sub_f32_e32 v5, v5, v9
	v_mul_f32_e32 v5, 0x3f22f983, v5
	v_fmac_f32_e32 v3, v5, v7
.LBB21_102:
	s_or_b64 exec, exec, s[6:7]
.LBB21_103:
	s_or_b64 exec, exec, s[4:5]
                                        ; implicit-def: $vgpr5
.LBB21_104:
	s_andn2_saveexec_b64 s[6:7], s[2:3]
	s_cbranch_execz .LBB21_114
; %bb.105:
	v_add_f32_e32 v3, 0xbf490fdb, v5
	v_and_b32_e32 v7, 0x7fffffff, v3
	s_brev_b32 s0, 18
	v_cmp_nlt_f32_e64 s[12:13], |v3|, s0
	v_lshrrev_b32_e32 v14, 23, v7
                                        ; implicit-def: $vgpr9
                                        ; implicit-def: $vgpr11
	s_and_saveexec_b64 s[0:1], s[12:13]
	s_xor_b64 s[14:15], exec, s[0:1]
	s_cbranch_execz .LBB21_107
; %bb.106:
	v_add_u32_e32 v9, 0xffffff88, v14
	v_not_b32_e32 v11, 63
	v_cmp_lt_u32_e32 vcc, 63, v9
	s_mov_b32 s4, 0xfe5163ab
	v_mov_b32_e32 v13, 0
	v_cndmask_b32_e32 v11, 0, v11, vcc
	v_add_u32_e32 v9, v11, v9
	v_not_b32_e32 v11, 31
	v_cmp_lt_u32_e64 s[0:1], 31, v9
	s_nop 1
	v_cndmask_b32_e64 v12, 0, v11, s[0:1]
	v_add_u32_e32 v9, v12, v9
	v_cmp_lt_u32_e64 s[2:3], 31, v9
	s_nop 1
	v_cndmask_b32_e64 v11, 0, v11, s[2:3]
	v_add_u32_e32 v9, v11, v9
	v_and_b32_e32 v11, 0x7fffff, v7
	v_or_b32_e32 v11, 0x800000, v11
	v_mad_u64_u32 v[16:17], s[4:5], v11, s4, 0
	v_mov_b32_e32 v12, v17
	s_mov_b32 s4, 0x3c439041
	v_mad_u64_u32 v[18:19], s[4:5], v11, s4, v[12:13]
	v_mov_b32_e32 v12, v19
	s_mov_b32 s4, 0xdb629599
	v_mad_u64_u32 v[20:21], s[4:5], v11, s4, v[12:13]
	v_mov_b32_e32 v12, v21
	s_mov_b32 s4, 0xf534ddc0
	v_mad_u64_u32 v[22:23], s[4:5], v11, s4, v[12:13]
	v_mov_b32_e32 v12, v23
	s_mov_b32 s4, 0xfc2757d1
	v_mad_u64_u32 v[24:25], s[4:5], v11, s4, v[12:13]
	v_mov_b32_e32 v12, v25
	s_mov_b32 s4, 0x4e441529
	v_mad_u64_u32 v[26:27], s[4:5], v11, s4, v[12:13]
	v_mov_b32_e32 v12, v27
	s_mov_b32 s4, 0xa2f9836e
	v_mad_u64_u32 v[12:13], s[4:5], v11, s4, v[12:13]
	v_cndmask_b32_e32 v15, v26, v22, vcc
	v_cndmask_b32_e32 v11, v12, v24, vcc
	;; [unrolled: 1-line block ×3, first 2 shown]
	v_cndmask_b32_e64 v12, v11, v15, s[0:1]
	v_cndmask_b32_e64 v11, v13, v11, s[0:1]
	v_cndmask_b32_e32 v13, v24, v20, vcc
	v_cndmask_b32_e64 v15, v15, v13, s[0:1]
	v_cndmask_b32_e64 v11, v11, v12, s[2:3]
	v_cndmask_b32_e64 v12, v12, v15, s[2:3]
	v_sub_u32_e32 v17, 32, v9
	v_alignbit_b32 v19, v11, v12, v17
	v_cmp_eq_u32_e64 s[4:5], 0, v9
	v_cndmask_b32_e32 v16, v20, v16, vcc
	s_nop 0
	v_cndmask_b32_e64 v9, v19, v11, s[4:5]
	v_cndmask_b32_e32 v11, v22, v18, vcc
	v_cndmask_b32_e64 v13, v13, v11, s[0:1]
	v_cndmask_b32_e64 v15, v15, v13, s[2:3]
	v_alignbit_b32 v18, v12, v15, v17
	v_cndmask_b32_e64 v12, v18, v12, s[4:5]
	v_bfe_u32 v21, v9, 29, 1
	v_cndmask_b32_e64 v11, v11, v16, s[0:1]
	v_alignbit_b32 v18, v9, v12, 30
	v_sub_u32_e32 v22, 0, v21
	v_cndmask_b32_e64 v11, v13, v11, s[2:3]
	v_xor_b32_e32 v23, v18, v22
	v_alignbit_b32 v13, v15, v11, v17
	v_cndmask_b32_e64 v13, v13, v15, s[4:5]
	v_ffbh_u32_e32 v15, v23
	v_add_u32_e32 v15, 1, v15
	v_cmp_ne_u32_e32 vcc, v18, v22
	v_alignbit_b32 v12, v12, v13, 30
	v_alignbit_b32 v11, v13, v11, 30
	v_cndmask_b32_e32 v15, 33, v15, vcc
	v_xor_b32_e32 v12, v12, v22
	v_sub_u32_e32 v16, 32, v15
	v_xor_b32_e32 v11, v11, v22
	v_alignbit_b32 v17, v23, v12, v16
	v_alignbit_b32 v11, v12, v11, v16
	v_alignbit_b32 v12, v17, v11, 9
	v_ffbh_u32_e32 v13, v12
	v_min_u32_e32 v13, 32, v13
	v_lshrrev_b32_e32 v19, 29, v9
	v_sub_u32_e32 v16, 31, v13
	v_alignbit_b32 v11, v12, v11, v16
	v_lshlrev_b32_e32 v12, 31, v19
	v_or_b32_e32 v16, 0x33800000, v12
	v_add_lshl_u32 v13, v13, v15, 23
	v_lshrrev_b32_e32 v11, 9, v11
	v_sub_u32_e32 v13, v16, v13
	v_or_b32_e32 v11, v13, v11
	v_alignbit_b32 v13, v15, v17, 9
	v_or_b32_e32 v12, v13, v12
	v_xor_b32_e32 v12, 1.0, v12
	s_mov_b32 s0, 0x3fc90fda
	v_mul_f32_e32 v13, 0x3fc90fda, v12
	v_fma_f32 v15, v12, s0, -v13
	v_fmamk_f32 v12, v12, 0x33a22168, v15
	v_fmac_f32_e32 v12, 0x3fc90fda, v11
	v_lshrrev_b32_e32 v9, 30, v9
	v_add_f32_e32 v11, v13, v12
	v_add_u32_e32 v9, v21, v9
	s_andn2_saveexec_b64 s[0:1], s[14:15]
	s_branch .LBB21_108
.LBB21_107:
	s_andn2_saveexec_b64 s[0:1], s[14:15]
.LBB21_108:
	s_mov_b32 s2, 0x3f22f983
	v_mul_f32_e64 v9, |v3|, s2
	v_rndne_f32_e32 v11, v9
	s_mov_b32 s2, 0xbfc90fda
	v_cvt_i32_f32_e32 v9, v11
	v_fma_f32 v12, v11, s2, |v3|
	v_fmamk_f32 v12, v11, 0xb3a22168, v12
	v_fmamk_f32 v11, v11, 0xa7c234c4, v12
; %bb.109:
	s_or_b64 exec, exec, s[0:1]
                                        ; implicit-def: $vgpr12
                                        ; implicit-def: $vgpr13
	s_and_saveexec_b64 s[0:1], s[12:13]
	s_xor_b64 s[12:13], exec, s[0:1]
	s_cbranch_execz .LBB21_111
; %bb.110:
	v_add_u32_e32 v12, 0xffffff88, v14
	v_not_b32_e32 v14, 63
	v_cmp_lt_u32_e32 vcc, 63, v12
	s_mov_b32 s4, 0xfe5163ab
	v_mov_b32_e32 v13, 0
	v_cndmask_b32_e32 v14, 0, v14, vcc
	v_add_u32_e32 v12, v14, v12
	v_not_b32_e32 v14, 31
	v_cmp_lt_u32_e64 s[0:1], 31, v12
	s_nop 1
	v_cndmask_b32_e64 v15, 0, v14, s[0:1]
	v_add_u32_e32 v12, v15, v12
	v_cmp_lt_u32_e64 s[2:3], 31, v12
	s_nop 1
	v_cndmask_b32_e64 v14, 0, v14, s[2:3]
	v_add_u32_e32 v26, v14, v12
	v_and_b32_e32 v12, 0x7fffff, v7
	v_or_b32_e32 v27, 0x800000, v12
	v_mad_u64_u32 v[14:15], s[4:5], v27, s4, 0
	v_mov_b32_e32 v12, v15
	s_mov_b32 s4, 0x3c439041
	v_mad_u64_u32 v[16:17], s[4:5], v27, s4, v[12:13]
	v_mov_b32_e32 v12, v17
	s_mov_b32 s4, 0xdb629599
	;; [unrolled: 3-line block ×6, first 2 shown]
	v_mad_u64_u32 v[12:13], s[4:5], v27, s4, v[12:13]
	v_cndmask_b32_e32 v15, v24, v20, vcc
	v_cndmask_b32_e32 v12, v12, v22, vcc
	;; [unrolled: 1-line block ×3, first 2 shown]
	v_cndmask_b32_e64 v17, v12, v15, s[0:1]
	v_cndmask_b32_e64 v12, v13, v12, s[0:1]
	v_cndmask_b32_e32 v13, v22, v18, vcc
	v_cndmask_b32_e64 v15, v15, v13, s[0:1]
	v_cndmask_b32_e32 v16, v20, v16, vcc
	v_cndmask_b32_e64 v12, v12, v17, s[2:3]
	v_cndmask_b32_e64 v17, v17, v15, s[2:3]
	v_sub_u32_e32 v19, 32, v26
	v_cndmask_b32_e64 v13, v13, v16, s[0:1]
	v_alignbit_b32 v21, v12, v17, v19
	v_cmp_eq_u32_e64 s[4:5], 0, v26
	v_cndmask_b32_e64 v15, v15, v13, s[2:3]
	v_alignbit_b32 v20, v17, v15, v19
	v_cndmask_b32_e64 v12, v21, v12, s[4:5]
	v_cndmask_b32_e64 v17, v20, v17, s[4:5]
	v_bfe_u32 v22, v12, 29, 1
	v_cndmask_b32_e32 v14, v18, v14, vcc
	v_alignbit_b32 v20, v12, v17, 30
	v_sub_u32_e32 v23, 0, v22
	v_cndmask_b32_e64 v14, v16, v14, s[0:1]
	v_xor_b32_e32 v24, v20, v23
	v_cndmask_b32_e64 v13, v13, v14, s[2:3]
	v_alignbit_b32 v14, v15, v13, v19
	v_ffbh_u32_e32 v16, v24
	v_cndmask_b32_e64 v14, v14, v15, s[4:5]
	v_add_u32_e32 v16, 1, v16
	v_cmp_ne_u32_e32 vcc, v20, v23
	v_alignbit_b32 v15, v17, v14, 30
	v_alignbit_b32 v13, v14, v13, 30
	v_cndmask_b32_e32 v16, 33, v16, vcc
	v_xor_b32_e32 v15, v15, v23
	v_sub_u32_e32 v17, 32, v16
	v_xor_b32_e32 v13, v13, v23
	v_alignbit_b32 v18, v24, v15, v17
	v_alignbit_b32 v13, v15, v13, v17
	;; [unrolled: 1-line block ×3, first 2 shown]
	v_ffbh_u32_e32 v15, v14
	v_min_u32_e32 v15, 32, v15
	v_lshrrev_b32_e32 v21, 29, v12
	v_sub_u32_e32 v17, 31, v15
	v_alignbit_b32 v13, v14, v13, v17
	v_lshlrev_b32_e32 v14, 31, v21
	v_or_b32_e32 v17, 0x33800000, v14
	v_add_lshl_u32 v15, v15, v16, 23
	v_lshrrev_b32_e32 v13, 9, v13
	v_sub_u32_e32 v15, v17, v15
	v_or_b32_e32 v13, v15, v13
	v_alignbit_b32 v15, v16, v18, 9
	v_or_b32_e32 v14, v15, v14
	v_xor_b32_e32 v14, 1.0, v14
	s_mov_b32 s0, 0x3fc90fda
	v_mul_f32_e32 v15, 0x3fc90fda, v14
	v_fma_f32 v16, v14, s0, -v15
	v_fmamk_f32 v14, v14, 0x33a22168, v16
	v_fmac_f32_e32 v14, 0x3fc90fda, v13
	v_lshrrev_b32_e32 v12, 30, v12
	v_add_f32_e32 v13, v15, v14
	v_add_u32_e32 v12, v22, v12
	s_andn2_saveexec_b64 s[0:1], s[12:13]
	s_cbranch_execnz .LBB21_112
	s_branch .LBB21_113
.LBB21_111:
	s_andn2_saveexec_b64 s[0:1], s[12:13]
.LBB21_112:
	s_mov_b32 s2, 0x3f22f983
	v_mul_f32_e64 v12, |v3|, s2
	v_rndne_f32_e32 v13, v12
	s_mov_b32 s2, 0xbfc90fda
	v_cvt_i32_f32_e32 v12, v13
	v_fma_f32 v14, v13, s2, |v3|
	v_fmamk_f32 v14, v13, 0xb3a22168, v14
	v_fmamk_f32 v13, v13, 0xa7c234c4, v14
.LBB21_113:
	s_or_b64 exec, exec, s[0:1]
	v_mul_f32_e32 v14, v5, v5
	s_mov_b32 s2, 0x41c80000
	v_div_scale_f32 v15, s[0:1], v14, v14, s2
	v_rcp_f32_e32 v16, v15
	v_xor_b32_e32 v7, v7, v3
	s_mov_b32 s4, 0x40a00000
	v_mov_b32_e32 v23, 0xbf000004
	v_fma_f32 v17, -v15, v16, 1.0
	v_fmac_f32_e32 v16, v17, v16
	v_div_scale_f32 v17, vcc, s2, v14, s2
	v_mul_f32_e32 v18, v17, v16
	v_fma_f32 v19, -v15, v18, v17
	v_fmac_f32_e32 v18, v19, v16
	v_fma_f32 v15, -v15, v18, v17
	v_div_fmas_f32 v15, v15, v16, v18
	v_div_fixup_f32 v14, v15, v14, s2
	v_mov_b32_e32 v15, 0x3a50e985
	v_mov_b32_e32 v16, 0x3a725406
	v_fmac_f32_e32 v15, 0, v14
	v_fmac_f32_e32 v16, 0, v14
	v_fmaak_f32 v15, v14, v15, 0x3da9a586
	v_fmaak_f32 v16, v14, v16, 0x3daf5e2d
	;; [unrolled: 1-line block ×8, first 2 shown]
	v_mov_b32_e32 v17, 0xbc3a3a12
	v_fmaak_f32 v15, v14, v15, 0x40a9b425
	v_fmaak_f32 v16, v14, v16, 0x40a9cb2f
	v_fmac_f32_e32 v17, 0, v14
	v_mov_b32_e32 v18, 0x4280a2ba
	v_fma_f32 v16, v14, v16, 1.0
	v_fmaak_f32 v17, v14, v17, 0xbfa429da
	v_fmac_f32_e32 v18, 0, v14
	v_fma_f32 v15, v14, v15, 1.0
	v_fmaak_f32 v17, v14, v17, 0xc19c6e80
	v_fmaak_f32 v18, v14, v18, 0x44561b86
	v_div_scale_f32 v19, s[0:1], v16, v16, v15
	v_fmaak_f32 v17, v14, v17, 0xc2ba697b
	v_fmaak_f32 v18, v14, v18, 0x4572a66e
	v_rcp_f32_e32 v20, v19
	v_fmaak_f32 v17, v14, v17, 0xc331ae61
	v_fmaak_f32 v18, v14, v18, 0x45e243be
	;; [unrolled: 1-line block ×8, first 2 shown]
	v_fma_f32 v18, -v19, v20, 1.0
	v_fmac_f32_e32 v20, v18, v20
	v_div_scale_f32 v18, vcc, v15, v16, v15
	v_mul_f32_e32 v21, v18, v20
	v_fma_f32 v22, -v19, v21, v18
	v_fmac_f32_e32 v21, v22, v20
	v_fma_f32 v18, -v19, v21, v18
	v_div_fmas_f32 v18, v18, v20, v21
	v_div_fixup_f32 v15, v18, v16, v15
	v_mul_f32_e32 v16, v11, v11
	v_mov_b32_e32 v18, 0x3c0881c4
	v_fmamk_f32 v19, v16, 0xb94c1982, v18
	v_fmaak_f32 v19, v16, v19, 0xbe2aaa9d
	v_mul_f32_e32 v19, v16, v19
	v_fmac_f32_e32 v11, v11, v19
	v_mov_b32_e32 v19, 0xbab64f3b
	v_fmamk_f32 v21, v16, 0x37d75334, v19
	v_fmaak_f32 v21, v16, v21, 0x3d2aabf7
	v_fmaak_f32 v21, v16, v21, 0xbf000004
	v_fma_f32 v16, v16, v21, 1.0
	v_and_b32_e32 v21, 1, v9
	v_lshlrev_b32_e32 v9, 30, v9
	v_cmp_eq_u32_e32 vcc, 0, v21
	v_and_b32_e32 v9, 0x80000000, v9
	v_xor_b32_e32 v7, v7, v9
	v_cndmask_b32_e32 v11, v16, v11, vcc
	v_div_scale_f32 v9, s[0:1], v5, v5, s4
	v_xor_b32_e32 v7, v7, v11
	v_rcp_f32_e32 v11, v9
	s_movk_i32 s2, 0x1f8
	v_mov_b32_e32 v16, 0x7fc00000
	v_cmp_class_f32_e64 s[0:1], v3, s2
	v_mov_b32_e32 v20, 0xbe2aaa9d
	v_mov_b32_e32 v22, 0x3d2aabf7
	v_cndmask_b32_e64 v3, v16, v7, s[0:1]
	v_fma_f32 v7, -v9, v11, 1.0
	v_fmac_f32_e32 v11, v7, v11
	v_div_scale_f32 v7, vcc, s4, v5, s4
	v_mul_f32_e32 v21, v7, v11
	v_fma_f32 v24, -v9, v21, v7
	v_fmac_f32_e32 v21, v24, v11
	v_fma_f32 v7, -v9, v21, v7
	v_div_scale_f32 v9, s[2:3], v14, v14, v17
	v_rcp_f32_e32 v24, v9
	v_div_fmas_f32 v7, v7, v11, v21
	v_div_fixup_f32 v7, v7, v5, s4
	v_fma_f32 v11, -v9, v24, 1.0
	v_fmac_f32_e32 v24, v11, v24
	v_div_scale_f32 v11, vcc, v17, v14, v17
	v_mul_f32_e32 v21, v11, v24
	v_fma_f32 v25, -v9, v21, v11
	v_fmac_f32_e32 v21, v25, v24
	v_fma_f32 v9, -v9, v21, v11
	v_div_fmas_f32 v9, v9, v24, v21
	v_div_fixup_f32 v9, v9, v14, v17
	v_mul_f32_e32 v7, v7, v9
	v_mul_f32_e32 v9, v13, v13
	v_fmac_f32_e32 v18, 0xb94c1982, v9
	v_fmac_f32_e32 v20, v9, v18
	;; [unrolled: 1-line block ×3, first 2 shown]
	v_mul_f32_e32 v11, v9, v20
	v_fmac_f32_e32 v22, v9, v19
	v_fmac_f32_e32 v13, v13, v11
	;; [unrolled: 1-line block ×3, first 2 shown]
	v_and_b32_e32 v11, 1, v12
	v_fma_f32 v9, v9, v23, 1.0
	v_cmp_eq_u32_e32 vcc, 0, v11
	v_lshlrev_b32_e32 v11, 30, v12
	v_and_b32_e32 v11, 0x80000000, v11
	v_cndmask_b32_e64 v9, -v13, v9, vcc
	v_xor_b32_e32 v9, v11, v9
	v_cndmask_b32_e64 v9, v16, v9, s[0:1]
	s_mov_b32 s0, 0xf800000
	v_mul_f32_e32 v11, 0x4f800000, v5
	v_cmp_gt_f32_e32 vcc, s0, v5
	v_mul_f32_e32 v7, v7, v9
	v_fmac_f32_e32 v7, v15, v3
	v_cndmask_b32_e32 v5, v5, v11, vcc
	v_sqrt_f32_e32 v11, v5
	v_mul_f32_e32 v3, 0x3f4c422a, v7
	v_add_u32_e32 v7, -1, v11
	v_fma_f32 v9, -v7, v11, v5
	v_cmp_ge_f32_e64 s[0:1], 0, v9
	v_add_u32_e32 v9, 1, v11
	s_nop 0
	v_cndmask_b32_e64 v7, v11, v7, s[0:1]
	v_fma_f32 v11, -v9, v11, v5
	v_cmp_lt_f32_e64 s[0:1], 0, v11
	s_nop 1
	v_cndmask_b32_e64 v7, v7, v9, s[0:1]
	v_mul_f32_e32 v9, 0x37800000, v7
	v_cndmask_b32_e32 v7, v7, v9, vcc
	v_mov_b32_e32 v9, 0x260
	v_cmp_class_f32_e32 vcc, v5, v9
	s_nop 1
	v_cndmask_b32_e32 v5, v7, v5, vcc
	v_div_scale_f32 v7, s[0:1], v5, v5, v3
	v_rcp_f32_e32 v9, v7
	s_nop 0
	v_fma_f32 v11, -v7, v9, 1.0
	v_fmac_f32_e32 v9, v11, v9
	v_div_scale_f32 v11, vcc, v3, v5, v3
	v_mul_f32_e32 v12, v11, v9
	v_fma_f32 v13, -v7, v12, v11
	v_fmac_f32_e32 v12, v13, v9
	v_fma_f32 v7, -v7, v12, v11
	v_div_fmas_f32 v7, v7, v9, v12
	v_div_fixup_f32 v3, v7, v5, v3
.LBB21_114:
	s_or_b64 exec, exec, s[6:7]
	global_load_dword v7, v10, s[10:11]
	s_mov_b32 s0, 0x40a00000
                                        ; implicit-def: $vgpr5
	s_waitcnt vmcnt(0)
	v_cmp_ge_f32_e32 vcc, s0, v7
	s_and_saveexec_b64 s[0:1], vcc
	s_xor_b64 s[2:3], exec, s[0:1]
	s_cbranch_execz .LBB21_124
; %bb.115:
	v_cmp_neq_f32_e32 vcc, 0, v7
	v_mov_b32_e32 v5, 0xff800000
	s_and_saveexec_b64 s[4:5], vcc
	s_cbranch_execz .LBB21_123
; %bb.116:
	v_cmp_ngt_f32_e32 vcc, 0, v7
	v_mov_b32_e32 v5, 0x7fc00000
	s_and_saveexec_b64 s[6:7], vcc
	s_cbranch_execz .LBB21_122
; %bb.117:
	v_mul_f32_e32 v10, v7, v7
	s_mov_b32 s0, 0x3727c5ac
	v_mul_f32_e32 v12, 0, v10
	v_cmp_ngt_f32_e32 vcc, s0, v7
                                        ; implicit-def: $vgpr9
	s_and_saveexec_b64 s[0:1], vcc
	s_xor_b64 s[0:1], exec, s[0:1]
	s_cbranch_execz .LBB21_119
; %bb.118:
	v_add_f32_e32 v5, 0x43f9c815, v12
	v_fmaak_f32 v5, v10, v5, 0x4829b65a
	v_fmaak_f32 v5, v10, v5, 0x4c38c9a1
	;; [unrolled: 1-line block ×3, first 2 shown]
	s_mov_b32 s12, 0xcf8ee29d
	v_mul_f32_e32 v13, v10, v5
	s_mov_b32 s13, 0x53f5f59c
	v_pk_add_f32 v[14:15], v[12:13], s[12:13]
	s_mov_b32 s12, 0x53e3ba8e
	s_mov_b32 s13, 0x578d3514
	v_pk_fma_f32 v[14:15], v[10:11], v[14:15], s[12:13] op_sel_hi:[0,1,1]
	s_mov_b32 s12, 0xd762b0a7
	s_mov_b32 s13, 0x5ae20a0c
	v_pk_fma_f32 v[14:15], v[10:11], v[14:15], s[12:13] op_sel_hi:[0,1,1]
	s_mov_b32 s12, 0x5a09f7c3
	s_mov_b32 s13, 0x5dbdf1a6
	v_pk_fma_f32 v[14:15], v[10:11], v[14:15], s[12:13] op_sel_hi:[0,1,1]
	s_mov_b32 s12, 0xc0b90fdc
	s_mov_b32 s13, 0xc1f3c525
	v_pk_add_f32 v[16:17], v[10:11], s[12:13] op_sel_hi:[0,1]
	v_mul_f32_e32 v5, v16, v17
	v_mul_f32_e32 v5, v5, v14
	v_div_scale_f32 v9, s[12:13], v15, v15, v5
	v_rcp_f32_e32 v11, v9
	s_nop 0
	v_fma_f32 v13, -v9, v11, 1.0
	v_fmac_f32_e32 v11, v13, v11
	v_div_scale_f32 v13, vcc, v5, v15, v5
	v_mul_f32_e32 v14, v13, v11
	v_fma_f32 v16, -v9, v14, v13
	v_fmac_f32_e32 v14, v16, v11
	v_fma_f32 v9, -v9, v14, v13
	v_div_fmas_f32 v9, v9, v11, v14
	v_div_fixup_f32 v9, v9, v15, v5
.LBB21_119:
	s_andn2_saveexec_b64 s[0:1], s[0:1]
; %bb.120:
	v_mov_b32_e32 v5, 1.0
	v_fmamk_f32 v9, v10, 0xbe800000, v5
; %bb.121:
	s_or_b64 exec, exec, s[0:1]
	v_add_f32_e32 v5, 0x4673a1bf, v12
	v_fmaak_f32 v5, v10, v5, 0xcb5fc0fa
	v_add_f32_e32 v11, 0x44822913, v12
	v_fmaak_f32 v5, v10, v5, 0x4fa1fbc8
	v_fmaak_f32 v11, v10, v11, 0x4918dbb5
	v_fmaak_f32 v5, v10, v5, 0xd364abdf
	v_fmaak_f32 v11, v10, v11, 0x4d803b1b
	v_fmaak_f32 v5, v10, v5, 0x569f5392
	v_fmaak_f32 v11, v10, v11, 0x51a0eed9
	v_fmaak_f32 v5, v10, v5, 0xd945090f
	v_fmaak_f32 v11, v10, v11, 0x5593afe6
	v_fmaak_f32 v5, v10, v5, 0x5b1d4a5b
	v_fmaak_f32 v11, v10, v11, 0x59344887
	v_fmaak_f32 v11, v10, v11, 0x5c5e92fe
	v_fmaak_f32 v5, v10, v5, 0xda836a5b
	v_div_scale_f32 v10, s[0:1], v11, v11, v5
	v_rcp_f32_e32 v12, v10
	s_mov_b32 s0, 0x800000
	v_cmp_gt_f32_e64 s[0:1], s0, v7
	s_mov_b32 s12, 0x3f317217
	v_fma_f32 v13, -v10, v12, 1.0
	v_fmac_f32_e32 v12, v13, v12
	v_div_scale_f32 v13, vcc, v5, v11, v5
	v_mul_f32_e32 v14, v13, v12
	v_fma_f32 v15, -v10, v14, v13
	v_fmac_f32_e32 v14, v15, v12
	v_fma_f32 v10, -v10, v14, v13
	v_mov_b32_e32 v13, 0x4f800000
	v_cndmask_b32_e64 v13, 1.0, v13, s[0:1]
	v_mul_f32_e32 v7, v7, v13
	v_log_f32_e32 v7, v7
	v_div_fmas_f32 v10, v10, v12, v14
	v_div_fixup_f32 v5, v10, v11, v5
	v_mul_f32_e32 v10, 0x3f317217, v7
	v_fma_f32 v11, v7, s12, -v10
	v_fmamk_f32 v11, v7, 0x3377d1cf, v11
	s_mov_b32 s12, 0x7f800000
	v_add_f32_e32 v10, v10, v11
	v_cmp_lt_f32_e64 vcc, |v7|, s12
	s_nop 1
	v_cndmask_b32_e32 v7, v7, v10, vcc
	v_mov_b32_e32 v10, 0x41b17218
	v_cndmask_b32_e64 v10, 0, v10, s[0:1]
	v_sub_f32_e32 v7, v7, v10
	v_mul_f32_e32 v7, 0x3f22f983, v7
	v_fmac_f32_e32 v5, v7, v9
.LBB21_122:
	s_or_b64 exec, exec, s[6:7]
.LBB21_123:
	s_or_b64 exec, exec, s[4:5]
                                        ; implicit-def: $vgpr7
.LBB21_124:
	s_andn2_saveexec_b64 s[6:7], s[2:3]
	s_cbranch_execz .LBB21_134
; %bb.125:
	v_add_f32_e32 v5, 0xbf490fdb, v7
	v_and_b32_e32 v9, 0x7fffffff, v5
	s_brev_b32 s0, 18
	v_cmp_nlt_f32_e64 s[12:13], |v5|, s0
	v_lshrrev_b32_e32 v14, 23, v9
                                        ; implicit-def: $vgpr10
                                        ; implicit-def: $vgpr11
	s_and_saveexec_b64 s[0:1], s[12:13]
	s_xor_b64 s[14:15], exec, s[0:1]
	s_cbranch_execz .LBB21_127
; %bb.126:
	v_add_u32_e32 v10, 0xffffff88, v14
	v_not_b32_e32 v12, 63
	v_cmp_lt_u32_e32 vcc, 63, v10
	s_mov_b32 s4, 0xfe5163ab
	v_mov_b32_e32 v11, 0
	v_cndmask_b32_e32 v12, 0, v12, vcc
	v_add_u32_e32 v10, v12, v10
	v_not_b32_e32 v12, 31
	v_cmp_lt_u32_e64 s[0:1], 31, v10
	s_nop 1
	v_cndmask_b32_e64 v13, 0, v12, s[0:1]
	v_add_u32_e32 v10, v13, v10
	v_cmp_lt_u32_e64 s[2:3], 31, v10
	s_nop 1
	v_cndmask_b32_e64 v12, 0, v12, s[2:3]
	v_add_u32_e32 v15, v12, v10
	v_and_b32_e32 v10, 0x7fffff, v9
	v_or_b32_e32 v26, 0x800000, v10
	v_mad_u64_u32 v[12:13], s[4:5], v26, s4, 0
	v_mov_b32_e32 v10, v13
	s_mov_b32 s4, 0x3c439041
	v_mad_u64_u32 v[16:17], s[4:5], v26, s4, v[10:11]
	v_mov_b32_e32 v10, v17
	s_mov_b32 s4, 0xdb629599
	;; [unrolled: 3-line block ×6, first 2 shown]
	v_mad_u64_u32 v[10:11], s[4:5], v26, s4, v[10:11]
	v_cndmask_b32_e32 v13, v24, v20, vcc
	v_cndmask_b32_e32 v10, v10, v22, vcc
	;; [unrolled: 1-line block ×3, first 2 shown]
	v_cndmask_b32_e64 v17, v10, v13, s[0:1]
	v_cndmask_b32_e64 v10, v11, v10, s[0:1]
	v_cndmask_b32_e32 v11, v22, v18, vcc
	v_cndmask_b32_e64 v13, v13, v11, s[0:1]
	v_sub_u32_e32 v19, 32, v15
	v_cmp_eq_u32_e64 s[4:5], 0, v15
	v_cndmask_b32_e32 v15, v20, v16, vcc
	v_cndmask_b32_e64 v10, v10, v17, s[2:3]
	v_cndmask_b32_e64 v17, v17, v13, s[2:3]
	;; [unrolled: 1-line block ×3, first 2 shown]
	v_alignbit_b32 v21, v10, v17, v19
	v_cndmask_b32_e64 v13, v13, v11, s[2:3]
	v_cndmask_b32_e64 v10, v21, v10, s[4:5]
	v_alignbit_b32 v16, v17, v13, v19
	v_cndmask_b32_e64 v16, v16, v17, s[4:5]
	v_bfe_u32 v21, v10, 29, 1
	v_cndmask_b32_e32 v12, v18, v12, vcc
	v_alignbit_b32 v17, v10, v16, 30
	v_sub_u32_e32 v22, 0, v21
	v_cndmask_b32_e64 v12, v15, v12, s[0:1]
	v_xor_b32_e32 v23, v17, v22
	v_cndmask_b32_e64 v11, v11, v12, s[2:3]
	v_alignbit_b32 v12, v13, v11, v19
	v_ffbh_u32_e32 v15, v23
	v_cndmask_b32_e64 v12, v12, v13, s[4:5]
	v_add_u32_e32 v15, 1, v15
	v_cmp_ne_u32_e32 vcc, v17, v22
	v_alignbit_b32 v13, v16, v12, 30
	v_alignbit_b32 v11, v12, v11, 30
	v_cndmask_b32_e32 v15, 33, v15, vcc
	v_xor_b32_e32 v13, v13, v22
	v_sub_u32_e32 v16, 32, v15
	v_xor_b32_e32 v11, v11, v22
	v_alignbit_b32 v17, v23, v13, v16
	v_alignbit_b32 v11, v13, v11, v16
	;; [unrolled: 1-line block ×3, first 2 shown]
	v_ffbh_u32_e32 v13, v12
	v_min_u32_e32 v13, 32, v13
	v_lshrrev_b32_e32 v20, 29, v10
	v_sub_u32_e32 v16, 31, v13
	v_alignbit_b32 v11, v12, v11, v16
	v_lshlrev_b32_e32 v12, 31, v20
	v_or_b32_e32 v16, 0x33800000, v12
	v_add_lshl_u32 v13, v13, v15, 23
	v_lshrrev_b32_e32 v11, 9, v11
	v_sub_u32_e32 v13, v16, v13
	v_or_b32_e32 v11, v13, v11
	v_alignbit_b32 v13, v15, v17, 9
	v_or_b32_e32 v12, v13, v12
	v_xor_b32_e32 v12, 1.0, v12
	s_mov_b32 s0, 0x3fc90fda
	v_mul_f32_e32 v13, 0x3fc90fda, v12
	v_fma_f32 v15, v12, s0, -v13
	v_fmamk_f32 v12, v12, 0x33a22168, v15
	v_fmac_f32_e32 v12, 0x3fc90fda, v11
	v_lshrrev_b32_e32 v10, 30, v10
	v_add_f32_e32 v11, v13, v12
	v_add_u32_e32 v10, v21, v10
	s_andn2_saveexec_b64 s[0:1], s[14:15]
	s_branch .LBB21_128
.LBB21_127:
	s_andn2_saveexec_b64 s[0:1], s[14:15]
.LBB21_128:
	s_mov_b32 s2, 0x3f22f983
	v_mul_f32_e64 v10, |v5|, s2
	v_rndne_f32_e32 v11, v10
	s_mov_b32 s2, 0xbfc90fda
	v_cvt_i32_f32_e32 v10, v11
	v_fma_f32 v12, v11, s2, |v5|
	v_fmamk_f32 v12, v11, 0xb3a22168, v12
	v_fmamk_f32 v11, v11, 0xa7c234c4, v12
; %bb.129:
	s_or_b64 exec, exec, s[0:1]
                                        ; implicit-def: $vgpr12
                                        ; implicit-def: $vgpr13
	s_and_saveexec_b64 s[0:1], s[12:13]
	s_xor_b64 s[12:13], exec, s[0:1]
	s_cbranch_execz .LBB21_131
; %bb.130:
	v_add_u32_e32 v12, 0xffffff88, v14
	v_not_b32_e32 v14, 63
	v_cmp_lt_u32_e32 vcc, 63, v12
	s_mov_b32 s4, 0xfe5163ab
	v_mov_b32_e32 v13, 0
	v_cndmask_b32_e32 v14, 0, v14, vcc
	v_add_u32_e32 v12, v14, v12
	v_not_b32_e32 v14, 31
	v_cmp_lt_u32_e64 s[0:1], 31, v12
	s_nop 1
	v_cndmask_b32_e64 v15, 0, v14, s[0:1]
	v_add_u32_e32 v12, v15, v12
	v_cmp_lt_u32_e64 s[2:3], 31, v12
	s_nop 1
	v_cndmask_b32_e64 v14, 0, v14, s[2:3]
	v_add_u32_e32 v26, v14, v12
	v_and_b32_e32 v12, 0x7fffff, v9
	v_or_b32_e32 v27, 0x800000, v12
	v_mad_u64_u32 v[14:15], s[4:5], v27, s4, 0
	v_mov_b32_e32 v12, v15
	s_mov_b32 s4, 0x3c439041
	v_mad_u64_u32 v[16:17], s[4:5], v27, s4, v[12:13]
	v_mov_b32_e32 v12, v17
	s_mov_b32 s4, 0xdb629599
	;; [unrolled: 3-line block ×6, first 2 shown]
	v_mad_u64_u32 v[12:13], s[4:5], v27, s4, v[12:13]
	v_cndmask_b32_e32 v15, v24, v20, vcc
	v_cndmask_b32_e32 v12, v12, v22, vcc
	;; [unrolled: 1-line block ×3, first 2 shown]
	v_cndmask_b32_e64 v17, v12, v15, s[0:1]
	v_cndmask_b32_e64 v12, v13, v12, s[0:1]
	v_cndmask_b32_e32 v13, v22, v18, vcc
	v_cndmask_b32_e64 v15, v15, v13, s[0:1]
	v_cndmask_b32_e32 v16, v20, v16, vcc
	v_cndmask_b32_e64 v12, v12, v17, s[2:3]
	v_cndmask_b32_e64 v17, v17, v15, s[2:3]
	v_sub_u32_e32 v19, 32, v26
	v_cndmask_b32_e64 v13, v13, v16, s[0:1]
	v_alignbit_b32 v21, v12, v17, v19
	v_cmp_eq_u32_e64 s[4:5], 0, v26
	v_cndmask_b32_e64 v15, v15, v13, s[2:3]
	v_alignbit_b32 v20, v17, v15, v19
	v_cndmask_b32_e64 v12, v21, v12, s[4:5]
	v_cndmask_b32_e64 v17, v20, v17, s[4:5]
	v_bfe_u32 v22, v12, 29, 1
	v_cndmask_b32_e32 v14, v18, v14, vcc
	v_alignbit_b32 v20, v12, v17, 30
	v_sub_u32_e32 v23, 0, v22
	v_cndmask_b32_e64 v14, v16, v14, s[0:1]
	v_xor_b32_e32 v24, v20, v23
	v_cndmask_b32_e64 v13, v13, v14, s[2:3]
	v_alignbit_b32 v14, v15, v13, v19
	v_ffbh_u32_e32 v16, v24
	v_cndmask_b32_e64 v14, v14, v15, s[4:5]
	v_add_u32_e32 v16, 1, v16
	v_cmp_ne_u32_e32 vcc, v20, v23
	v_alignbit_b32 v15, v17, v14, 30
	v_alignbit_b32 v13, v14, v13, 30
	v_cndmask_b32_e32 v16, 33, v16, vcc
	v_xor_b32_e32 v15, v15, v23
	v_sub_u32_e32 v17, 32, v16
	v_xor_b32_e32 v13, v13, v23
	v_alignbit_b32 v18, v24, v15, v17
	v_alignbit_b32 v13, v15, v13, v17
	;; [unrolled: 1-line block ×3, first 2 shown]
	v_ffbh_u32_e32 v15, v14
	v_min_u32_e32 v15, 32, v15
	v_lshrrev_b32_e32 v21, 29, v12
	v_sub_u32_e32 v17, 31, v15
	v_alignbit_b32 v13, v14, v13, v17
	v_lshlrev_b32_e32 v14, 31, v21
	v_or_b32_e32 v17, 0x33800000, v14
	v_add_lshl_u32 v15, v15, v16, 23
	v_lshrrev_b32_e32 v13, 9, v13
	v_sub_u32_e32 v15, v17, v15
	v_or_b32_e32 v13, v15, v13
	v_alignbit_b32 v15, v16, v18, 9
	v_or_b32_e32 v14, v15, v14
	v_xor_b32_e32 v14, 1.0, v14
	s_mov_b32 s0, 0x3fc90fda
	v_mul_f32_e32 v15, 0x3fc90fda, v14
	v_fma_f32 v16, v14, s0, -v15
	v_fmamk_f32 v14, v14, 0x33a22168, v16
	v_fmac_f32_e32 v14, 0x3fc90fda, v13
	v_lshrrev_b32_e32 v12, 30, v12
	v_add_f32_e32 v13, v15, v14
	v_add_u32_e32 v12, v22, v12
	s_andn2_saveexec_b64 s[0:1], s[12:13]
	s_cbranch_execnz .LBB21_132
	s_branch .LBB21_133
.LBB21_131:
	s_andn2_saveexec_b64 s[0:1], s[12:13]
.LBB21_132:
	s_mov_b32 s2, 0x3f22f983
	v_mul_f32_e64 v12, |v5|, s2
	v_rndne_f32_e32 v13, v12
	s_mov_b32 s2, 0xbfc90fda
	v_cvt_i32_f32_e32 v12, v13
	v_fma_f32 v14, v13, s2, |v5|
	v_fmamk_f32 v14, v13, 0xb3a22168, v14
	v_fmamk_f32 v13, v13, 0xa7c234c4, v14
.LBB21_133:
	s_or_b64 exec, exec, s[0:1]
	v_mul_f32_e32 v14, v7, v7
	s_mov_b32 s2, 0x41c80000
	v_div_scale_f32 v15, s[0:1], v14, v14, s2
	v_rcp_f32_e32 v16, v15
	v_xor_b32_e32 v9, v9, v5
	s_mov_b32 s4, 0x40a00000
	v_mov_b32_e32 v23, 0xbf000004
	v_fma_f32 v17, -v15, v16, 1.0
	v_fmac_f32_e32 v16, v17, v16
	v_div_scale_f32 v17, vcc, s2, v14, s2
	v_mul_f32_e32 v18, v17, v16
	v_fma_f32 v19, -v15, v18, v17
	v_fmac_f32_e32 v18, v19, v16
	v_fma_f32 v15, -v15, v18, v17
	v_div_fmas_f32 v15, v15, v16, v18
	v_div_fixup_f32 v14, v15, v14, s2
	v_mov_b32_e32 v15, 0x3a50e985
	v_mov_b32_e32 v16, 0x3a725406
	v_fmac_f32_e32 v15, 0, v14
	v_fmac_f32_e32 v16, 0, v14
	v_fmaak_f32 v15, v14, v15, 0x3da9a586
	v_fmaak_f32 v16, v14, v16, 0x3daf5e2d
	;; [unrolled: 1-line block ×8, first 2 shown]
	v_mov_b32_e32 v17, 0xbc3a3a12
	v_fmaak_f32 v15, v14, v15, 0x40a9b425
	v_fmaak_f32 v16, v14, v16, 0x40a9cb2f
	v_fmac_f32_e32 v17, 0, v14
	v_mov_b32_e32 v18, 0x4280a2ba
	v_fma_f32 v16, v14, v16, 1.0
	v_fmaak_f32 v17, v14, v17, 0xbfa429da
	v_fmac_f32_e32 v18, 0, v14
	v_fma_f32 v15, v14, v15, 1.0
	v_fmaak_f32 v17, v14, v17, 0xc19c6e80
	v_fmaak_f32 v18, v14, v18, 0x44561b86
	v_div_scale_f32 v19, s[0:1], v16, v16, v15
	v_fmaak_f32 v17, v14, v17, 0xc2ba697b
	v_fmaak_f32 v18, v14, v18, 0x4572a66e
	v_rcp_f32_e32 v20, v19
	v_fmaak_f32 v17, v14, v17, 0xc331ae61
	v_fmaak_f32 v18, v14, v18, 0x45e243be
	;; [unrolled: 1-line block ×8, first 2 shown]
	v_fma_f32 v18, -v19, v20, 1.0
	v_fmac_f32_e32 v20, v18, v20
	v_div_scale_f32 v18, vcc, v15, v16, v15
	v_mul_f32_e32 v21, v18, v20
	v_fma_f32 v22, -v19, v21, v18
	v_fmac_f32_e32 v21, v22, v20
	v_fma_f32 v18, -v19, v21, v18
	v_div_fmas_f32 v18, v18, v20, v21
	v_div_fixup_f32 v15, v18, v16, v15
	v_mul_f32_e32 v16, v11, v11
	v_mov_b32_e32 v18, 0x3c0881c4
	v_fmamk_f32 v19, v16, 0xb94c1982, v18
	v_fmaak_f32 v19, v16, v19, 0xbe2aaa9d
	v_mul_f32_e32 v19, v16, v19
	v_fmac_f32_e32 v11, v11, v19
	v_mov_b32_e32 v19, 0xbab64f3b
	v_fmamk_f32 v21, v16, 0x37d75334, v19
	v_fmaak_f32 v21, v16, v21, 0x3d2aabf7
	v_fmaak_f32 v21, v16, v21, 0xbf000004
	v_fma_f32 v16, v16, v21, 1.0
	v_and_b32_e32 v21, 1, v10
	v_lshlrev_b32_e32 v10, 30, v10
	v_cmp_eq_u32_e32 vcc, 0, v21
	v_and_b32_e32 v10, 0x80000000, v10
	v_xor_b32_e32 v9, v9, v10
	v_cndmask_b32_e32 v11, v16, v11, vcc
	v_div_scale_f32 v10, s[0:1], v7, v7, s4
	v_xor_b32_e32 v9, v9, v11
	v_rcp_f32_e32 v11, v10
	s_movk_i32 s2, 0x1f8
	v_mov_b32_e32 v16, 0x7fc00000
	v_cmp_class_f32_e64 s[0:1], v5, s2
	v_mov_b32_e32 v20, 0xbe2aaa9d
	v_mov_b32_e32 v22, 0x3d2aabf7
	v_cndmask_b32_e64 v5, v16, v9, s[0:1]
	v_fma_f32 v9, -v10, v11, 1.0
	v_fmac_f32_e32 v11, v9, v11
	v_div_scale_f32 v9, vcc, s4, v7, s4
	v_mul_f32_e32 v21, v9, v11
	v_fma_f32 v24, -v10, v21, v9
	v_fmac_f32_e32 v21, v24, v11
	v_fma_f32 v9, -v10, v21, v9
	v_div_scale_f32 v10, s[2:3], v14, v14, v17
	v_rcp_f32_e32 v24, v10
	v_div_fmas_f32 v9, v9, v11, v21
	v_div_fixup_f32 v9, v9, v7, s4
	v_fma_f32 v11, -v10, v24, 1.0
	v_fmac_f32_e32 v24, v11, v24
	v_div_scale_f32 v11, vcc, v17, v14, v17
	v_mul_f32_e32 v21, v11, v24
	v_fma_f32 v25, -v10, v21, v11
	v_fmac_f32_e32 v21, v25, v24
	v_fma_f32 v10, -v10, v21, v11
	v_div_fmas_f32 v10, v10, v24, v21
	v_div_fixup_f32 v10, v10, v14, v17
	v_mul_f32_e32 v9, v9, v10
	v_mul_f32_e32 v10, v13, v13
	v_fmac_f32_e32 v18, 0xb94c1982, v10
	v_fmac_f32_e32 v20, v10, v18
	;; [unrolled: 1-line block ×3, first 2 shown]
	v_mul_f32_e32 v11, v10, v20
	v_fmac_f32_e32 v22, v10, v19
	v_fmac_f32_e32 v13, v13, v11
	;; [unrolled: 1-line block ×3, first 2 shown]
	v_and_b32_e32 v11, 1, v12
	v_fma_f32 v10, v10, v23, 1.0
	v_cmp_eq_u32_e32 vcc, 0, v11
	v_lshlrev_b32_e32 v11, 30, v12
	v_and_b32_e32 v11, 0x80000000, v11
	v_cndmask_b32_e64 v10, -v13, v10, vcc
	v_xor_b32_e32 v10, v11, v10
	v_cndmask_b32_e64 v10, v16, v10, s[0:1]
	s_mov_b32 s0, 0xf800000
	v_mul_f32_e32 v11, 0x4f800000, v7
	v_cmp_gt_f32_e32 vcc, s0, v7
	v_mul_f32_e32 v9, v9, v10
	v_fmac_f32_e32 v9, v15, v5
	v_cndmask_b32_e32 v7, v7, v11, vcc
	v_sqrt_f32_e32 v11, v7
	v_mul_f32_e32 v5, 0x3f4c422a, v9
	v_add_u32_e32 v9, -1, v11
	v_fma_f32 v10, -v9, v11, v7
	v_cmp_ge_f32_e64 s[0:1], 0, v10
	v_add_u32_e32 v10, 1, v11
	s_nop 0
	v_cndmask_b32_e64 v9, v11, v9, s[0:1]
	v_fma_f32 v11, -v10, v11, v7
	v_cmp_lt_f32_e64 s[0:1], 0, v11
	s_nop 1
	v_cndmask_b32_e64 v9, v9, v10, s[0:1]
	v_mul_f32_e32 v10, 0x37800000, v9
	v_cndmask_b32_e32 v9, v9, v10, vcc
	v_mov_b32_e32 v10, 0x260
	v_cmp_class_f32_e32 vcc, v7, v10
	s_nop 1
	v_cndmask_b32_e32 v7, v9, v7, vcc
	v_div_scale_f32 v9, s[0:1], v7, v7, v5
	v_rcp_f32_e32 v10, v9
	s_nop 0
	v_fma_f32 v11, -v9, v10, 1.0
	v_fmac_f32_e32 v10, v11, v10
	v_div_scale_f32 v11, vcc, v5, v7, v5
	v_mul_f32_e32 v12, v11, v10
	v_fma_f32 v13, -v9, v12, v11
	v_fmac_f32_e32 v12, v13, v10
	v_fma_f32 v9, -v9, v12, v11
	v_div_fmas_f32 v9, v9, v10, v12
	v_div_fixup_f32 v5, v9, v7, v5
.LBB21_134:
	s_or_b64 exec, exec, s[6:7]
	global_load_dword v7, v8, s[10:11]
	s_mov_b32 s0, 0x40a00000
                                        ; implicit-def: $vgpr8
	s_waitcnt vmcnt(0)
	v_cmp_ge_f32_e32 vcc, s0, v7
	s_and_saveexec_b64 s[0:1], vcc
	s_xor_b64 s[2:3], exec, s[0:1]
	s_cbranch_execz .LBB21_144
; %bb.135:
	v_cmp_neq_f32_e32 vcc, 0, v7
	v_mov_b32_e32 v8, 0xff800000
	s_and_saveexec_b64 s[4:5], vcc
	s_cbranch_execz .LBB21_143
; %bb.136:
	v_cmp_ngt_f32_e32 vcc, 0, v7
	v_mov_b32_e32 v8, 0x7fc00000
	s_and_saveexec_b64 s[6:7], vcc
	s_cbranch_execz .LBB21_142
; %bb.137:
	v_mul_f32_e32 v8, v7, v7
	s_mov_b32 s0, 0x3727c5ac
	v_mul_f32_e32 v10, 0, v8
	v_cmp_ngt_f32_e32 vcc, s0, v7
                                        ; implicit-def: $vgpr9
	s_and_saveexec_b64 s[0:1], vcc
	s_xor_b64 s[0:1], exec, s[0:1]
	s_cbranch_execz .LBB21_139
; %bb.138:
	v_add_f32_e32 v9, 0x43f9c815, v10
	v_fmaak_f32 v9, v8, v9, 0x4829b65a
	v_fmaak_f32 v9, v8, v9, 0x4c38c9a1
	;; [unrolled: 1-line block ×3, first 2 shown]
	s_mov_b32 s10, 0xcf8ee29d
	v_mul_f32_e32 v11, v8, v9
	s_mov_b32 s11, 0x53f5f59c
	v_pk_add_f32 v[12:13], v[10:11], s[10:11]
	s_mov_b32 s10, 0x53e3ba8e
	s_mov_b32 s11, 0x578d3514
	v_pk_fma_f32 v[12:13], v[8:9], v[12:13], s[10:11] op_sel_hi:[0,1,1]
	s_mov_b32 s10, 0xd762b0a7
	s_mov_b32 s11, 0x5ae20a0c
	v_pk_fma_f32 v[12:13], v[8:9], v[12:13], s[10:11] op_sel_hi:[0,1,1]
	;; [unrolled: 3-line block ×3, first 2 shown]
	s_mov_b32 s10, 0xc0b90fdc
	s_mov_b32 s11, 0xc1f3c525
	v_pk_add_f32 v[14:15], v[8:9], s[10:11] op_sel_hi:[0,1]
	v_mul_f32_e32 v9, v14, v15
	v_mul_f32_e32 v9, v9, v12
	v_div_scale_f32 v11, s[10:11], v13, v13, v9
	v_rcp_f32_e32 v12, v11
	s_nop 0
	v_fma_f32 v14, -v11, v12, 1.0
	v_fmac_f32_e32 v12, v14, v12
	v_div_scale_f32 v14, vcc, v9, v13, v9
	v_mul_f32_e32 v15, v14, v12
	v_fma_f32 v16, -v11, v15, v14
	v_fmac_f32_e32 v15, v16, v12
	v_fma_f32 v11, -v11, v15, v14
	v_div_fmas_f32 v11, v11, v12, v15
	v_div_fixup_f32 v9, v11, v13, v9
.LBB21_139:
	s_andn2_saveexec_b64 s[0:1], s[0:1]
; %bb.140:
	v_mov_b32_e32 v9, 1.0
	v_fmamk_f32 v9, v8, 0xbe800000, v9
; %bb.141:
	s_or_b64 exec, exec, s[0:1]
	v_add_f32_e32 v11, 0x4673a1bf, v10
	v_fmaak_f32 v11, v8, v11, 0xcb5fc0fa
	v_add_f32_e32 v10, 0x44822913, v10
	v_fmaak_f32 v11, v8, v11, 0x4fa1fbc8
	v_fmaak_f32 v10, v8, v10, 0x4918dbb5
	;; [unrolled: 1-line block ×12, first 2 shown]
	v_div_scale_f32 v11, s[0:1], v10, v10, v8
	v_rcp_f32_e32 v12, v11
	s_mov_b32 s0, 0x800000
	v_cmp_gt_f32_e64 s[0:1], s0, v7
	s_mov_b32 s10, 0x3f317217
	v_fma_f32 v13, -v11, v12, 1.0
	v_fmac_f32_e32 v12, v13, v12
	v_div_scale_f32 v13, vcc, v8, v10, v8
	v_mul_f32_e32 v14, v13, v12
	v_fma_f32 v15, -v11, v14, v13
	v_fmac_f32_e32 v14, v15, v12
	v_fma_f32 v11, -v11, v14, v13
	v_mov_b32_e32 v13, 0x4f800000
	v_cndmask_b32_e64 v13, 1.0, v13, s[0:1]
	v_mul_f32_e32 v7, v7, v13
	v_log_f32_e32 v7, v7
	v_div_fmas_f32 v11, v11, v12, v14
	v_div_fixup_f32 v8, v11, v10, v8
	v_mul_f32_e32 v10, 0x3f317217, v7
	v_fma_f32 v11, v7, s10, -v10
	v_fmamk_f32 v11, v7, 0x3377d1cf, v11
	s_mov_b32 s10, 0x7f800000
	v_add_f32_e32 v10, v10, v11
	v_cmp_lt_f32_e64 vcc, |v7|, s10
	s_nop 1
	v_cndmask_b32_e32 v7, v7, v10, vcc
	v_mov_b32_e32 v10, 0x41b17218
	v_cndmask_b32_e64 v10, 0, v10, s[0:1]
	v_sub_f32_e32 v7, v7, v10
	v_mul_f32_e32 v7, 0x3f22f983, v7
	v_fmac_f32_e32 v8, v7, v9
.LBB21_142:
	s_or_b64 exec, exec, s[6:7]
.LBB21_143:
	s_or_b64 exec, exec, s[4:5]
                                        ; implicit-def: $vgpr7
.LBB21_144:
	s_andn2_saveexec_b64 s[6:7], s[2:3]
	s_cbranch_execz .LBB21_154
; %bb.145:
	v_add_f32_e32 v8, 0xbf490fdb, v7
	v_and_b32_e32 v9, 0x7fffffff, v8
	s_brev_b32 s0, 18
	v_cmp_nlt_f32_e64 s[10:11], |v8|, s0
	v_lshrrev_b32_e32 v14, 23, v9
                                        ; implicit-def: $vgpr10
                                        ; implicit-def: $vgpr11
	s_and_saveexec_b64 s[0:1], s[10:11]
	s_xor_b64 s[12:13], exec, s[0:1]
	s_cbranch_execz .LBB21_147
; %bb.146:
	v_add_u32_e32 v10, 0xffffff88, v14
	v_not_b32_e32 v12, 63
	v_cmp_lt_u32_e32 vcc, 63, v10
	s_mov_b32 s4, 0xfe5163ab
	v_mov_b32_e32 v11, 0
	v_cndmask_b32_e32 v12, 0, v12, vcc
	v_add_u32_e32 v10, v12, v10
	v_not_b32_e32 v12, 31
	v_cmp_lt_u32_e64 s[0:1], 31, v10
	s_nop 1
	v_cndmask_b32_e64 v13, 0, v12, s[0:1]
	v_add_u32_e32 v10, v13, v10
	v_cmp_lt_u32_e64 s[2:3], 31, v10
	s_nop 1
	v_cndmask_b32_e64 v12, 0, v12, s[2:3]
	v_add_u32_e32 v15, v12, v10
	v_and_b32_e32 v10, 0x7fffff, v9
	v_or_b32_e32 v26, 0x800000, v10
	v_mad_u64_u32 v[12:13], s[4:5], v26, s4, 0
	v_mov_b32_e32 v10, v13
	s_mov_b32 s4, 0x3c439041
	v_mad_u64_u32 v[16:17], s[4:5], v26, s4, v[10:11]
	v_mov_b32_e32 v10, v17
	s_mov_b32 s4, 0xdb629599
	v_mad_u64_u32 v[18:19], s[4:5], v26, s4, v[10:11]
	v_mov_b32_e32 v10, v19
	s_mov_b32 s4, 0xf534ddc0
	v_mad_u64_u32 v[20:21], s[4:5], v26, s4, v[10:11]
	v_mov_b32_e32 v10, v21
	s_mov_b32 s4, 0xfc2757d1
	v_mad_u64_u32 v[22:23], s[4:5], v26, s4, v[10:11]
	v_mov_b32_e32 v10, v23
	s_mov_b32 s4, 0x4e441529
	v_mad_u64_u32 v[24:25], s[4:5], v26, s4, v[10:11]
	v_mov_b32_e32 v10, v25
	s_mov_b32 s4, 0xa2f9836e
	v_mad_u64_u32 v[10:11], s[4:5], v26, s4, v[10:11]
	v_cndmask_b32_e32 v13, v24, v20, vcc
	v_cndmask_b32_e32 v10, v10, v22, vcc
	;; [unrolled: 1-line block ×3, first 2 shown]
	v_cndmask_b32_e64 v17, v10, v13, s[0:1]
	v_cndmask_b32_e64 v10, v11, v10, s[0:1]
	v_cndmask_b32_e32 v11, v22, v18, vcc
	v_cndmask_b32_e64 v13, v13, v11, s[0:1]
	v_sub_u32_e32 v19, 32, v15
	v_cmp_eq_u32_e64 s[4:5], 0, v15
	v_cndmask_b32_e32 v15, v20, v16, vcc
	v_cndmask_b32_e64 v10, v10, v17, s[2:3]
	v_cndmask_b32_e64 v17, v17, v13, s[2:3]
	;; [unrolled: 1-line block ×3, first 2 shown]
	v_alignbit_b32 v21, v10, v17, v19
	v_cndmask_b32_e64 v13, v13, v11, s[2:3]
	v_cndmask_b32_e64 v10, v21, v10, s[4:5]
	v_alignbit_b32 v16, v17, v13, v19
	v_cndmask_b32_e64 v16, v16, v17, s[4:5]
	v_bfe_u32 v21, v10, 29, 1
	v_cndmask_b32_e32 v12, v18, v12, vcc
	v_alignbit_b32 v17, v10, v16, 30
	v_sub_u32_e32 v22, 0, v21
	v_cndmask_b32_e64 v12, v15, v12, s[0:1]
	v_xor_b32_e32 v23, v17, v22
	v_cndmask_b32_e64 v11, v11, v12, s[2:3]
	v_alignbit_b32 v12, v13, v11, v19
	v_ffbh_u32_e32 v15, v23
	v_cndmask_b32_e64 v12, v12, v13, s[4:5]
	v_add_u32_e32 v15, 1, v15
	v_cmp_ne_u32_e32 vcc, v17, v22
	v_alignbit_b32 v13, v16, v12, 30
	v_alignbit_b32 v11, v12, v11, 30
	v_cndmask_b32_e32 v15, 33, v15, vcc
	v_xor_b32_e32 v13, v13, v22
	v_sub_u32_e32 v16, 32, v15
	v_xor_b32_e32 v11, v11, v22
	v_alignbit_b32 v17, v23, v13, v16
	v_alignbit_b32 v11, v13, v11, v16
	;; [unrolled: 1-line block ×3, first 2 shown]
	v_ffbh_u32_e32 v13, v12
	v_min_u32_e32 v13, 32, v13
	v_lshrrev_b32_e32 v20, 29, v10
	v_sub_u32_e32 v16, 31, v13
	v_alignbit_b32 v11, v12, v11, v16
	v_lshlrev_b32_e32 v12, 31, v20
	v_or_b32_e32 v16, 0x33800000, v12
	v_add_lshl_u32 v13, v13, v15, 23
	v_lshrrev_b32_e32 v11, 9, v11
	v_sub_u32_e32 v13, v16, v13
	v_or_b32_e32 v11, v13, v11
	v_alignbit_b32 v13, v15, v17, 9
	v_or_b32_e32 v12, v13, v12
	v_xor_b32_e32 v12, 1.0, v12
	s_mov_b32 s0, 0x3fc90fda
	v_mul_f32_e32 v13, 0x3fc90fda, v12
	v_fma_f32 v15, v12, s0, -v13
	v_fmamk_f32 v12, v12, 0x33a22168, v15
	v_fmac_f32_e32 v12, 0x3fc90fda, v11
	v_lshrrev_b32_e32 v10, 30, v10
	v_add_f32_e32 v11, v13, v12
	v_add_u32_e32 v10, v21, v10
	s_andn2_saveexec_b64 s[0:1], s[12:13]
	s_branch .LBB21_148
.LBB21_147:
	s_andn2_saveexec_b64 s[0:1], s[12:13]
.LBB21_148:
	s_mov_b32 s2, 0x3f22f983
	v_mul_f32_e64 v10, |v8|, s2
	v_rndne_f32_e32 v11, v10
	s_mov_b32 s2, 0xbfc90fda
	v_cvt_i32_f32_e32 v10, v11
	v_fma_f32 v12, v11, s2, |v8|
	v_fmamk_f32 v12, v11, 0xb3a22168, v12
	v_fmamk_f32 v11, v11, 0xa7c234c4, v12
; %bb.149:
	s_or_b64 exec, exec, s[0:1]
                                        ; implicit-def: $vgpr12
                                        ; implicit-def: $vgpr13
	s_and_saveexec_b64 s[0:1], s[10:11]
	s_xor_b64 s[10:11], exec, s[0:1]
	s_cbranch_execz .LBB21_151
; %bb.150:
	v_add_u32_e32 v12, 0xffffff88, v14
	v_not_b32_e32 v14, 63
	v_cmp_lt_u32_e32 vcc, 63, v12
	s_mov_b32 s4, 0xfe5163ab
	v_mov_b32_e32 v13, 0
	v_cndmask_b32_e32 v14, 0, v14, vcc
	v_add_u32_e32 v12, v14, v12
	v_not_b32_e32 v14, 31
	v_cmp_lt_u32_e64 s[0:1], 31, v12
	s_nop 1
	v_cndmask_b32_e64 v15, 0, v14, s[0:1]
	v_add_u32_e32 v12, v15, v12
	v_cmp_lt_u32_e64 s[2:3], 31, v12
	s_nop 1
	v_cndmask_b32_e64 v14, 0, v14, s[2:3]
	v_add_u32_e32 v26, v14, v12
	v_and_b32_e32 v12, 0x7fffff, v9
	v_or_b32_e32 v27, 0x800000, v12
	v_mad_u64_u32 v[14:15], s[4:5], v27, s4, 0
	v_mov_b32_e32 v12, v15
	s_mov_b32 s4, 0x3c439041
	v_mad_u64_u32 v[16:17], s[4:5], v27, s4, v[12:13]
	v_mov_b32_e32 v12, v17
	s_mov_b32 s4, 0xdb629599
	;; [unrolled: 3-line block ×6, first 2 shown]
	v_mad_u64_u32 v[12:13], s[4:5], v27, s4, v[12:13]
	v_cndmask_b32_e32 v15, v24, v20, vcc
	v_cndmask_b32_e32 v12, v12, v22, vcc
	;; [unrolled: 1-line block ×3, first 2 shown]
	v_cndmask_b32_e64 v17, v12, v15, s[0:1]
	v_cndmask_b32_e64 v12, v13, v12, s[0:1]
	v_cndmask_b32_e32 v13, v22, v18, vcc
	v_cndmask_b32_e64 v15, v15, v13, s[0:1]
	v_cndmask_b32_e32 v16, v20, v16, vcc
	v_cndmask_b32_e64 v12, v12, v17, s[2:3]
	v_cndmask_b32_e64 v17, v17, v15, s[2:3]
	v_sub_u32_e32 v19, 32, v26
	v_cndmask_b32_e64 v13, v13, v16, s[0:1]
	v_alignbit_b32 v21, v12, v17, v19
	v_cmp_eq_u32_e64 s[4:5], 0, v26
	v_cndmask_b32_e64 v15, v15, v13, s[2:3]
	v_alignbit_b32 v20, v17, v15, v19
	v_cndmask_b32_e64 v12, v21, v12, s[4:5]
	v_cndmask_b32_e64 v17, v20, v17, s[4:5]
	v_bfe_u32 v22, v12, 29, 1
	v_cndmask_b32_e32 v14, v18, v14, vcc
	v_alignbit_b32 v20, v12, v17, 30
	v_sub_u32_e32 v23, 0, v22
	v_cndmask_b32_e64 v14, v16, v14, s[0:1]
	v_xor_b32_e32 v24, v20, v23
	v_cndmask_b32_e64 v13, v13, v14, s[2:3]
	v_alignbit_b32 v14, v15, v13, v19
	v_ffbh_u32_e32 v16, v24
	v_cndmask_b32_e64 v14, v14, v15, s[4:5]
	v_add_u32_e32 v16, 1, v16
	v_cmp_ne_u32_e32 vcc, v20, v23
	v_alignbit_b32 v15, v17, v14, 30
	v_alignbit_b32 v13, v14, v13, 30
	v_cndmask_b32_e32 v16, 33, v16, vcc
	v_xor_b32_e32 v15, v15, v23
	v_sub_u32_e32 v17, 32, v16
	v_xor_b32_e32 v13, v13, v23
	v_alignbit_b32 v18, v24, v15, v17
	v_alignbit_b32 v13, v15, v13, v17
	;; [unrolled: 1-line block ×3, first 2 shown]
	v_ffbh_u32_e32 v15, v14
	v_min_u32_e32 v15, 32, v15
	v_lshrrev_b32_e32 v21, 29, v12
	v_sub_u32_e32 v17, 31, v15
	v_alignbit_b32 v13, v14, v13, v17
	v_lshlrev_b32_e32 v14, 31, v21
	v_or_b32_e32 v17, 0x33800000, v14
	v_add_lshl_u32 v15, v15, v16, 23
	v_lshrrev_b32_e32 v13, 9, v13
	v_sub_u32_e32 v15, v17, v15
	v_or_b32_e32 v13, v15, v13
	v_alignbit_b32 v15, v16, v18, 9
	v_or_b32_e32 v14, v15, v14
	v_xor_b32_e32 v14, 1.0, v14
	s_mov_b32 s0, 0x3fc90fda
	v_mul_f32_e32 v15, 0x3fc90fda, v14
	v_fma_f32 v16, v14, s0, -v15
	v_fmamk_f32 v14, v14, 0x33a22168, v16
	v_fmac_f32_e32 v14, 0x3fc90fda, v13
	v_lshrrev_b32_e32 v12, 30, v12
	v_add_f32_e32 v13, v15, v14
	v_add_u32_e32 v12, v22, v12
	s_andn2_saveexec_b64 s[0:1], s[10:11]
	s_cbranch_execnz .LBB21_152
	s_branch .LBB21_153
.LBB21_151:
	s_andn2_saveexec_b64 s[0:1], s[10:11]
.LBB21_152:
	s_mov_b32 s2, 0x3f22f983
	v_mul_f32_e64 v12, |v8|, s2
	v_rndne_f32_e32 v13, v12
	s_mov_b32 s2, 0xbfc90fda
	v_cvt_i32_f32_e32 v12, v13
	v_fma_f32 v14, v13, s2, |v8|
	v_fmamk_f32 v14, v13, 0xb3a22168, v14
	v_fmamk_f32 v13, v13, 0xa7c234c4, v14
.LBB21_153:
	s_or_b64 exec, exec, s[0:1]
	v_mul_f32_e32 v14, v7, v7
	s_mov_b32 s2, 0x41c80000
	v_div_scale_f32 v15, s[0:1], v14, v14, s2
	v_rcp_f32_e32 v16, v15
	v_xor_b32_e32 v9, v9, v8
	s_mov_b32 s4, 0x40a00000
	v_mov_b32_e32 v23, 0xbf000004
	v_fma_f32 v17, -v15, v16, 1.0
	v_fmac_f32_e32 v16, v17, v16
	v_div_scale_f32 v17, vcc, s2, v14, s2
	v_mul_f32_e32 v18, v17, v16
	v_fma_f32 v19, -v15, v18, v17
	v_fmac_f32_e32 v18, v19, v16
	v_fma_f32 v15, -v15, v18, v17
	v_div_fmas_f32 v15, v15, v16, v18
	v_div_fixup_f32 v14, v15, v14, s2
	v_mov_b32_e32 v15, 0x3a50e985
	v_mov_b32_e32 v16, 0x3a725406
	v_fmac_f32_e32 v15, 0, v14
	v_fmac_f32_e32 v16, 0, v14
	v_fmaak_f32 v15, v14, v15, 0x3da9a586
	v_fmaak_f32 v16, v14, v16, 0x3daf5e2d
	;; [unrolled: 1-line block ×8, first 2 shown]
	v_mov_b32_e32 v17, 0xbc3a3a12
	v_fmaak_f32 v15, v14, v15, 0x40a9b425
	v_fmaak_f32 v16, v14, v16, 0x40a9cb2f
	v_fmac_f32_e32 v17, 0, v14
	v_mov_b32_e32 v18, 0x4280a2ba
	v_fma_f32 v16, v14, v16, 1.0
	v_fmaak_f32 v17, v14, v17, 0xbfa429da
	v_fmac_f32_e32 v18, 0, v14
	v_fma_f32 v15, v14, v15, 1.0
	v_fmaak_f32 v17, v14, v17, 0xc19c6e80
	v_fmaak_f32 v18, v14, v18, 0x44561b86
	v_div_scale_f32 v19, s[0:1], v16, v16, v15
	v_fmaak_f32 v17, v14, v17, 0xc2ba697b
	v_fmaak_f32 v18, v14, v18, 0x4572a66e
	v_rcp_f32_e32 v20, v19
	v_fmaak_f32 v17, v14, v17, 0xc331ae61
	v_fmaak_f32 v18, v14, v18, 0x45e243be
	;; [unrolled: 1-line block ×8, first 2 shown]
	v_fma_f32 v18, -v19, v20, 1.0
	v_fmac_f32_e32 v20, v18, v20
	v_div_scale_f32 v18, vcc, v15, v16, v15
	v_mul_f32_e32 v21, v18, v20
	v_fma_f32 v22, -v19, v21, v18
	v_fmac_f32_e32 v21, v22, v20
	v_fma_f32 v18, -v19, v21, v18
	v_div_fmas_f32 v18, v18, v20, v21
	v_div_fixup_f32 v15, v18, v16, v15
	v_mul_f32_e32 v16, v11, v11
	v_mov_b32_e32 v18, 0x3c0881c4
	v_fmamk_f32 v19, v16, 0xb94c1982, v18
	v_fmaak_f32 v19, v16, v19, 0xbe2aaa9d
	v_mul_f32_e32 v19, v16, v19
	v_fmac_f32_e32 v11, v11, v19
	v_mov_b32_e32 v19, 0xbab64f3b
	v_fmamk_f32 v21, v16, 0x37d75334, v19
	v_fmaak_f32 v21, v16, v21, 0x3d2aabf7
	v_fmaak_f32 v21, v16, v21, 0xbf000004
	v_fma_f32 v16, v16, v21, 1.0
	v_and_b32_e32 v21, 1, v10
	v_lshlrev_b32_e32 v10, 30, v10
	v_cmp_eq_u32_e32 vcc, 0, v21
	v_and_b32_e32 v10, 0x80000000, v10
	v_xor_b32_e32 v9, v9, v10
	v_cndmask_b32_e32 v11, v16, v11, vcc
	v_div_scale_f32 v10, s[0:1], v7, v7, s4
	v_xor_b32_e32 v9, v9, v11
	v_rcp_f32_e32 v11, v10
	s_movk_i32 s2, 0x1f8
	v_mov_b32_e32 v16, 0x7fc00000
	v_cmp_class_f32_e64 s[0:1], v8, s2
	v_mov_b32_e32 v20, 0xbe2aaa9d
	v_mov_b32_e32 v22, 0x3d2aabf7
	v_cndmask_b32_e64 v8, v16, v9, s[0:1]
	v_fma_f32 v9, -v10, v11, 1.0
	v_fmac_f32_e32 v11, v9, v11
	v_div_scale_f32 v9, vcc, s4, v7, s4
	v_mul_f32_e32 v21, v9, v11
	v_fma_f32 v24, -v10, v21, v9
	v_fmac_f32_e32 v21, v24, v11
	v_fma_f32 v9, -v10, v21, v9
	v_div_scale_f32 v10, s[2:3], v14, v14, v17
	v_rcp_f32_e32 v24, v10
	v_div_fmas_f32 v9, v9, v11, v21
	v_div_fixup_f32 v9, v9, v7, s4
	v_fma_f32 v11, -v10, v24, 1.0
	v_fmac_f32_e32 v24, v11, v24
	v_div_scale_f32 v11, vcc, v17, v14, v17
	v_mul_f32_e32 v21, v11, v24
	v_fma_f32 v25, -v10, v21, v11
	v_fmac_f32_e32 v21, v25, v24
	v_fma_f32 v10, -v10, v21, v11
	v_div_fmas_f32 v10, v10, v24, v21
	v_div_fixup_f32 v10, v10, v14, v17
	v_mul_f32_e32 v9, v9, v10
	v_mul_f32_e32 v10, v13, v13
	v_fmac_f32_e32 v18, 0xb94c1982, v10
	v_fmac_f32_e32 v20, v10, v18
	;; [unrolled: 1-line block ×3, first 2 shown]
	v_mul_f32_e32 v11, v10, v20
	v_fmac_f32_e32 v22, v10, v19
	v_fmac_f32_e32 v13, v13, v11
	v_fmac_f32_e32 v23, v10, v22
	v_and_b32_e32 v11, 1, v12
	v_fma_f32 v10, v10, v23, 1.0
	v_cmp_eq_u32_e32 vcc, 0, v11
	v_lshlrev_b32_e32 v11, 30, v12
	v_and_b32_e32 v11, 0x80000000, v11
	v_cndmask_b32_e64 v10, -v13, v10, vcc
	v_xor_b32_e32 v10, v11, v10
	v_cndmask_b32_e64 v10, v16, v10, s[0:1]
	s_mov_b32 s0, 0xf800000
	v_mul_f32_e32 v11, 0x4f800000, v7
	v_cmp_gt_f32_e32 vcc, s0, v7
	v_mul_f32_e32 v9, v9, v10
	v_fmac_f32_e32 v9, v15, v8
	v_cndmask_b32_e32 v7, v7, v11, vcc
	v_sqrt_f32_e32 v11, v7
	v_mul_f32_e32 v8, 0x3f4c422a, v9
	v_add_u32_e32 v9, -1, v11
	v_fma_f32 v10, -v9, v11, v7
	v_cmp_ge_f32_e64 s[0:1], 0, v10
	v_add_u32_e32 v10, 1, v11
	s_nop 0
	v_cndmask_b32_e64 v9, v11, v9, s[0:1]
	v_fma_f32 v11, -v10, v11, v7
	v_cmp_lt_f32_e64 s[0:1], 0, v11
	s_nop 1
	v_cndmask_b32_e64 v9, v9, v10, s[0:1]
	v_mul_f32_e32 v10, 0x37800000, v9
	v_cndmask_b32_e32 v9, v9, v10, vcc
	v_mov_b32_e32 v10, 0x260
	v_cmp_class_f32_e32 vcc, v7, v10
	s_nop 1
	v_cndmask_b32_e32 v7, v9, v7, vcc
	v_div_scale_f32 v9, s[0:1], v7, v7, v8
	v_rcp_f32_e32 v10, v9
	s_nop 0
	v_fma_f32 v11, -v9, v10, 1.0
	v_fmac_f32_e32 v10, v11, v10
	v_div_scale_f32 v11, vcc, v8, v7, v8
	v_mul_f32_e32 v12, v11, v10
	v_fma_f32 v13, -v9, v12, v11
	v_fmac_f32_e32 v12, v13, v10
	v_fma_f32 v9, -v9, v12, v11
	v_div_fmas_f32 v9, v9, v10, v12
	v_div_fixup_f32 v8, v9, v7, v8
.LBB21_154:
	s_or_b64 exec, exec, s[6:7]
	global_store_dword v0, v1, s[8:9]
	global_store_dword v2, v3, s[8:9]
	global_store_dword v4, v5, s[8:9]
	global_store_dword v6, v8, s[8:9]
	s_endpgm
.LBB21_155:
	s_mov_b32 s3, s2
	v_mov_b64_e32 v[0:1], s[2:3]
                                        ; implicit-def: $vgpr2
	v_mov_b32_e32 v3, v6
.LBB21_156:
	s_and_b32 s6, s59, 3
	s_cmp_eq_u32 s6, 0
	s_cbranch_scc1 .LBB21_160
; %bb.157:
	s_lshl_b32 s3, s2, 3
	s_add_u32 s3, s3, s0
	s_addc_u32 s5, s1, 0
	s_add_u32 s4, s3, 0xc4
	s_addc_u32 s5, s5, 0
	s_mul_i32 s2, s2, 12
	s_add_u32 s2, s0, s2
	s_addc_u32 s3, s1, 0
.LBB21_158:                             ; =>This Inner Loop Header: Depth=1
	s_load_dwordx2 s[8:9], s[2:3], 0x4
	s_load_dword s7, s[2:3], 0xc
	s_load_dwordx2 s[10:11], s[4:5], 0x0
	v_mov_b32_e32 v2, v1
	s_add_u32 s2, s2, 12
	s_waitcnt lgkmcnt(0)
	v_mul_hi_u32 v1, s9, v3
	v_add_u32_e32 v1, v3, v1
	v_lshrrev_b32_e32 v1, s7, v1
	s_addc_u32 s3, s3, 0
	v_mul_lo_u32 v4, v1, s8
	s_add_u32 s4, s4, 8
	v_sub_u32_e32 v7, v3, v4
	v_mov_b32_e32 v3, v1
	s_addc_u32 s5, s5, 0
	s_add_i32 s6, s6, -1
	v_mad_u64_u32 v[4:5], s[8:9], v7, s11, v[2:3]
	v_mad_u64_u32 v[0:1], s[8:9], v7, s10, v[0:1]
	s_cmp_lg_u32 s6, 0
	v_mov_b32_e32 v1, v4
	s_cbranch_scc1 .LBB21_158
; %bb.159:
	v_mov_b32_e32 v2, v1
.LBB21_160:
	s_cbranch_execnz .LBB21_163
.LBB21_161:
	s_waitcnt lgkmcnt(0)
	v_mul_hi_u32 v0, s29, v6
	v_add_u32_e32 v0, v6, v0
	v_lshrrev_b32_e32 v1, s30, v0
	v_mul_lo_u32 v0, v1, s28
	v_sub_u32_e32 v0, v6, v0
	v_mul_lo_u32 v2, v0, s25
	s_andn2_b64 vcc, exec, s[44:45]
	v_mul_lo_u32 v0, v0, s24
	s_cbranch_vccnz .LBB21_163
; %bb.162:
	v_mul_hi_u32 v3, s42, v1
	v_add_u32_e32 v3, v1, v3
	v_lshrrev_b32_e32 v3, s43, v3
	v_mul_lo_u32 v3, v3, s31
	v_sub_u32_e32 v3, v1, v3
	v_mad_u64_u32 v[0:1], s[2:3], v3, s26, v[0:1]
	v_mad_u64_u32 v[2:3], s[2:3], v3, s27, v[2:3]
.LBB21_163:
	s_waitcnt lgkmcnt(0)
	global_load_dword v1, v2, s[22:23]
	s_mov_b32 s2, 0x40a00000
                                        ; implicit-def: $vgpr2
	s_waitcnt vmcnt(0)
	v_cmp_ge_f32_e32 vcc, s2, v1
	s_and_saveexec_b64 s[2:3], vcc
	s_xor_b64 s[4:5], exec, s[2:3]
	s_cbranch_execz .LBB21_173
; %bb.164:
	v_cmp_neq_f32_e32 vcc, 0, v1
	v_mov_b32_e32 v2, 0xff800000
	s_and_saveexec_b64 s[6:7], vcc
	s_cbranch_execz .LBB21_172
; %bb.165:
	v_cmp_ngt_f32_e32 vcc, 0, v1
	v_mov_b32_e32 v2, 0x7fc00000
	s_and_saveexec_b64 s[8:9], vcc
	s_cbranch_execz .LBB21_171
; %bb.166:
	v_mul_f32_e32 v2, v1, v1
	s_mov_b32 s2, 0x3727c5ac
	v_mul_f32_e32 v4, 0, v2
	v_cmp_ngt_f32_e32 vcc, s2, v1
                                        ; implicit-def: $vgpr3
	s_and_saveexec_b64 s[2:3], vcc
	s_xor_b64 s[2:3], exec, s[2:3]
	s_cbranch_execz .LBB21_168
; %bb.167:
	v_add_f32_e32 v3, 0x43f9c815, v4
	v_fmaak_f32 v3, v2, v3, 0x4829b65a
	v_fmaak_f32 v3, v2, v3, 0x4c38c9a1
	;; [unrolled: 1-line block ×3, first 2 shown]
	s_mov_b32 s10, 0xcf8ee29d
	v_mul_f32_e32 v5, v2, v3
	s_mov_b32 s11, 0x53f5f59c
	v_pk_add_f32 v[8:9], v[4:5], s[10:11]
	s_mov_b32 s10, 0x53e3ba8e
	s_mov_b32 s11, 0x578d3514
	v_pk_fma_f32 v[8:9], v[2:3], v[8:9], s[10:11] op_sel_hi:[0,1,1]
	s_mov_b32 s10, 0xd762b0a7
	s_mov_b32 s11, 0x5ae20a0c
	v_pk_fma_f32 v[8:9], v[2:3], v[8:9], s[10:11] op_sel_hi:[0,1,1]
	;; [unrolled: 3-line block ×3, first 2 shown]
	s_mov_b32 s10, 0xc0b90fdc
	s_mov_b32 s11, 0xc1f3c525
	v_pk_add_f32 v[10:11], v[2:3], s[10:11] op_sel_hi:[0,1]
	v_mul_f32_e32 v3, v10, v11
	v_mul_f32_e32 v3, v3, v8
	v_div_scale_f32 v5, s[10:11], v9, v9, v3
	v_rcp_f32_e32 v7, v5
	s_nop 0
	v_fma_f32 v8, -v5, v7, 1.0
	v_fmac_f32_e32 v7, v8, v7
	v_div_scale_f32 v8, vcc, v3, v9, v3
	v_mul_f32_e32 v10, v8, v7
	v_fma_f32 v11, -v5, v10, v8
	v_fmac_f32_e32 v10, v11, v7
	v_fma_f32 v5, -v5, v10, v8
	v_div_fmas_f32 v5, v5, v7, v10
	v_div_fixup_f32 v3, v5, v9, v3
.LBB21_168:
	s_andn2_saveexec_b64 s[2:3], s[2:3]
; %bb.169:
	v_mov_b32_e32 v3, 1.0
	v_fmamk_f32 v3, v2, 0xbe800000, v3
; %bb.170:
	s_or_b64 exec, exec, s[2:3]
	v_add_f32_e32 v5, 0x4673a1bf, v4
	v_fmaak_f32 v5, v2, v5, 0xcb5fc0fa
	v_add_f32_e32 v4, 0x44822913, v4
	v_fmaak_f32 v5, v2, v5, 0x4fa1fbc8
	v_fmaak_f32 v4, v2, v4, 0x4918dbb5
	;; [unrolled: 1-line block ×12, first 2 shown]
	v_div_scale_f32 v5, s[2:3], v4, v4, v2
	v_rcp_f32_e32 v7, v5
	s_mov_b32 s2, 0x800000
	v_cmp_gt_f32_e64 s[2:3], s2, v1
	s_mov_b32 s10, 0x3f317217
	v_fma_f32 v8, -v5, v7, 1.0
	v_fmac_f32_e32 v7, v8, v7
	v_div_scale_f32 v8, vcc, v2, v4, v2
	v_mul_f32_e32 v9, v8, v7
	v_fma_f32 v10, -v5, v9, v8
	v_fmac_f32_e32 v9, v10, v7
	v_fma_f32 v5, -v5, v9, v8
	v_mov_b32_e32 v8, 0x4f800000
	v_cndmask_b32_e64 v8, 1.0, v8, s[2:3]
	v_mul_f32_e32 v1, v1, v8
	v_log_f32_e32 v1, v1
	v_div_fmas_f32 v5, v5, v7, v9
	v_div_fixup_f32 v2, v5, v4, v2
	v_mul_f32_e32 v4, 0x3f317217, v1
	v_fma_f32 v5, v1, s10, -v4
	v_fmamk_f32 v5, v1, 0x3377d1cf, v5
	s_mov_b32 s10, 0x7f800000
	v_add_f32_e32 v4, v4, v5
	v_cmp_lt_f32_e64 vcc, |v1|, s10
	s_nop 1
	v_cndmask_b32_e32 v1, v1, v4, vcc
	v_mov_b32_e32 v4, 0x41b17218
	v_cndmask_b32_e64 v4, 0, v4, s[2:3]
	v_sub_f32_e32 v1, v1, v4
	v_mul_f32_e32 v1, 0x3f22f983, v1
	v_fmac_f32_e32 v2, v1, v3
.LBB21_171:
	s_or_b64 exec, exec, s[8:9]
.LBB21_172:
	s_or_b64 exec, exec, s[6:7]
                                        ; implicit-def: $vgpr1
.LBB21_173:
	s_andn2_saveexec_b64 s[8:9], s[4:5]
	s_cbranch_execz .LBB21_183
; %bb.174:
	v_add_f32_e32 v2, 0xbf490fdb, v1
	s_brev_b32 s2, 18
	v_and_b32_e32 v3, 0x7fffffff, v2
	v_cmp_nlt_f32_e64 s[10:11], |v2|, s2
                                        ; implicit-def: $vgpr4
                                        ; implicit-def: $vgpr5
	s_and_saveexec_b64 s[2:3], s[10:11]
	s_xor_b64 s[12:13], exec, s[2:3]
	s_cbranch_execz .LBB21_176
; %bb.175:
	v_lshrrev_b32_e32 v4, 23, v3
	v_add_u32_e32 v4, 0xffffff88, v4
	v_not_b32_e32 v7, 63
	v_cmp_lt_u32_e32 vcc, 63, v4
	s_mov_b32 s6, 0xfe5163ab
	v_mov_b32_e32 v5, 0
	v_cndmask_b32_e32 v7, 0, v7, vcc
	v_add_u32_e32 v4, v7, v4
	v_not_b32_e32 v7, 31
	v_cmp_lt_u32_e64 s[2:3], 31, v4
	s_nop 1
	v_cndmask_b32_e64 v8, 0, v7, s[2:3]
	v_add_u32_e32 v4, v8, v4
	v_cmp_lt_u32_e64 s[4:5], 31, v4
	s_nop 1
	v_cndmask_b32_e64 v7, 0, v7, s[4:5]
	v_add_u32_e32 v7, v7, v4
	v_and_b32_e32 v4, 0x7fffff, v3
	v_or_b32_e32 v20, 0x800000, v4
	v_mad_u64_u32 v[8:9], s[6:7], v20, s6, 0
	v_mov_b32_e32 v4, v9
	s_mov_b32 s6, 0x3c439041
	v_mad_u64_u32 v[10:11], s[6:7], v20, s6, v[4:5]
	v_mov_b32_e32 v4, v11
	s_mov_b32 s6, 0xdb629599
	;; [unrolled: 3-line block ×6, first 2 shown]
	v_mad_u64_u32 v[4:5], s[6:7], v20, s6, v[4:5]
	v_cndmask_b32_e32 v9, v18, v14, vcc
	v_cndmask_b32_e32 v4, v4, v16, vcc
	;; [unrolled: 1-line block ×3, first 2 shown]
	v_cndmask_b32_e64 v11, v4, v9, s[2:3]
	v_cndmask_b32_e64 v4, v5, v4, s[2:3]
	v_cndmask_b32_e32 v5, v16, v12, vcc
	v_cndmask_b32_e64 v9, v9, v5, s[2:3]
	v_sub_u32_e32 v13, 32, v7
	v_cmp_eq_u32_e64 s[6:7], 0, v7
	v_cndmask_b32_e32 v7, v14, v10, vcc
	v_cndmask_b32_e64 v4, v4, v11, s[4:5]
	v_cndmask_b32_e64 v11, v11, v9, s[4:5]
	;; [unrolled: 1-line block ×3, first 2 shown]
	v_alignbit_b32 v15, v4, v11, v13
	v_cndmask_b32_e64 v9, v9, v5, s[4:5]
	v_cndmask_b32_e64 v4, v15, v4, s[6:7]
	v_alignbit_b32 v10, v11, v9, v13
	v_cndmask_b32_e32 v8, v12, v8, vcc
	v_cndmask_b32_e64 v10, v10, v11, s[6:7]
	v_bfe_u32 v15, v4, 29, 1
	v_cndmask_b32_e64 v7, v7, v8, s[2:3]
	v_alignbit_b32 v11, v4, v10, 30
	v_sub_u32_e32 v16, 0, v15
	v_cndmask_b32_e64 v5, v5, v7, s[4:5]
	v_xor_b32_e32 v17, v11, v16
	v_alignbit_b32 v7, v9, v5, v13
	v_cndmask_b32_e64 v7, v7, v9, s[6:7]
	v_ffbh_u32_e32 v9, v17
	v_add_u32_e32 v9, 1, v9
	v_cmp_ne_u32_e32 vcc, v11, v16
	v_alignbit_b32 v8, v10, v7, 30
	v_alignbit_b32 v5, v7, v5, 30
	v_cndmask_b32_e32 v9, 33, v9, vcc
	v_xor_b32_e32 v8, v8, v16
	v_sub_u32_e32 v10, 32, v9
	v_xor_b32_e32 v5, v5, v16
	v_alignbit_b32 v11, v17, v8, v10
	v_alignbit_b32 v5, v8, v5, v10
	;; [unrolled: 1-line block ×3, first 2 shown]
	v_ffbh_u32_e32 v8, v7
	v_min_u32_e32 v8, 32, v8
	v_lshrrev_b32_e32 v14, 29, v4
	v_sub_u32_e32 v10, 31, v8
	v_alignbit_b32 v5, v7, v5, v10
	v_lshlrev_b32_e32 v7, 31, v14
	v_or_b32_e32 v10, 0x33800000, v7
	v_add_lshl_u32 v8, v8, v9, 23
	v_lshrrev_b32_e32 v5, 9, v5
	v_sub_u32_e32 v8, v10, v8
	v_or_b32_e32 v5, v8, v5
	v_alignbit_b32 v8, v9, v11, 9
	v_or_b32_e32 v7, v8, v7
	v_xor_b32_e32 v7, 1.0, v7
	s_mov_b32 s2, 0x3fc90fda
	v_mul_f32_e32 v8, 0x3fc90fda, v7
	v_fma_f32 v9, v7, s2, -v8
	v_fmamk_f32 v7, v7, 0x33a22168, v9
	v_fmac_f32_e32 v7, 0x3fc90fda, v5
	v_lshrrev_b32_e32 v4, 30, v4
	v_add_f32_e32 v5, v8, v7
	v_add_u32_e32 v4, v15, v4
	s_andn2_saveexec_b64 s[2:3], s[12:13]
	s_branch .LBB21_177
.LBB21_176:
	s_andn2_saveexec_b64 s[2:3], s[12:13]
.LBB21_177:
	s_mov_b32 s4, 0x3f22f983
	v_mul_f32_e64 v4, |v2|, s4
	v_rndne_f32_e32 v5, v4
	s_mov_b32 s4, 0xbfc90fda
	v_cvt_i32_f32_e32 v4, v5
	v_fma_f32 v7, v5, s4, |v2|
	v_fmamk_f32 v7, v5, 0xb3a22168, v7
	v_fmamk_f32 v5, v5, 0xa7c234c4, v7
; %bb.178:
	s_or_b64 exec, exec, s[2:3]
                                        ; implicit-def: $vgpr7
                                        ; implicit-def: $vgpr8
	s_and_saveexec_b64 s[2:3], s[10:11]
	s_xor_b64 s[10:11], exec, s[2:3]
	s_cbranch_execz .LBB21_180
; %bb.179:
	v_lshrrev_b32_e32 v7, 23, v3
	v_add_u32_e32 v7, 0xffffff88, v7
	v_not_b32_e32 v8, 63
	v_cmp_lt_u32_e32 vcc, 63, v7
	s_mov_b32 s6, 0xfe5163ab
	v_mov_b32_e32 v9, 0
	v_cndmask_b32_e32 v8, 0, v8, vcc
	v_add_u32_e32 v7, v8, v7
	v_not_b32_e32 v8, 31
	v_cmp_lt_u32_e64 s[2:3], 31, v7
	s_nop 1
	v_cndmask_b32_e64 v10, 0, v8, s[2:3]
	v_add_u32_e32 v7, v10, v7
	v_cmp_lt_u32_e64 s[4:5], 31, v7
	s_nop 1
	v_cndmask_b32_e64 v8, 0, v8, s[4:5]
	v_add_u32_e32 v7, v8, v7
	v_and_b32_e32 v8, 0x7fffff, v3
	v_or_b32_e32 v22, 0x800000, v8
	v_mad_u64_u32 v[10:11], s[6:7], v22, s6, 0
	v_mov_b32_e32 v8, v11
	s_mov_b32 s6, 0x3c439041
	v_mad_u64_u32 v[12:13], s[6:7], v22, s6, v[8:9]
	v_mov_b32_e32 v8, v13
	s_mov_b32 s6, 0xdb629599
	;; [unrolled: 3-line block ×6, first 2 shown]
	v_mad_u64_u32 v[8:9], s[6:7], v22, s6, v[8:9]
	v_cndmask_b32_e32 v11, v20, v16, vcc
	v_cndmask_b32_e32 v8, v8, v18, vcc
	;; [unrolled: 1-line block ×3, first 2 shown]
	v_cndmask_b32_e64 v13, v8, v11, s[2:3]
	v_cndmask_b32_e64 v8, v9, v8, s[2:3]
	v_cndmask_b32_e32 v9, v18, v14, vcc
	v_cndmask_b32_e64 v11, v11, v9, s[2:3]
	v_cndmask_b32_e64 v8, v8, v13, s[4:5]
	;; [unrolled: 1-line block ×3, first 2 shown]
	v_sub_u32_e32 v15, 32, v7
	v_alignbit_b32 v17, v8, v13, v15
	v_cmp_eq_u32_e64 s[6:7], 0, v7
	v_cndmask_b32_e32 v10, v14, v10, vcc
	s_nop 0
	v_cndmask_b32_e64 v7, v17, v8, s[6:7]
	v_cndmask_b32_e32 v8, v16, v12, vcc
	v_cndmask_b32_e64 v9, v9, v8, s[2:3]
	v_cndmask_b32_e64 v11, v11, v9, s[4:5]
	v_alignbit_b32 v12, v13, v11, v15
	v_cndmask_b32_e64 v12, v12, v13, s[6:7]
	v_bfe_u32 v17, v7, 29, 1
	v_cndmask_b32_e64 v8, v8, v10, s[2:3]
	v_alignbit_b32 v13, v7, v12, 30
	v_sub_u32_e32 v18, 0, v17
	v_cndmask_b32_e64 v8, v9, v8, s[4:5]
	v_xor_b32_e32 v19, v13, v18
	v_alignbit_b32 v9, v11, v8, v15
	v_cndmask_b32_e64 v9, v9, v11, s[6:7]
	v_ffbh_u32_e32 v11, v19
	v_add_u32_e32 v11, 1, v11
	v_cmp_ne_u32_e32 vcc, v13, v18
	v_alignbit_b32 v10, v12, v9, 30
	v_alignbit_b32 v8, v9, v8, 30
	v_cndmask_b32_e32 v11, 33, v11, vcc
	v_xor_b32_e32 v10, v10, v18
	v_sub_u32_e32 v12, 32, v11
	v_xor_b32_e32 v8, v8, v18
	v_alignbit_b32 v13, v19, v10, v12
	v_alignbit_b32 v8, v10, v8, v12
	;; [unrolled: 1-line block ×3, first 2 shown]
	v_ffbh_u32_e32 v10, v9
	v_min_u32_e32 v10, 32, v10
	v_lshrrev_b32_e32 v16, 29, v7
	v_sub_u32_e32 v12, 31, v10
	v_alignbit_b32 v8, v9, v8, v12
	v_lshlrev_b32_e32 v9, 31, v16
	v_or_b32_e32 v12, 0x33800000, v9
	v_add_lshl_u32 v10, v10, v11, 23
	v_lshrrev_b32_e32 v8, 9, v8
	v_sub_u32_e32 v10, v12, v10
	v_or_b32_e32 v8, v10, v8
	v_alignbit_b32 v10, v11, v13, 9
	v_or_b32_e32 v9, v10, v9
	v_xor_b32_e32 v9, 1.0, v9
	s_mov_b32 s2, 0x3fc90fda
	v_mul_f32_e32 v10, 0x3fc90fda, v9
	v_fma_f32 v11, v9, s2, -v10
	v_fmamk_f32 v9, v9, 0x33a22168, v11
	v_fmac_f32_e32 v9, 0x3fc90fda, v8
	v_lshrrev_b32_e32 v7, 30, v7
	v_add_f32_e32 v8, v10, v9
	v_add_u32_e32 v7, v17, v7
	s_andn2_saveexec_b64 s[2:3], s[10:11]
	s_cbranch_execnz .LBB21_181
	s_branch .LBB21_182
.LBB21_180:
	s_andn2_saveexec_b64 s[2:3], s[10:11]
.LBB21_181:
	s_mov_b32 s4, 0x3f22f983
	v_mul_f32_e64 v7, |v2|, s4
	v_rndne_f32_e32 v8, v7
	s_mov_b32 s4, 0xbfc90fda
	v_cvt_i32_f32_e32 v7, v8
	v_fma_f32 v9, v8, s4, |v2|
	v_fmamk_f32 v9, v8, 0xb3a22168, v9
	v_fmamk_f32 v8, v8, 0xa7c234c4, v9
.LBB21_182:
	s_or_b64 exec, exec, s[2:3]
	v_mul_f32_e32 v9, v1, v1
	s_mov_b32 s4, 0x41c80000
	v_div_scale_f32 v10, s[2:3], v9, v9, s4
	v_rcp_f32_e32 v11, v10
	v_xor_b32_e32 v3, v3, v2
	s_mov_b32 s6, 0x40a00000
	v_mov_b32_e32 v18, 0xbf000004
	v_fma_f32 v12, -v10, v11, 1.0
	v_fmac_f32_e32 v11, v12, v11
	v_div_scale_f32 v12, vcc, s4, v9, s4
	v_mul_f32_e32 v13, v12, v11
	v_fma_f32 v14, -v10, v13, v12
	v_fmac_f32_e32 v13, v14, v11
	v_fma_f32 v10, -v10, v13, v12
	v_div_fmas_f32 v10, v10, v11, v13
	v_div_fixup_f32 v9, v10, v9, s4
	v_mov_b32_e32 v10, 0x3a50e985
	v_mov_b32_e32 v11, 0x3a725406
	v_fmac_f32_e32 v10, 0, v9
	v_fmac_f32_e32 v11, 0, v9
	v_fmaak_f32 v10, v9, v10, 0x3da9a586
	v_fmaak_f32 v11, v9, v11, 0x3daf5e2d
	;; [unrolled: 1-line block ×8, first 2 shown]
	v_mov_b32_e32 v12, 0xbc3a3a12
	v_fmaak_f32 v10, v9, v10, 0x40a9b425
	v_fmaak_f32 v11, v9, v11, 0x40a9cb2f
	v_fmac_f32_e32 v12, 0, v9
	v_mov_b32_e32 v13, 0x4280a2ba
	v_fma_f32 v11, v9, v11, 1.0
	v_fmaak_f32 v12, v9, v12, 0xbfa429da
	v_fmac_f32_e32 v13, 0, v9
	v_fma_f32 v10, v9, v10, 1.0
	v_fmaak_f32 v12, v9, v12, 0xc19c6e80
	v_fmaak_f32 v13, v9, v13, 0x44561b86
	v_div_scale_f32 v14, s[2:3], v11, v11, v10
	v_fmaak_f32 v12, v9, v12, 0xc2ba697b
	v_fmaak_f32 v13, v9, v13, 0x4572a66e
	v_rcp_f32_e32 v15, v14
	v_fmaak_f32 v12, v9, v12, 0xc331ae61
	v_fmaak_f32 v13, v9, v13, 0x45e243be
	;; [unrolled: 1-line block ×8, first 2 shown]
	v_fma_f32 v13, -v14, v15, 1.0
	v_fmac_f32_e32 v15, v13, v15
	v_div_scale_f32 v13, vcc, v10, v11, v10
	v_mul_f32_e32 v16, v13, v15
	v_fma_f32 v17, -v14, v16, v13
	v_fmac_f32_e32 v16, v17, v15
	v_fma_f32 v13, -v14, v16, v13
	v_div_fmas_f32 v13, v13, v15, v16
	v_div_fixup_f32 v10, v13, v11, v10
	v_mul_f32_e32 v11, v5, v5
	v_mov_b32_e32 v13, 0x3c0881c4
	v_fmamk_f32 v14, v11, 0xb94c1982, v13
	v_fmaak_f32 v14, v11, v14, 0xbe2aaa9d
	v_mul_f32_e32 v14, v11, v14
	v_fmac_f32_e32 v5, v5, v14
	v_mov_b32_e32 v14, 0xbab64f3b
	v_fmamk_f32 v16, v11, 0x37d75334, v14
	v_fmaak_f32 v16, v11, v16, 0x3d2aabf7
	v_fmaak_f32 v16, v11, v16, 0xbf000004
	v_fma_f32 v11, v11, v16, 1.0
	v_and_b32_e32 v16, 1, v4
	v_lshlrev_b32_e32 v4, 30, v4
	v_cmp_eq_u32_e32 vcc, 0, v16
	v_and_b32_e32 v4, 0x80000000, v4
	v_xor_b32_e32 v3, v3, v4
	v_cndmask_b32_e32 v5, v11, v5, vcc
	v_div_scale_f32 v4, s[2:3], v1, v1, s6
	v_xor_b32_e32 v3, v3, v5
	v_rcp_f32_e32 v5, v4
	s_movk_i32 s4, 0x1f8
	v_mov_b32_e32 v11, 0x7fc00000
	v_cmp_class_f32_e64 s[2:3], v2, s4
	v_mov_b32_e32 v15, 0xbe2aaa9d
	v_mov_b32_e32 v17, 0x3d2aabf7
	v_cndmask_b32_e64 v2, v11, v3, s[2:3]
	v_fma_f32 v3, -v4, v5, 1.0
	v_fmac_f32_e32 v5, v3, v5
	v_div_scale_f32 v3, vcc, s6, v1, s6
	v_mul_f32_e32 v16, v3, v5
	v_fma_f32 v19, -v4, v16, v3
	v_fmac_f32_e32 v16, v19, v5
	v_fma_f32 v3, -v4, v16, v3
	v_div_scale_f32 v4, s[4:5], v9, v9, v12
	v_rcp_f32_e32 v19, v4
	v_div_fmas_f32 v3, v3, v5, v16
	v_div_fixup_f32 v3, v3, v1, s6
	v_fma_f32 v5, -v4, v19, 1.0
	v_fmac_f32_e32 v19, v5, v19
	v_div_scale_f32 v5, vcc, v12, v9, v12
	v_mul_f32_e32 v16, v5, v19
	v_fma_f32 v20, -v4, v16, v5
	v_fmac_f32_e32 v16, v20, v19
	v_fma_f32 v4, -v4, v16, v5
	v_div_fmas_f32 v4, v4, v19, v16
	v_div_fixup_f32 v4, v4, v9, v12
	v_mul_f32_e32 v3, v3, v4
	v_mul_f32_e32 v4, v8, v8
	v_fmac_f32_e32 v13, 0xb94c1982, v4
	v_fmac_f32_e32 v15, v4, v13
	;; [unrolled: 1-line block ×3, first 2 shown]
	v_mul_f32_e32 v5, v4, v15
	v_fmac_f32_e32 v17, v4, v14
	v_fmac_f32_e32 v8, v8, v5
	;; [unrolled: 1-line block ×3, first 2 shown]
	v_and_b32_e32 v5, 1, v7
	v_fma_f32 v4, v4, v18, 1.0
	v_cmp_eq_u32_e32 vcc, 0, v5
	v_lshlrev_b32_e32 v5, 30, v7
	v_and_b32_e32 v5, 0x80000000, v5
	v_cndmask_b32_e64 v4, -v8, v4, vcc
	v_xor_b32_e32 v4, v5, v4
	v_cndmask_b32_e64 v4, v11, v4, s[2:3]
	s_mov_b32 s2, 0xf800000
	v_mul_f32_e32 v5, 0x4f800000, v1
	v_cmp_gt_f32_e32 vcc, s2, v1
	v_mul_f32_e32 v3, v3, v4
	v_fmac_f32_e32 v3, v10, v2
	v_cndmask_b32_e32 v1, v1, v5, vcc
	v_sqrt_f32_e32 v5, v1
	v_mul_f32_e32 v2, 0x3f4c422a, v3
	v_add_u32_e32 v3, -1, v5
	v_fma_f32 v4, -v3, v5, v1
	v_cmp_ge_f32_e64 s[2:3], 0, v4
	v_add_u32_e32 v4, 1, v5
	s_nop 0
	v_cndmask_b32_e64 v3, v5, v3, s[2:3]
	v_fma_f32 v5, -v4, v5, v1
	v_cmp_lt_f32_e64 s[2:3], 0, v5
	s_nop 1
	v_cndmask_b32_e64 v3, v3, v4, s[2:3]
	v_mul_f32_e32 v4, 0x37800000, v3
	v_cndmask_b32_e32 v3, v3, v4, vcc
	v_mov_b32_e32 v4, 0x260
	v_cmp_class_f32_e32 vcc, v1, v4
	s_nop 1
	v_cndmask_b32_e32 v1, v3, v1, vcc
	v_div_scale_f32 v3, s[2:3], v1, v1, v2
	v_rcp_f32_e32 v4, v3
	s_nop 0
	v_fma_f32 v5, -v3, v4, 1.0
	v_fmac_f32_e32 v4, v5, v4
	v_div_scale_f32 v5, vcc, v2, v1, v2
	v_mul_f32_e32 v7, v5, v4
	v_fma_f32 v8, -v3, v7, v5
	v_fmac_f32_e32 v7, v8, v4
	v_fma_f32 v3, -v3, v7, v5
	v_div_fmas_f32 v3, v3, v4, v7
	v_div_fixup_f32 v2, v3, v1, v2
.LBB21_183:
	s_or_b64 exec, exec, s[8:9]
	v_add_u32_e32 v6, 0x80, v6
	global_store_dword v0, v2, s[20:21]
	s_or_b64 exec, exec, s[50:51]
	v_cmp_gt_i32_e32 vcc, s57, v6
	s_and_saveexec_b64 s[50:51], vcc
	s_cbranch_execnz .LBB21_17
.LBB21_184:
	s_or_b64 exec, exec, s[50:51]
	v_cmp_gt_i32_e32 vcc, s57, v6
	s_and_saveexec_b64 s[50:51], vcc
	s_cbranch_execz .LBB21_221
.LBB21_185:
	s_andn2_b64 vcc, exec, s[34:35]
	s_cbranch_vccnz .LBB21_191
; %bb.186:
	s_mov_b32 s2, 0
	s_andn2_b64 vcc, exec, s[48:49]
	v_mov_b32_e32 v2, 0
	v_mov_b32_e32 v0, 0
	s_cbranch_vccnz .LBB21_229
; %bb.187:
	s_add_i32 s59, s58, 1
	s_cmp_eq_u32 s56, 2
	s_cbranch_scc1 .LBB21_224
; %bb.188:
	s_and_b32 s2, s59, 28
	s_mov_b32 s3, 0
	v_mov_b32_e32 v0, 0
	s_mov_b64 s[52:53], s[0:1]
	s_mov_b64 s[54:55], s[46:47]
	v_mov_b32_e32 v3, v6
	v_mov_b32_e32 v2, 0
.LBB21_189:                             ; =>This Inner Loop Header: Depth=1
	s_load_dwordx8 s[12:19], s[52:53], 0x4
	s_load_dwordx4 s[36:39], s[52:53], 0x24
	s_load_dwordx8 s[4:11], s[54:55], 0x0
	s_add_u32 s52, s52, 48
	s_addc_u32 s53, s53, 0
	s_waitcnt lgkmcnt(0)
	v_mul_hi_u32 v1, s13, v3
	v_add_u32_e32 v1, v3, v1
	v_lshrrev_b32_e32 v1, s14, v1
	v_mul_lo_u32 v4, v1, s12
	v_mul_hi_u32 v5, s16, v1
	v_sub_u32_e32 v3, v3, v4
	v_add_u32_e32 v4, v1, v5
	v_lshrrev_b32_e32 v4, s17, v4
	v_mul_lo_u32 v7, v4, s15
	v_mul_hi_u32 v8, s19, v4
	v_sub_u32_e32 v1, v1, v7
	v_add_u32_e32 v7, v4, v8
	v_mul_lo_u32 v5, v3, s5
	v_mul_lo_u32 v3, v3, s4
	;; [unrolled: 1-line block ×4, first 2 shown]
	v_lshrrev_b32_e32 v7, s36, v7
	v_add3_u32 v0, v3, v0, v1
	v_mul_hi_u32 v3, s38, v7
	v_add_u32_e32 v3, v7, v3
	v_lshrrev_b32_e32 v3, s39, v3
	s_add_i32 s3, s3, 4
	v_add3_u32 v1, v5, v2, v8
	v_mul_lo_u32 v2, v7, s18
	v_mul_lo_u32 v5, v3, s37
	s_add_u32 s54, s54, 32
	v_sub_u32_e32 v2, v4, v2
	v_sub_u32_e32 v5, v7, v5
	s_addc_u32 s55, s55, 0
	v_mul_lo_u32 v4, v2, s8
	v_mul_lo_u32 v2, v2, s9
	;; [unrolled: 1-line block ×4, first 2 shown]
	s_cmp_eq_u32 s2, s3
	v_add3_u32 v2, v2, v1, v5
	v_add3_u32 v0, v4, v0, v7
	s_cbranch_scc0 .LBB21_189
; %bb.190:
	v_mov_b32_e32 v1, v2
	s_branch .LBB21_225
.LBB21_191:
                                        ; implicit-def: $vgpr2
                                        ; implicit-def: $vgpr0
	s_branch .LBB21_230
.LBB21_192:
	s_mov_b32 s3, s2
	v_mov_b64_e32 v[0:1], s[2:3]
                                        ; implicit-def: $vgpr2
	v_mov_b32_e32 v3, v6
.LBB21_193:
	s_and_b32 s6, s59, 3
	s_cmp_eq_u32 s6, 0
	s_cbranch_scc1 .LBB21_197
; %bb.194:
	s_lshl_b32 s3, s2, 3
	s_add_u32 s3, s3, s0
	s_addc_u32 s5, s1, 0
	s_add_u32 s4, s3, 0xc4
	s_addc_u32 s5, s5, 0
	s_mul_i32 s2, s2, 12
	s_add_u32 s2, s0, s2
	s_addc_u32 s3, s1, 0
.LBB21_195:                             ; =>This Inner Loop Header: Depth=1
	s_load_dwordx2 s[8:9], s[2:3], 0x4
	s_load_dword s7, s[2:3], 0xc
	s_load_dwordx2 s[10:11], s[4:5], 0x0
	v_mov_b32_e32 v2, v1
	s_add_u32 s2, s2, 12
	s_waitcnt lgkmcnt(0)
	v_mul_hi_u32 v1, s9, v3
	v_add_u32_e32 v1, v3, v1
	v_lshrrev_b32_e32 v1, s7, v1
	s_addc_u32 s3, s3, 0
	v_mul_lo_u32 v4, v1, s8
	s_add_u32 s4, s4, 8
	v_sub_u32_e32 v7, v3, v4
	v_mov_b32_e32 v3, v1
	s_addc_u32 s5, s5, 0
	s_add_i32 s6, s6, -1
	v_mad_u64_u32 v[4:5], s[8:9], v7, s11, v[2:3]
	v_mad_u64_u32 v[0:1], s[8:9], v7, s10, v[0:1]
	s_cmp_lg_u32 s6, 0
	v_mov_b32_e32 v1, v4
	s_cbranch_scc1 .LBB21_195
; %bb.196:
	v_mov_b32_e32 v2, v1
.LBB21_197:
	s_cbranch_execnz .LBB21_200
.LBB21_198:
	s_waitcnt lgkmcnt(0)
	v_mul_hi_u32 v0, s29, v6
	v_add_u32_e32 v0, v6, v0
	v_lshrrev_b32_e32 v1, s30, v0
	v_mul_lo_u32 v0, v1, s28
	v_sub_u32_e32 v0, v6, v0
	v_mul_lo_u32 v2, v0, s25
	s_andn2_b64 vcc, exec, s[44:45]
	v_mul_lo_u32 v0, v0, s24
	s_cbranch_vccnz .LBB21_200
; %bb.199:
	v_mul_hi_u32 v3, s42, v1
	v_add_u32_e32 v3, v1, v3
	v_lshrrev_b32_e32 v3, s43, v3
	v_mul_lo_u32 v3, v3, s31
	v_sub_u32_e32 v3, v1, v3
	v_mad_u64_u32 v[0:1], s[2:3], v3, s26, v[0:1]
	v_mad_u64_u32 v[2:3], s[2:3], v3, s27, v[2:3]
.LBB21_200:
	s_waitcnt lgkmcnt(0)
	global_load_dword v1, v2, s[22:23]
	s_mov_b32 s2, 0x40a00000
                                        ; implicit-def: $vgpr2
	s_waitcnt vmcnt(0)
	v_cmp_ge_f32_e32 vcc, s2, v1
	s_and_saveexec_b64 s[2:3], vcc
	s_xor_b64 s[4:5], exec, s[2:3]
	s_cbranch_execz .LBB21_210
; %bb.201:
	v_cmp_neq_f32_e32 vcc, 0, v1
	v_mov_b32_e32 v2, 0xff800000
	s_and_saveexec_b64 s[6:7], vcc
	s_cbranch_execz .LBB21_209
; %bb.202:
	v_cmp_ngt_f32_e32 vcc, 0, v1
	v_mov_b32_e32 v2, 0x7fc00000
	s_and_saveexec_b64 s[8:9], vcc
	s_cbranch_execz .LBB21_208
; %bb.203:
	v_mul_f32_e32 v2, v1, v1
	s_mov_b32 s2, 0x3727c5ac
	v_mul_f32_e32 v4, 0, v2
	v_cmp_ngt_f32_e32 vcc, s2, v1
                                        ; implicit-def: $vgpr3
	s_and_saveexec_b64 s[2:3], vcc
	s_xor_b64 s[2:3], exec, s[2:3]
	s_cbranch_execz .LBB21_205
; %bb.204:
	v_add_f32_e32 v3, 0x43f9c815, v4
	v_fmaak_f32 v3, v2, v3, 0x4829b65a
	v_fmaak_f32 v3, v2, v3, 0x4c38c9a1
	;; [unrolled: 1-line block ×3, first 2 shown]
	s_mov_b32 s10, 0xcf8ee29d
	v_mul_f32_e32 v5, v2, v3
	s_mov_b32 s11, 0x53f5f59c
	v_pk_add_f32 v[8:9], v[4:5], s[10:11]
	s_mov_b32 s10, 0x53e3ba8e
	s_mov_b32 s11, 0x578d3514
	v_pk_fma_f32 v[8:9], v[2:3], v[8:9], s[10:11] op_sel_hi:[0,1,1]
	s_mov_b32 s10, 0xd762b0a7
	s_mov_b32 s11, 0x5ae20a0c
	v_pk_fma_f32 v[8:9], v[2:3], v[8:9], s[10:11] op_sel_hi:[0,1,1]
	;; [unrolled: 3-line block ×3, first 2 shown]
	s_mov_b32 s10, 0xc0b90fdc
	s_mov_b32 s11, 0xc1f3c525
	v_pk_add_f32 v[10:11], v[2:3], s[10:11] op_sel_hi:[0,1]
	v_mul_f32_e32 v3, v10, v11
	v_mul_f32_e32 v3, v3, v8
	v_div_scale_f32 v5, s[10:11], v9, v9, v3
	v_rcp_f32_e32 v7, v5
	s_nop 0
	v_fma_f32 v8, -v5, v7, 1.0
	v_fmac_f32_e32 v7, v8, v7
	v_div_scale_f32 v8, vcc, v3, v9, v3
	v_mul_f32_e32 v10, v8, v7
	v_fma_f32 v11, -v5, v10, v8
	v_fmac_f32_e32 v10, v11, v7
	v_fma_f32 v5, -v5, v10, v8
	v_div_fmas_f32 v5, v5, v7, v10
	v_div_fixup_f32 v3, v5, v9, v3
.LBB21_205:
	s_andn2_saveexec_b64 s[2:3], s[2:3]
; %bb.206:
	v_mov_b32_e32 v3, 1.0
	v_fmamk_f32 v3, v2, 0xbe800000, v3
; %bb.207:
	s_or_b64 exec, exec, s[2:3]
	v_add_f32_e32 v5, 0x4673a1bf, v4
	v_fmaak_f32 v5, v2, v5, 0xcb5fc0fa
	v_add_f32_e32 v4, 0x44822913, v4
	v_fmaak_f32 v5, v2, v5, 0x4fa1fbc8
	v_fmaak_f32 v4, v2, v4, 0x4918dbb5
	;; [unrolled: 1-line block ×12, first 2 shown]
	v_div_scale_f32 v5, s[2:3], v4, v4, v2
	v_rcp_f32_e32 v7, v5
	s_mov_b32 s2, 0x800000
	v_cmp_gt_f32_e64 s[2:3], s2, v1
	s_mov_b32 s10, 0x3f317217
	v_fma_f32 v8, -v5, v7, 1.0
	v_fmac_f32_e32 v7, v8, v7
	v_div_scale_f32 v8, vcc, v2, v4, v2
	v_mul_f32_e32 v9, v8, v7
	v_fma_f32 v10, -v5, v9, v8
	v_fmac_f32_e32 v9, v10, v7
	v_fma_f32 v5, -v5, v9, v8
	v_mov_b32_e32 v8, 0x4f800000
	v_cndmask_b32_e64 v8, 1.0, v8, s[2:3]
	v_mul_f32_e32 v1, v1, v8
	v_log_f32_e32 v1, v1
	v_div_fmas_f32 v5, v5, v7, v9
	v_div_fixup_f32 v2, v5, v4, v2
	v_mul_f32_e32 v4, 0x3f317217, v1
	v_fma_f32 v5, v1, s10, -v4
	v_fmamk_f32 v5, v1, 0x3377d1cf, v5
	s_mov_b32 s10, 0x7f800000
	v_add_f32_e32 v4, v4, v5
	v_cmp_lt_f32_e64 vcc, |v1|, s10
	s_nop 1
	v_cndmask_b32_e32 v1, v1, v4, vcc
	v_mov_b32_e32 v4, 0x41b17218
	v_cndmask_b32_e64 v4, 0, v4, s[2:3]
	v_sub_f32_e32 v1, v1, v4
	v_mul_f32_e32 v1, 0x3f22f983, v1
	v_fmac_f32_e32 v2, v1, v3
.LBB21_208:
	s_or_b64 exec, exec, s[8:9]
.LBB21_209:
	s_or_b64 exec, exec, s[6:7]
                                        ; implicit-def: $vgpr1
.LBB21_210:
	s_andn2_saveexec_b64 s[8:9], s[4:5]
	s_cbranch_execz .LBB21_220
; %bb.211:
	v_add_f32_e32 v2, 0xbf490fdb, v1
	s_brev_b32 s2, 18
	v_and_b32_e32 v3, 0x7fffffff, v2
	v_cmp_nlt_f32_e64 s[10:11], |v2|, s2
                                        ; implicit-def: $vgpr4
                                        ; implicit-def: $vgpr5
	s_and_saveexec_b64 s[2:3], s[10:11]
	s_xor_b64 s[12:13], exec, s[2:3]
	s_cbranch_execz .LBB21_213
; %bb.212:
	v_lshrrev_b32_e32 v4, 23, v3
	v_add_u32_e32 v4, 0xffffff88, v4
	v_not_b32_e32 v7, 63
	v_cmp_lt_u32_e32 vcc, 63, v4
	s_mov_b32 s6, 0xfe5163ab
	v_mov_b32_e32 v5, 0
	v_cndmask_b32_e32 v7, 0, v7, vcc
	v_add_u32_e32 v4, v7, v4
	v_not_b32_e32 v7, 31
	v_cmp_lt_u32_e64 s[2:3], 31, v4
	s_nop 1
	v_cndmask_b32_e64 v8, 0, v7, s[2:3]
	v_add_u32_e32 v4, v8, v4
	v_cmp_lt_u32_e64 s[4:5], 31, v4
	s_nop 1
	v_cndmask_b32_e64 v7, 0, v7, s[4:5]
	v_add_u32_e32 v7, v7, v4
	v_and_b32_e32 v4, 0x7fffff, v3
	v_or_b32_e32 v20, 0x800000, v4
	v_mad_u64_u32 v[8:9], s[6:7], v20, s6, 0
	v_mov_b32_e32 v4, v9
	s_mov_b32 s6, 0x3c439041
	v_mad_u64_u32 v[10:11], s[6:7], v20, s6, v[4:5]
	v_mov_b32_e32 v4, v11
	s_mov_b32 s6, 0xdb629599
	;; [unrolled: 3-line block ×6, first 2 shown]
	v_mad_u64_u32 v[4:5], s[6:7], v20, s6, v[4:5]
	v_cndmask_b32_e32 v9, v18, v14, vcc
	v_cndmask_b32_e32 v4, v4, v16, vcc
	v_cndmask_b32_e32 v5, v5, v18, vcc
	v_cndmask_b32_e64 v11, v4, v9, s[2:3]
	v_cndmask_b32_e64 v4, v5, v4, s[2:3]
	v_cndmask_b32_e32 v5, v16, v12, vcc
	v_cndmask_b32_e64 v9, v9, v5, s[2:3]
	v_sub_u32_e32 v13, 32, v7
	v_cmp_eq_u32_e64 s[6:7], 0, v7
	v_cndmask_b32_e32 v7, v14, v10, vcc
	v_cndmask_b32_e64 v4, v4, v11, s[4:5]
	v_cndmask_b32_e64 v11, v11, v9, s[4:5]
	;; [unrolled: 1-line block ×3, first 2 shown]
	v_alignbit_b32 v15, v4, v11, v13
	v_cndmask_b32_e64 v9, v9, v5, s[4:5]
	v_cndmask_b32_e64 v4, v15, v4, s[6:7]
	v_alignbit_b32 v10, v11, v9, v13
	v_cndmask_b32_e32 v8, v12, v8, vcc
	v_cndmask_b32_e64 v10, v10, v11, s[6:7]
	v_bfe_u32 v15, v4, 29, 1
	v_cndmask_b32_e64 v7, v7, v8, s[2:3]
	v_alignbit_b32 v11, v4, v10, 30
	v_sub_u32_e32 v16, 0, v15
	v_cndmask_b32_e64 v5, v5, v7, s[4:5]
	v_xor_b32_e32 v17, v11, v16
	v_alignbit_b32 v7, v9, v5, v13
	v_cndmask_b32_e64 v7, v7, v9, s[6:7]
	v_ffbh_u32_e32 v9, v17
	v_add_u32_e32 v9, 1, v9
	v_cmp_ne_u32_e32 vcc, v11, v16
	v_alignbit_b32 v8, v10, v7, 30
	v_alignbit_b32 v5, v7, v5, 30
	v_cndmask_b32_e32 v9, 33, v9, vcc
	v_xor_b32_e32 v8, v8, v16
	v_sub_u32_e32 v10, 32, v9
	v_xor_b32_e32 v5, v5, v16
	v_alignbit_b32 v11, v17, v8, v10
	v_alignbit_b32 v5, v8, v5, v10
	;; [unrolled: 1-line block ×3, first 2 shown]
	v_ffbh_u32_e32 v8, v7
	v_min_u32_e32 v8, 32, v8
	v_lshrrev_b32_e32 v14, 29, v4
	v_sub_u32_e32 v10, 31, v8
	v_alignbit_b32 v5, v7, v5, v10
	v_lshlrev_b32_e32 v7, 31, v14
	v_or_b32_e32 v10, 0x33800000, v7
	v_add_lshl_u32 v8, v8, v9, 23
	v_lshrrev_b32_e32 v5, 9, v5
	v_sub_u32_e32 v8, v10, v8
	v_or_b32_e32 v5, v8, v5
	v_alignbit_b32 v8, v9, v11, 9
	v_or_b32_e32 v7, v8, v7
	v_xor_b32_e32 v7, 1.0, v7
	s_mov_b32 s2, 0x3fc90fda
	v_mul_f32_e32 v8, 0x3fc90fda, v7
	v_fma_f32 v9, v7, s2, -v8
	v_fmamk_f32 v7, v7, 0x33a22168, v9
	v_fmac_f32_e32 v7, 0x3fc90fda, v5
	v_lshrrev_b32_e32 v4, 30, v4
	v_add_f32_e32 v5, v8, v7
	v_add_u32_e32 v4, v15, v4
	s_andn2_saveexec_b64 s[2:3], s[12:13]
	s_branch .LBB21_214
.LBB21_213:
	s_andn2_saveexec_b64 s[2:3], s[12:13]
.LBB21_214:
	s_mov_b32 s4, 0x3f22f983
	v_mul_f32_e64 v4, |v2|, s4
	v_rndne_f32_e32 v5, v4
	s_mov_b32 s4, 0xbfc90fda
	v_cvt_i32_f32_e32 v4, v5
	v_fma_f32 v7, v5, s4, |v2|
	v_fmamk_f32 v7, v5, 0xb3a22168, v7
	v_fmamk_f32 v5, v5, 0xa7c234c4, v7
; %bb.215:
	s_or_b64 exec, exec, s[2:3]
                                        ; implicit-def: $vgpr7
                                        ; implicit-def: $vgpr8
	s_and_saveexec_b64 s[2:3], s[10:11]
	s_xor_b64 s[10:11], exec, s[2:3]
	s_cbranch_execz .LBB21_217
; %bb.216:
	v_lshrrev_b32_e32 v7, 23, v3
	v_add_u32_e32 v7, 0xffffff88, v7
	v_not_b32_e32 v8, 63
	v_cmp_lt_u32_e32 vcc, 63, v7
	s_mov_b32 s6, 0xfe5163ab
	v_mov_b32_e32 v9, 0
	v_cndmask_b32_e32 v8, 0, v8, vcc
	v_add_u32_e32 v7, v8, v7
	v_not_b32_e32 v8, 31
	v_cmp_lt_u32_e64 s[2:3], 31, v7
	s_nop 1
	v_cndmask_b32_e64 v10, 0, v8, s[2:3]
	v_add_u32_e32 v7, v10, v7
	v_cmp_lt_u32_e64 s[4:5], 31, v7
	s_nop 1
	v_cndmask_b32_e64 v8, 0, v8, s[4:5]
	v_add_u32_e32 v7, v8, v7
	v_and_b32_e32 v8, 0x7fffff, v3
	v_or_b32_e32 v22, 0x800000, v8
	v_mad_u64_u32 v[10:11], s[6:7], v22, s6, 0
	v_mov_b32_e32 v8, v11
	s_mov_b32 s6, 0x3c439041
	v_mad_u64_u32 v[12:13], s[6:7], v22, s6, v[8:9]
	v_mov_b32_e32 v8, v13
	s_mov_b32 s6, 0xdb629599
	;; [unrolled: 3-line block ×6, first 2 shown]
	v_mad_u64_u32 v[8:9], s[6:7], v22, s6, v[8:9]
	v_cndmask_b32_e32 v11, v20, v16, vcc
	v_cndmask_b32_e32 v8, v8, v18, vcc
	;; [unrolled: 1-line block ×3, first 2 shown]
	v_cndmask_b32_e64 v13, v8, v11, s[2:3]
	v_cndmask_b32_e64 v8, v9, v8, s[2:3]
	v_cndmask_b32_e32 v9, v18, v14, vcc
	v_cndmask_b32_e64 v11, v11, v9, s[2:3]
	v_cndmask_b32_e64 v8, v8, v13, s[4:5]
	;; [unrolled: 1-line block ×3, first 2 shown]
	v_sub_u32_e32 v15, 32, v7
	v_alignbit_b32 v17, v8, v13, v15
	v_cmp_eq_u32_e64 s[6:7], 0, v7
	v_cndmask_b32_e32 v10, v14, v10, vcc
	s_nop 0
	v_cndmask_b32_e64 v7, v17, v8, s[6:7]
	v_cndmask_b32_e32 v8, v16, v12, vcc
	v_cndmask_b32_e64 v9, v9, v8, s[2:3]
	v_cndmask_b32_e64 v11, v11, v9, s[4:5]
	v_alignbit_b32 v12, v13, v11, v15
	v_cndmask_b32_e64 v12, v12, v13, s[6:7]
	v_bfe_u32 v17, v7, 29, 1
	v_cndmask_b32_e64 v8, v8, v10, s[2:3]
	v_alignbit_b32 v13, v7, v12, 30
	v_sub_u32_e32 v18, 0, v17
	v_cndmask_b32_e64 v8, v9, v8, s[4:5]
	v_xor_b32_e32 v19, v13, v18
	v_alignbit_b32 v9, v11, v8, v15
	v_cndmask_b32_e64 v9, v9, v11, s[6:7]
	v_ffbh_u32_e32 v11, v19
	v_add_u32_e32 v11, 1, v11
	v_cmp_ne_u32_e32 vcc, v13, v18
	v_alignbit_b32 v10, v12, v9, 30
	v_alignbit_b32 v8, v9, v8, 30
	v_cndmask_b32_e32 v11, 33, v11, vcc
	v_xor_b32_e32 v10, v10, v18
	v_sub_u32_e32 v12, 32, v11
	v_xor_b32_e32 v8, v8, v18
	v_alignbit_b32 v13, v19, v10, v12
	v_alignbit_b32 v8, v10, v8, v12
	;; [unrolled: 1-line block ×3, first 2 shown]
	v_ffbh_u32_e32 v10, v9
	v_min_u32_e32 v10, 32, v10
	v_lshrrev_b32_e32 v16, 29, v7
	v_sub_u32_e32 v12, 31, v10
	v_alignbit_b32 v8, v9, v8, v12
	v_lshlrev_b32_e32 v9, 31, v16
	v_or_b32_e32 v12, 0x33800000, v9
	v_add_lshl_u32 v10, v10, v11, 23
	v_lshrrev_b32_e32 v8, 9, v8
	v_sub_u32_e32 v10, v12, v10
	v_or_b32_e32 v8, v10, v8
	v_alignbit_b32 v10, v11, v13, 9
	v_or_b32_e32 v9, v10, v9
	v_xor_b32_e32 v9, 1.0, v9
	s_mov_b32 s2, 0x3fc90fda
	v_mul_f32_e32 v10, 0x3fc90fda, v9
	v_fma_f32 v11, v9, s2, -v10
	v_fmamk_f32 v9, v9, 0x33a22168, v11
	v_fmac_f32_e32 v9, 0x3fc90fda, v8
	v_lshrrev_b32_e32 v7, 30, v7
	v_add_f32_e32 v8, v10, v9
	v_add_u32_e32 v7, v17, v7
	s_andn2_saveexec_b64 s[2:3], s[10:11]
	s_cbranch_execnz .LBB21_218
	s_branch .LBB21_219
.LBB21_217:
	s_andn2_saveexec_b64 s[2:3], s[10:11]
.LBB21_218:
	s_mov_b32 s4, 0x3f22f983
	v_mul_f32_e64 v7, |v2|, s4
	v_rndne_f32_e32 v8, v7
	s_mov_b32 s4, 0xbfc90fda
	v_cvt_i32_f32_e32 v7, v8
	v_fma_f32 v9, v8, s4, |v2|
	v_fmamk_f32 v9, v8, 0xb3a22168, v9
	v_fmamk_f32 v8, v8, 0xa7c234c4, v9
.LBB21_219:
	s_or_b64 exec, exec, s[2:3]
	v_mul_f32_e32 v9, v1, v1
	s_mov_b32 s4, 0x41c80000
	v_div_scale_f32 v10, s[2:3], v9, v9, s4
	v_rcp_f32_e32 v11, v10
	v_xor_b32_e32 v3, v3, v2
	s_mov_b32 s6, 0x40a00000
	v_mov_b32_e32 v18, 0xbf000004
	v_fma_f32 v12, -v10, v11, 1.0
	v_fmac_f32_e32 v11, v12, v11
	v_div_scale_f32 v12, vcc, s4, v9, s4
	v_mul_f32_e32 v13, v12, v11
	v_fma_f32 v14, -v10, v13, v12
	v_fmac_f32_e32 v13, v14, v11
	v_fma_f32 v10, -v10, v13, v12
	v_div_fmas_f32 v10, v10, v11, v13
	v_div_fixup_f32 v9, v10, v9, s4
	v_mov_b32_e32 v10, 0x3a50e985
	v_mov_b32_e32 v11, 0x3a725406
	v_fmac_f32_e32 v10, 0, v9
	v_fmac_f32_e32 v11, 0, v9
	v_fmaak_f32 v10, v9, v10, 0x3da9a586
	v_fmaak_f32 v11, v9, v11, 0x3daf5e2d
	;; [unrolled: 1-line block ×8, first 2 shown]
	v_mov_b32_e32 v12, 0xbc3a3a12
	v_fmaak_f32 v10, v9, v10, 0x40a9b425
	v_fmaak_f32 v11, v9, v11, 0x40a9cb2f
	v_fmac_f32_e32 v12, 0, v9
	v_mov_b32_e32 v13, 0x4280a2ba
	v_fma_f32 v11, v9, v11, 1.0
	v_fmaak_f32 v12, v9, v12, 0xbfa429da
	v_fmac_f32_e32 v13, 0, v9
	v_fma_f32 v10, v9, v10, 1.0
	v_fmaak_f32 v12, v9, v12, 0xc19c6e80
	v_fmaak_f32 v13, v9, v13, 0x44561b86
	v_div_scale_f32 v14, s[2:3], v11, v11, v10
	v_fmaak_f32 v12, v9, v12, 0xc2ba697b
	v_fmaak_f32 v13, v9, v13, 0x4572a66e
	v_rcp_f32_e32 v15, v14
	v_fmaak_f32 v12, v9, v12, 0xc331ae61
	v_fmaak_f32 v13, v9, v13, 0x45e243be
	;; [unrolled: 1-line block ×8, first 2 shown]
	v_fma_f32 v13, -v14, v15, 1.0
	v_fmac_f32_e32 v15, v13, v15
	v_div_scale_f32 v13, vcc, v10, v11, v10
	v_mul_f32_e32 v16, v13, v15
	v_fma_f32 v17, -v14, v16, v13
	v_fmac_f32_e32 v16, v17, v15
	v_fma_f32 v13, -v14, v16, v13
	v_div_fmas_f32 v13, v13, v15, v16
	v_div_fixup_f32 v10, v13, v11, v10
	v_mul_f32_e32 v11, v5, v5
	v_mov_b32_e32 v13, 0x3c0881c4
	v_fmamk_f32 v14, v11, 0xb94c1982, v13
	v_fmaak_f32 v14, v11, v14, 0xbe2aaa9d
	v_mul_f32_e32 v14, v11, v14
	v_fmac_f32_e32 v5, v5, v14
	v_mov_b32_e32 v14, 0xbab64f3b
	v_fmamk_f32 v16, v11, 0x37d75334, v14
	v_fmaak_f32 v16, v11, v16, 0x3d2aabf7
	v_fmaak_f32 v16, v11, v16, 0xbf000004
	v_fma_f32 v11, v11, v16, 1.0
	v_and_b32_e32 v16, 1, v4
	v_lshlrev_b32_e32 v4, 30, v4
	v_cmp_eq_u32_e32 vcc, 0, v16
	v_and_b32_e32 v4, 0x80000000, v4
	v_xor_b32_e32 v3, v3, v4
	v_cndmask_b32_e32 v5, v11, v5, vcc
	v_div_scale_f32 v4, s[2:3], v1, v1, s6
	v_xor_b32_e32 v3, v3, v5
	v_rcp_f32_e32 v5, v4
	s_movk_i32 s4, 0x1f8
	v_mov_b32_e32 v11, 0x7fc00000
	v_cmp_class_f32_e64 s[2:3], v2, s4
	v_mov_b32_e32 v15, 0xbe2aaa9d
	v_mov_b32_e32 v17, 0x3d2aabf7
	v_cndmask_b32_e64 v2, v11, v3, s[2:3]
	v_fma_f32 v3, -v4, v5, 1.0
	v_fmac_f32_e32 v5, v3, v5
	v_div_scale_f32 v3, vcc, s6, v1, s6
	v_mul_f32_e32 v16, v3, v5
	v_fma_f32 v19, -v4, v16, v3
	v_fmac_f32_e32 v16, v19, v5
	v_fma_f32 v3, -v4, v16, v3
	v_div_scale_f32 v4, s[4:5], v9, v9, v12
	v_rcp_f32_e32 v19, v4
	v_div_fmas_f32 v3, v3, v5, v16
	v_div_fixup_f32 v3, v3, v1, s6
	v_fma_f32 v5, -v4, v19, 1.0
	v_fmac_f32_e32 v19, v5, v19
	v_div_scale_f32 v5, vcc, v12, v9, v12
	v_mul_f32_e32 v16, v5, v19
	v_fma_f32 v20, -v4, v16, v5
	v_fmac_f32_e32 v16, v20, v19
	v_fma_f32 v4, -v4, v16, v5
	v_div_fmas_f32 v4, v4, v19, v16
	v_div_fixup_f32 v4, v4, v9, v12
	v_mul_f32_e32 v3, v3, v4
	v_mul_f32_e32 v4, v8, v8
	v_fmac_f32_e32 v13, 0xb94c1982, v4
	v_fmac_f32_e32 v15, v4, v13
	;; [unrolled: 1-line block ×3, first 2 shown]
	v_mul_f32_e32 v5, v4, v15
	v_fmac_f32_e32 v17, v4, v14
	v_fmac_f32_e32 v8, v8, v5
	;; [unrolled: 1-line block ×3, first 2 shown]
	v_and_b32_e32 v5, 1, v7
	v_fma_f32 v4, v4, v18, 1.0
	v_cmp_eq_u32_e32 vcc, 0, v5
	v_lshlrev_b32_e32 v5, 30, v7
	v_and_b32_e32 v5, 0x80000000, v5
	v_cndmask_b32_e64 v4, -v8, v4, vcc
	v_xor_b32_e32 v4, v5, v4
	v_cndmask_b32_e64 v4, v11, v4, s[2:3]
	s_mov_b32 s2, 0xf800000
	v_mul_f32_e32 v5, 0x4f800000, v1
	v_cmp_gt_f32_e32 vcc, s2, v1
	v_mul_f32_e32 v3, v3, v4
	v_fmac_f32_e32 v3, v10, v2
	v_cndmask_b32_e32 v1, v1, v5, vcc
	v_sqrt_f32_e32 v5, v1
	v_mul_f32_e32 v2, 0x3f4c422a, v3
	v_add_u32_e32 v3, -1, v5
	v_fma_f32 v4, -v3, v5, v1
	v_cmp_ge_f32_e64 s[2:3], 0, v4
	v_add_u32_e32 v4, 1, v5
	s_nop 0
	v_cndmask_b32_e64 v3, v5, v3, s[2:3]
	v_fma_f32 v5, -v4, v5, v1
	v_cmp_lt_f32_e64 s[2:3], 0, v5
	s_nop 1
	v_cndmask_b32_e64 v3, v3, v4, s[2:3]
	v_mul_f32_e32 v4, 0x37800000, v3
	v_cndmask_b32_e32 v3, v3, v4, vcc
	v_mov_b32_e32 v4, 0x260
	v_cmp_class_f32_e32 vcc, v1, v4
	s_nop 1
	v_cndmask_b32_e32 v1, v3, v1, vcc
	v_div_scale_f32 v3, s[2:3], v1, v1, v2
	v_rcp_f32_e32 v4, v3
	s_nop 0
	v_fma_f32 v5, -v3, v4, 1.0
	v_fmac_f32_e32 v4, v5, v4
	v_div_scale_f32 v5, vcc, v2, v1, v2
	v_mul_f32_e32 v7, v5, v4
	v_fma_f32 v8, -v3, v7, v5
	v_fmac_f32_e32 v7, v8, v4
	v_fma_f32 v3, -v3, v7, v5
	v_div_fmas_f32 v3, v3, v4, v7
	v_div_fixup_f32 v2, v3, v1, v2
.LBB21_220:
	s_or_b64 exec, exec, s[8:9]
	v_add_u32_e32 v6, 0x80, v6
	global_store_dword v0, v2, s[20:21]
	s_or_b64 exec, exec, s[50:51]
	v_cmp_gt_i32_e32 vcc, s57, v6
	s_and_saveexec_b64 s[50:51], vcc
	s_cbranch_execnz .LBB21_185
.LBB21_221:
	s_or_b64 exec, exec, s[50:51]
	v_cmp_gt_i32_e32 vcc, s57, v6
	s_and_saveexec_b64 s[50:51], vcc
	s_cbranch_execnz .LBB21_253
.LBB21_222:
	s_or_b64 exec, exec, s[50:51]
                                        ; implicit-def: $vgpr9
                                        ; implicit-def: $vgpr6
	s_andn2_saveexec_b64 s[2:3], s[40:41]
	s_cbranch_execnz .LBB21_9
.LBB21_223:
	s_endpgm
.LBB21_224:
	s_mov_b32 s3, s2
	v_mov_b64_e32 v[0:1], s[2:3]
                                        ; implicit-def: $vgpr2
	v_mov_b32_e32 v3, v6
.LBB21_225:
	s_and_b32 s6, s59, 3
	s_cmp_eq_u32 s6, 0
	s_cbranch_scc1 .LBB21_229
; %bb.226:
	s_lshl_b32 s3, s2, 3
	s_add_u32 s3, s3, s0
	s_addc_u32 s5, s1, 0
	s_add_u32 s4, s3, 0xc4
	s_addc_u32 s5, s5, 0
	s_mul_i32 s2, s2, 12
	s_add_u32 s2, s0, s2
	s_addc_u32 s3, s1, 0
.LBB21_227:                             ; =>This Inner Loop Header: Depth=1
	s_load_dwordx2 s[8:9], s[2:3], 0x4
	s_load_dword s7, s[2:3], 0xc
	s_load_dwordx2 s[10:11], s[4:5], 0x0
	v_mov_b32_e32 v2, v1
	s_add_u32 s2, s2, 12
	s_waitcnt lgkmcnt(0)
	v_mul_hi_u32 v1, s9, v3
	v_add_u32_e32 v1, v3, v1
	v_lshrrev_b32_e32 v1, s7, v1
	s_addc_u32 s3, s3, 0
	v_mul_lo_u32 v4, v1, s8
	s_add_u32 s4, s4, 8
	v_sub_u32_e32 v7, v3, v4
	v_mov_b32_e32 v3, v1
	s_addc_u32 s5, s5, 0
	s_add_i32 s6, s6, -1
	v_mad_u64_u32 v[4:5], s[8:9], v7, s11, v[2:3]
	v_mad_u64_u32 v[0:1], s[8:9], v7, s10, v[0:1]
	s_cmp_lg_u32 s6, 0
	v_mov_b32_e32 v1, v4
	s_cbranch_scc1 .LBB21_227
; %bb.228:
	v_mov_b32_e32 v2, v1
.LBB21_229:
	s_cbranch_execnz .LBB21_232
.LBB21_230:
	s_waitcnt lgkmcnt(0)
	v_mul_hi_u32 v0, s29, v6
	v_add_u32_e32 v0, v6, v0
	v_lshrrev_b32_e32 v1, s30, v0
	v_mul_lo_u32 v0, v1, s28
	v_sub_u32_e32 v0, v6, v0
	v_mul_lo_u32 v2, v0, s25
	s_andn2_b64 vcc, exec, s[44:45]
	v_mul_lo_u32 v0, v0, s24
	s_cbranch_vccnz .LBB21_232
; %bb.231:
	v_mul_hi_u32 v3, s42, v1
	v_add_u32_e32 v3, v1, v3
	v_lshrrev_b32_e32 v3, s43, v3
	v_mul_lo_u32 v3, v3, s31
	v_sub_u32_e32 v3, v1, v3
	v_mad_u64_u32 v[0:1], s[2:3], v3, s26, v[0:1]
	v_mad_u64_u32 v[2:3], s[2:3], v3, s27, v[2:3]
.LBB21_232:
	s_waitcnt lgkmcnt(0)
	global_load_dword v1, v2, s[22:23]
	s_mov_b32 s2, 0x40a00000
                                        ; implicit-def: $vgpr2
	s_waitcnt vmcnt(0)
	v_cmp_ge_f32_e32 vcc, s2, v1
	s_and_saveexec_b64 s[2:3], vcc
	s_xor_b64 s[4:5], exec, s[2:3]
	s_cbranch_execz .LBB21_242
; %bb.233:
	v_cmp_neq_f32_e32 vcc, 0, v1
	v_mov_b32_e32 v2, 0xff800000
	s_and_saveexec_b64 s[6:7], vcc
	s_cbranch_execz .LBB21_241
; %bb.234:
	v_cmp_ngt_f32_e32 vcc, 0, v1
	v_mov_b32_e32 v2, 0x7fc00000
	s_and_saveexec_b64 s[8:9], vcc
	s_cbranch_execz .LBB21_240
; %bb.235:
	v_mul_f32_e32 v2, v1, v1
	s_mov_b32 s2, 0x3727c5ac
	v_mul_f32_e32 v4, 0, v2
	v_cmp_ngt_f32_e32 vcc, s2, v1
                                        ; implicit-def: $vgpr3
	s_and_saveexec_b64 s[2:3], vcc
	s_xor_b64 s[2:3], exec, s[2:3]
	s_cbranch_execz .LBB21_237
; %bb.236:
	v_add_f32_e32 v3, 0x43f9c815, v4
	v_fmaak_f32 v3, v2, v3, 0x4829b65a
	v_fmaak_f32 v3, v2, v3, 0x4c38c9a1
	v_fmaak_f32 v3, v2, v3, 0x5026ad80
	s_mov_b32 s10, 0xcf8ee29d
	v_mul_f32_e32 v5, v2, v3
	s_mov_b32 s11, 0x53f5f59c
	v_pk_add_f32 v[8:9], v[4:5], s[10:11]
	s_mov_b32 s10, 0x53e3ba8e
	s_mov_b32 s11, 0x578d3514
	v_pk_fma_f32 v[8:9], v[2:3], v[8:9], s[10:11] op_sel_hi:[0,1,1]
	s_mov_b32 s10, 0xd762b0a7
	s_mov_b32 s11, 0x5ae20a0c
	v_pk_fma_f32 v[8:9], v[2:3], v[8:9], s[10:11] op_sel_hi:[0,1,1]
	;; [unrolled: 3-line block ×3, first 2 shown]
	s_mov_b32 s10, 0xc0b90fdc
	s_mov_b32 s11, 0xc1f3c525
	v_pk_add_f32 v[10:11], v[2:3], s[10:11] op_sel_hi:[0,1]
	v_mul_f32_e32 v3, v10, v11
	v_mul_f32_e32 v3, v3, v8
	v_div_scale_f32 v5, s[10:11], v9, v9, v3
	v_rcp_f32_e32 v7, v5
	s_nop 0
	v_fma_f32 v8, -v5, v7, 1.0
	v_fmac_f32_e32 v7, v8, v7
	v_div_scale_f32 v8, vcc, v3, v9, v3
	v_mul_f32_e32 v10, v8, v7
	v_fma_f32 v11, -v5, v10, v8
	v_fmac_f32_e32 v10, v11, v7
	v_fma_f32 v5, -v5, v10, v8
	v_div_fmas_f32 v5, v5, v7, v10
	v_div_fixup_f32 v3, v5, v9, v3
.LBB21_237:
	s_andn2_saveexec_b64 s[2:3], s[2:3]
; %bb.238:
	v_mov_b32_e32 v3, 1.0
	v_fmamk_f32 v3, v2, 0xbe800000, v3
; %bb.239:
	s_or_b64 exec, exec, s[2:3]
	v_add_f32_e32 v5, 0x4673a1bf, v4
	v_fmaak_f32 v5, v2, v5, 0xcb5fc0fa
	v_add_f32_e32 v4, 0x44822913, v4
	v_fmaak_f32 v5, v2, v5, 0x4fa1fbc8
	v_fmaak_f32 v4, v2, v4, 0x4918dbb5
	;; [unrolled: 1-line block ×12, first 2 shown]
	v_div_scale_f32 v5, s[2:3], v4, v4, v2
	v_rcp_f32_e32 v7, v5
	s_mov_b32 s2, 0x800000
	v_cmp_gt_f32_e64 s[2:3], s2, v1
	s_mov_b32 s10, 0x3f317217
	v_fma_f32 v8, -v5, v7, 1.0
	v_fmac_f32_e32 v7, v8, v7
	v_div_scale_f32 v8, vcc, v2, v4, v2
	v_mul_f32_e32 v9, v8, v7
	v_fma_f32 v10, -v5, v9, v8
	v_fmac_f32_e32 v9, v10, v7
	v_fma_f32 v5, -v5, v9, v8
	v_mov_b32_e32 v8, 0x4f800000
	v_cndmask_b32_e64 v8, 1.0, v8, s[2:3]
	v_mul_f32_e32 v1, v1, v8
	v_log_f32_e32 v1, v1
	v_div_fmas_f32 v5, v5, v7, v9
	v_div_fixup_f32 v2, v5, v4, v2
	v_mul_f32_e32 v4, 0x3f317217, v1
	v_fma_f32 v5, v1, s10, -v4
	v_fmamk_f32 v5, v1, 0x3377d1cf, v5
	s_mov_b32 s10, 0x7f800000
	v_add_f32_e32 v4, v4, v5
	v_cmp_lt_f32_e64 vcc, |v1|, s10
	s_nop 1
	v_cndmask_b32_e32 v1, v1, v4, vcc
	v_mov_b32_e32 v4, 0x41b17218
	v_cndmask_b32_e64 v4, 0, v4, s[2:3]
	v_sub_f32_e32 v1, v1, v4
	v_mul_f32_e32 v1, 0x3f22f983, v1
	v_fmac_f32_e32 v2, v1, v3
.LBB21_240:
	s_or_b64 exec, exec, s[8:9]
.LBB21_241:
	s_or_b64 exec, exec, s[6:7]
                                        ; implicit-def: $vgpr1
.LBB21_242:
	s_andn2_saveexec_b64 s[8:9], s[4:5]
	s_cbranch_execz .LBB21_252
; %bb.243:
	v_add_f32_e32 v2, 0xbf490fdb, v1
	s_brev_b32 s2, 18
	v_and_b32_e32 v3, 0x7fffffff, v2
	v_cmp_nlt_f32_e64 s[10:11], |v2|, s2
                                        ; implicit-def: $vgpr4
                                        ; implicit-def: $vgpr5
	s_and_saveexec_b64 s[2:3], s[10:11]
	s_xor_b64 s[12:13], exec, s[2:3]
	s_cbranch_execz .LBB21_245
; %bb.244:
	v_lshrrev_b32_e32 v4, 23, v3
	v_add_u32_e32 v4, 0xffffff88, v4
	v_not_b32_e32 v7, 63
	v_cmp_lt_u32_e32 vcc, 63, v4
	s_mov_b32 s6, 0xfe5163ab
	v_mov_b32_e32 v5, 0
	v_cndmask_b32_e32 v7, 0, v7, vcc
	v_add_u32_e32 v4, v7, v4
	v_not_b32_e32 v7, 31
	v_cmp_lt_u32_e64 s[2:3], 31, v4
	s_nop 1
	v_cndmask_b32_e64 v8, 0, v7, s[2:3]
	v_add_u32_e32 v4, v8, v4
	v_cmp_lt_u32_e64 s[4:5], 31, v4
	s_nop 1
	v_cndmask_b32_e64 v7, 0, v7, s[4:5]
	v_add_u32_e32 v7, v7, v4
	v_and_b32_e32 v4, 0x7fffff, v3
	v_or_b32_e32 v20, 0x800000, v4
	v_mad_u64_u32 v[8:9], s[6:7], v20, s6, 0
	v_mov_b32_e32 v4, v9
	s_mov_b32 s6, 0x3c439041
	v_mad_u64_u32 v[10:11], s[6:7], v20, s6, v[4:5]
	v_mov_b32_e32 v4, v11
	s_mov_b32 s6, 0xdb629599
	v_mad_u64_u32 v[12:13], s[6:7], v20, s6, v[4:5]
	v_mov_b32_e32 v4, v13
	s_mov_b32 s6, 0xf534ddc0
	v_mad_u64_u32 v[14:15], s[6:7], v20, s6, v[4:5]
	v_mov_b32_e32 v4, v15
	s_mov_b32 s6, 0xfc2757d1
	v_mad_u64_u32 v[16:17], s[6:7], v20, s6, v[4:5]
	v_mov_b32_e32 v4, v17
	s_mov_b32 s6, 0x4e441529
	v_mad_u64_u32 v[18:19], s[6:7], v20, s6, v[4:5]
	v_mov_b32_e32 v4, v19
	s_mov_b32 s6, 0xa2f9836e
	v_mad_u64_u32 v[4:5], s[6:7], v20, s6, v[4:5]
	v_cndmask_b32_e32 v9, v18, v14, vcc
	v_cndmask_b32_e32 v4, v4, v16, vcc
	;; [unrolled: 1-line block ×3, first 2 shown]
	v_cndmask_b32_e64 v11, v4, v9, s[2:3]
	v_cndmask_b32_e64 v4, v5, v4, s[2:3]
	v_cndmask_b32_e32 v5, v16, v12, vcc
	v_cndmask_b32_e64 v9, v9, v5, s[2:3]
	v_sub_u32_e32 v13, 32, v7
	v_cmp_eq_u32_e64 s[6:7], 0, v7
	v_cndmask_b32_e32 v7, v14, v10, vcc
	v_cndmask_b32_e64 v4, v4, v11, s[4:5]
	v_cndmask_b32_e64 v11, v11, v9, s[4:5]
	;; [unrolled: 1-line block ×3, first 2 shown]
	v_alignbit_b32 v15, v4, v11, v13
	v_cndmask_b32_e64 v9, v9, v5, s[4:5]
	v_cndmask_b32_e64 v4, v15, v4, s[6:7]
	v_alignbit_b32 v10, v11, v9, v13
	v_cndmask_b32_e32 v8, v12, v8, vcc
	v_cndmask_b32_e64 v10, v10, v11, s[6:7]
	v_bfe_u32 v15, v4, 29, 1
	v_cndmask_b32_e64 v7, v7, v8, s[2:3]
	v_alignbit_b32 v11, v4, v10, 30
	v_sub_u32_e32 v16, 0, v15
	v_cndmask_b32_e64 v5, v5, v7, s[4:5]
	v_xor_b32_e32 v17, v11, v16
	v_alignbit_b32 v7, v9, v5, v13
	v_cndmask_b32_e64 v7, v7, v9, s[6:7]
	v_ffbh_u32_e32 v9, v17
	v_add_u32_e32 v9, 1, v9
	v_cmp_ne_u32_e32 vcc, v11, v16
	v_alignbit_b32 v8, v10, v7, 30
	v_alignbit_b32 v5, v7, v5, 30
	v_cndmask_b32_e32 v9, 33, v9, vcc
	v_xor_b32_e32 v8, v8, v16
	v_sub_u32_e32 v10, 32, v9
	v_xor_b32_e32 v5, v5, v16
	v_alignbit_b32 v11, v17, v8, v10
	v_alignbit_b32 v5, v8, v5, v10
	;; [unrolled: 1-line block ×3, first 2 shown]
	v_ffbh_u32_e32 v8, v7
	v_min_u32_e32 v8, 32, v8
	v_lshrrev_b32_e32 v14, 29, v4
	v_sub_u32_e32 v10, 31, v8
	v_alignbit_b32 v5, v7, v5, v10
	v_lshlrev_b32_e32 v7, 31, v14
	v_or_b32_e32 v10, 0x33800000, v7
	v_add_lshl_u32 v8, v8, v9, 23
	v_lshrrev_b32_e32 v5, 9, v5
	v_sub_u32_e32 v8, v10, v8
	v_or_b32_e32 v5, v8, v5
	v_alignbit_b32 v8, v9, v11, 9
	v_or_b32_e32 v7, v8, v7
	v_xor_b32_e32 v7, 1.0, v7
	s_mov_b32 s2, 0x3fc90fda
	v_mul_f32_e32 v8, 0x3fc90fda, v7
	v_fma_f32 v9, v7, s2, -v8
	v_fmamk_f32 v7, v7, 0x33a22168, v9
	v_fmac_f32_e32 v7, 0x3fc90fda, v5
	v_lshrrev_b32_e32 v4, 30, v4
	v_add_f32_e32 v5, v8, v7
	v_add_u32_e32 v4, v15, v4
	s_andn2_saveexec_b64 s[2:3], s[12:13]
	s_branch .LBB21_246
.LBB21_245:
	s_andn2_saveexec_b64 s[2:3], s[12:13]
.LBB21_246:
	s_mov_b32 s4, 0x3f22f983
	v_mul_f32_e64 v4, |v2|, s4
	v_rndne_f32_e32 v5, v4
	s_mov_b32 s4, 0xbfc90fda
	v_cvt_i32_f32_e32 v4, v5
	v_fma_f32 v7, v5, s4, |v2|
	v_fmamk_f32 v7, v5, 0xb3a22168, v7
	v_fmamk_f32 v5, v5, 0xa7c234c4, v7
; %bb.247:
	s_or_b64 exec, exec, s[2:3]
                                        ; implicit-def: $vgpr7
                                        ; implicit-def: $vgpr8
	s_and_saveexec_b64 s[2:3], s[10:11]
	s_xor_b64 s[10:11], exec, s[2:3]
	s_cbranch_execz .LBB21_249
; %bb.248:
	v_lshrrev_b32_e32 v7, 23, v3
	v_add_u32_e32 v7, 0xffffff88, v7
	v_not_b32_e32 v8, 63
	v_cmp_lt_u32_e32 vcc, 63, v7
	s_mov_b32 s6, 0xfe5163ab
	v_mov_b32_e32 v9, 0
	v_cndmask_b32_e32 v8, 0, v8, vcc
	v_add_u32_e32 v7, v8, v7
	v_not_b32_e32 v8, 31
	v_cmp_lt_u32_e64 s[2:3], 31, v7
	s_nop 1
	v_cndmask_b32_e64 v10, 0, v8, s[2:3]
	v_add_u32_e32 v7, v10, v7
	v_cmp_lt_u32_e64 s[4:5], 31, v7
	s_nop 1
	v_cndmask_b32_e64 v8, 0, v8, s[4:5]
	v_add_u32_e32 v7, v8, v7
	v_and_b32_e32 v8, 0x7fffff, v3
	v_or_b32_e32 v22, 0x800000, v8
	v_mad_u64_u32 v[10:11], s[6:7], v22, s6, 0
	v_mov_b32_e32 v8, v11
	s_mov_b32 s6, 0x3c439041
	v_mad_u64_u32 v[12:13], s[6:7], v22, s6, v[8:9]
	v_mov_b32_e32 v8, v13
	s_mov_b32 s6, 0xdb629599
	;; [unrolled: 3-line block ×6, first 2 shown]
	v_mad_u64_u32 v[8:9], s[6:7], v22, s6, v[8:9]
	v_cndmask_b32_e32 v11, v20, v16, vcc
	v_cndmask_b32_e32 v8, v8, v18, vcc
	;; [unrolled: 1-line block ×3, first 2 shown]
	v_cndmask_b32_e64 v13, v8, v11, s[2:3]
	v_cndmask_b32_e64 v8, v9, v8, s[2:3]
	v_cndmask_b32_e32 v9, v18, v14, vcc
	v_cndmask_b32_e64 v11, v11, v9, s[2:3]
	v_cndmask_b32_e64 v8, v8, v13, s[4:5]
	;; [unrolled: 1-line block ×3, first 2 shown]
	v_sub_u32_e32 v15, 32, v7
	v_alignbit_b32 v17, v8, v13, v15
	v_cmp_eq_u32_e64 s[6:7], 0, v7
	v_cndmask_b32_e32 v10, v14, v10, vcc
	s_nop 0
	v_cndmask_b32_e64 v7, v17, v8, s[6:7]
	v_cndmask_b32_e32 v8, v16, v12, vcc
	v_cndmask_b32_e64 v9, v9, v8, s[2:3]
	v_cndmask_b32_e64 v11, v11, v9, s[4:5]
	v_alignbit_b32 v12, v13, v11, v15
	v_cndmask_b32_e64 v12, v12, v13, s[6:7]
	v_bfe_u32 v17, v7, 29, 1
	v_cndmask_b32_e64 v8, v8, v10, s[2:3]
	v_alignbit_b32 v13, v7, v12, 30
	v_sub_u32_e32 v18, 0, v17
	v_cndmask_b32_e64 v8, v9, v8, s[4:5]
	v_xor_b32_e32 v19, v13, v18
	v_alignbit_b32 v9, v11, v8, v15
	v_cndmask_b32_e64 v9, v9, v11, s[6:7]
	v_ffbh_u32_e32 v11, v19
	v_add_u32_e32 v11, 1, v11
	v_cmp_ne_u32_e32 vcc, v13, v18
	v_alignbit_b32 v10, v12, v9, 30
	v_alignbit_b32 v8, v9, v8, 30
	v_cndmask_b32_e32 v11, 33, v11, vcc
	v_xor_b32_e32 v10, v10, v18
	v_sub_u32_e32 v12, 32, v11
	v_xor_b32_e32 v8, v8, v18
	v_alignbit_b32 v13, v19, v10, v12
	v_alignbit_b32 v8, v10, v8, v12
	;; [unrolled: 1-line block ×3, first 2 shown]
	v_ffbh_u32_e32 v10, v9
	v_min_u32_e32 v10, 32, v10
	v_lshrrev_b32_e32 v16, 29, v7
	v_sub_u32_e32 v12, 31, v10
	v_alignbit_b32 v8, v9, v8, v12
	v_lshlrev_b32_e32 v9, 31, v16
	v_or_b32_e32 v12, 0x33800000, v9
	v_add_lshl_u32 v10, v10, v11, 23
	v_lshrrev_b32_e32 v8, 9, v8
	v_sub_u32_e32 v10, v12, v10
	v_or_b32_e32 v8, v10, v8
	v_alignbit_b32 v10, v11, v13, 9
	v_or_b32_e32 v9, v10, v9
	v_xor_b32_e32 v9, 1.0, v9
	s_mov_b32 s2, 0x3fc90fda
	v_mul_f32_e32 v10, 0x3fc90fda, v9
	v_fma_f32 v11, v9, s2, -v10
	v_fmamk_f32 v9, v9, 0x33a22168, v11
	v_fmac_f32_e32 v9, 0x3fc90fda, v8
	v_lshrrev_b32_e32 v7, 30, v7
	v_add_f32_e32 v8, v10, v9
	v_add_u32_e32 v7, v17, v7
	s_andn2_saveexec_b64 s[2:3], s[10:11]
	s_cbranch_execnz .LBB21_250
	s_branch .LBB21_251
.LBB21_249:
	s_andn2_saveexec_b64 s[2:3], s[10:11]
.LBB21_250:
	s_mov_b32 s4, 0x3f22f983
	v_mul_f32_e64 v7, |v2|, s4
	v_rndne_f32_e32 v8, v7
	s_mov_b32 s4, 0xbfc90fda
	v_cvt_i32_f32_e32 v7, v8
	v_fma_f32 v9, v8, s4, |v2|
	v_fmamk_f32 v9, v8, 0xb3a22168, v9
	v_fmamk_f32 v8, v8, 0xa7c234c4, v9
.LBB21_251:
	s_or_b64 exec, exec, s[2:3]
	v_mul_f32_e32 v9, v1, v1
	s_mov_b32 s4, 0x41c80000
	v_div_scale_f32 v10, s[2:3], v9, v9, s4
	v_rcp_f32_e32 v11, v10
	v_xor_b32_e32 v3, v3, v2
	s_mov_b32 s6, 0x40a00000
	v_mov_b32_e32 v18, 0xbf000004
	v_fma_f32 v12, -v10, v11, 1.0
	v_fmac_f32_e32 v11, v12, v11
	v_div_scale_f32 v12, vcc, s4, v9, s4
	v_mul_f32_e32 v13, v12, v11
	v_fma_f32 v14, -v10, v13, v12
	v_fmac_f32_e32 v13, v14, v11
	v_fma_f32 v10, -v10, v13, v12
	v_div_fmas_f32 v10, v10, v11, v13
	v_div_fixup_f32 v9, v10, v9, s4
	v_mov_b32_e32 v10, 0x3a50e985
	v_mov_b32_e32 v11, 0x3a725406
	v_fmac_f32_e32 v10, 0, v9
	v_fmac_f32_e32 v11, 0, v9
	v_fmaak_f32 v10, v9, v10, 0x3da9a586
	v_fmaak_f32 v11, v9, v11, 0x3daf5e2d
	;; [unrolled: 1-line block ×8, first 2 shown]
	v_mov_b32_e32 v12, 0xbc3a3a12
	v_fmaak_f32 v10, v9, v10, 0x40a9b425
	v_fmaak_f32 v11, v9, v11, 0x40a9cb2f
	v_fmac_f32_e32 v12, 0, v9
	v_mov_b32_e32 v13, 0x4280a2ba
	v_fma_f32 v11, v9, v11, 1.0
	v_fmaak_f32 v12, v9, v12, 0xbfa429da
	v_fmac_f32_e32 v13, 0, v9
	v_fma_f32 v10, v9, v10, 1.0
	v_fmaak_f32 v12, v9, v12, 0xc19c6e80
	v_fmaak_f32 v13, v9, v13, 0x44561b86
	v_div_scale_f32 v14, s[2:3], v11, v11, v10
	v_fmaak_f32 v12, v9, v12, 0xc2ba697b
	v_fmaak_f32 v13, v9, v13, 0x4572a66e
	v_rcp_f32_e32 v15, v14
	v_fmaak_f32 v12, v9, v12, 0xc331ae61
	v_fmaak_f32 v13, v9, v13, 0x45e243be
	;; [unrolled: 1-line block ×8, first 2 shown]
	v_fma_f32 v13, -v14, v15, 1.0
	v_fmac_f32_e32 v15, v13, v15
	v_div_scale_f32 v13, vcc, v10, v11, v10
	v_mul_f32_e32 v16, v13, v15
	v_fma_f32 v17, -v14, v16, v13
	v_fmac_f32_e32 v16, v17, v15
	v_fma_f32 v13, -v14, v16, v13
	v_div_fmas_f32 v13, v13, v15, v16
	v_div_fixup_f32 v10, v13, v11, v10
	v_mul_f32_e32 v11, v5, v5
	v_mov_b32_e32 v13, 0x3c0881c4
	v_fmamk_f32 v14, v11, 0xb94c1982, v13
	v_fmaak_f32 v14, v11, v14, 0xbe2aaa9d
	v_mul_f32_e32 v14, v11, v14
	v_fmac_f32_e32 v5, v5, v14
	v_mov_b32_e32 v14, 0xbab64f3b
	v_fmamk_f32 v16, v11, 0x37d75334, v14
	v_fmaak_f32 v16, v11, v16, 0x3d2aabf7
	v_fmaak_f32 v16, v11, v16, 0xbf000004
	v_fma_f32 v11, v11, v16, 1.0
	v_and_b32_e32 v16, 1, v4
	v_lshlrev_b32_e32 v4, 30, v4
	v_cmp_eq_u32_e32 vcc, 0, v16
	v_and_b32_e32 v4, 0x80000000, v4
	v_xor_b32_e32 v3, v3, v4
	v_cndmask_b32_e32 v5, v11, v5, vcc
	v_div_scale_f32 v4, s[2:3], v1, v1, s6
	v_xor_b32_e32 v3, v3, v5
	v_rcp_f32_e32 v5, v4
	s_movk_i32 s4, 0x1f8
	v_mov_b32_e32 v11, 0x7fc00000
	v_cmp_class_f32_e64 s[2:3], v2, s4
	v_mov_b32_e32 v15, 0xbe2aaa9d
	v_mov_b32_e32 v17, 0x3d2aabf7
	v_cndmask_b32_e64 v2, v11, v3, s[2:3]
	v_fma_f32 v3, -v4, v5, 1.0
	v_fmac_f32_e32 v5, v3, v5
	v_div_scale_f32 v3, vcc, s6, v1, s6
	v_mul_f32_e32 v16, v3, v5
	v_fma_f32 v19, -v4, v16, v3
	v_fmac_f32_e32 v16, v19, v5
	v_fma_f32 v3, -v4, v16, v3
	v_div_scale_f32 v4, s[4:5], v9, v9, v12
	v_rcp_f32_e32 v19, v4
	v_div_fmas_f32 v3, v3, v5, v16
	v_div_fixup_f32 v3, v3, v1, s6
	v_fma_f32 v5, -v4, v19, 1.0
	v_fmac_f32_e32 v19, v5, v19
	v_div_scale_f32 v5, vcc, v12, v9, v12
	v_mul_f32_e32 v16, v5, v19
	v_fma_f32 v20, -v4, v16, v5
	v_fmac_f32_e32 v16, v20, v19
	v_fma_f32 v4, -v4, v16, v5
	v_div_fmas_f32 v4, v4, v19, v16
	v_div_fixup_f32 v4, v4, v9, v12
	v_mul_f32_e32 v3, v3, v4
	v_mul_f32_e32 v4, v8, v8
	v_fmac_f32_e32 v13, 0xb94c1982, v4
	v_fmac_f32_e32 v15, v4, v13
	;; [unrolled: 1-line block ×3, first 2 shown]
	v_mul_f32_e32 v5, v4, v15
	v_fmac_f32_e32 v17, v4, v14
	v_fmac_f32_e32 v8, v8, v5
	;; [unrolled: 1-line block ×3, first 2 shown]
	v_and_b32_e32 v5, 1, v7
	v_fma_f32 v4, v4, v18, 1.0
	v_cmp_eq_u32_e32 vcc, 0, v5
	v_lshlrev_b32_e32 v5, 30, v7
	v_and_b32_e32 v5, 0x80000000, v5
	v_cndmask_b32_e64 v4, -v8, v4, vcc
	v_xor_b32_e32 v4, v5, v4
	v_cndmask_b32_e64 v4, v11, v4, s[2:3]
	s_mov_b32 s2, 0xf800000
	v_mul_f32_e32 v5, 0x4f800000, v1
	v_cmp_gt_f32_e32 vcc, s2, v1
	v_mul_f32_e32 v3, v3, v4
	v_fmac_f32_e32 v3, v10, v2
	v_cndmask_b32_e32 v1, v1, v5, vcc
	v_sqrt_f32_e32 v5, v1
	v_mul_f32_e32 v2, 0x3f4c422a, v3
	v_add_u32_e32 v3, -1, v5
	v_fma_f32 v4, -v3, v5, v1
	v_cmp_ge_f32_e64 s[2:3], 0, v4
	v_add_u32_e32 v4, 1, v5
	s_nop 0
	v_cndmask_b32_e64 v3, v5, v3, s[2:3]
	v_fma_f32 v5, -v4, v5, v1
	v_cmp_lt_f32_e64 s[2:3], 0, v5
	s_nop 1
	v_cndmask_b32_e64 v3, v3, v4, s[2:3]
	v_mul_f32_e32 v4, 0x37800000, v3
	v_cndmask_b32_e32 v3, v3, v4, vcc
	v_mov_b32_e32 v4, 0x260
	v_cmp_class_f32_e32 vcc, v1, v4
	s_nop 1
	v_cndmask_b32_e32 v1, v3, v1, vcc
	v_div_scale_f32 v3, s[2:3], v1, v1, v2
	v_rcp_f32_e32 v4, v3
	s_nop 0
	v_fma_f32 v5, -v3, v4, 1.0
	v_fmac_f32_e32 v4, v5, v4
	v_div_scale_f32 v5, vcc, v2, v1, v2
	v_mul_f32_e32 v7, v5, v4
	v_fma_f32 v8, -v3, v7, v5
	v_fmac_f32_e32 v7, v8, v4
	v_fma_f32 v3, -v3, v7, v5
	v_div_fmas_f32 v3, v3, v4, v7
	v_div_fixup_f32 v2, v3, v1, v2
.LBB21_252:
	s_or_b64 exec, exec, s[8:9]
	v_add_u32_e32 v6, 0x80, v6
	global_store_dword v0, v2, s[20:21]
	s_or_b64 exec, exec, s[50:51]
	v_cmp_gt_i32_e32 vcc, s57, v6
	s_and_saveexec_b64 s[50:51], vcc
	s_cbranch_execz .LBB21_222
.LBB21_253:
	s_andn2_b64 vcc, exec, s[34:35]
	s_cbranch_vccnz .LBB21_259
; %bb.254:
	s_mov_b32 s2, 0
	s_andn2_b64 vcc, exec, s[48:49]
	v_mov_b32_e32 v2, 0
	v_mov_b32_e32 v0, 0
	s_cbranch_vccnz .LBB21_265
; %bb.255:
	s_add_i32 s58, s58, 1
	s_cmp_eq_u32 s56, 2
	s_cbranch_scc1 .LBB21_260
; %bb.256:
	s_and_b32 s2, s58, 28
	s_mov_b32 s3, 0
	v_mov_b32_e32 v0, 0
	s_mov_b64 s[48:49], s[0:1]
	v_mov_b32_e32 v3, v6
	v_mov_b32_e32 v2, 0
.LBB21_257:                             ; =>This Inner Loop Header: Depth=1
	s_load_dwordx8 s[12:19], s[48:49], 0x4
	s_load_dwordx4 s[36:39], s[48:49], 0x24
	s_load_dwordx8 s[4:11], s[46:47], 0x0
	s_add_u32 s48, s48, 48
	s_addc_u32 s49, s49, 0
	s_waitcnt lgkmcnt(0)
	v_mul_hi_u32 v1, s13, v3
	v_add_u32_e32 v1, v3, v1
	v_lshrrev_b32_e32 v1, s14, v1
	v_mul_lo_u32 v4, v1, s12
	v_mul_hi_u32 v5, s16, v1
	v_sub_u32_e32 v3, v3, v4
	v_add_u32_e32 v4, v1, v5
	v_lshrrev_b32_e32 v4, s17, v4
	v_mul_lo_u32 v7, v4, s15
	v_mul_hi_u32 v8, s19, v4
	v_sub_u32_e32 v1, v1, v7
	v_add_u32_e32 v7, v4, v8
	v_mul_lo_u32 v5, v3, s5
	v_mul_lo_u32 v3, v3, s4
	;; [unrolled: 1-line block ×4, first 2 shown]
	v_lshrrev_b32_e32 v7, s36, v7
	v_add3_u32 v0, v3, v0, v1
	v_mul_hi_u32 v3, s38, v7
	v_add_u32_e32 v3, v7, v3
	v_lshrrev_b32_e32 v3, s39, v3
	s_add_i32 s3, s3, 4
	v_add3_u32 v1, v5, v2, v8
	v_mul_lo_u32 v2, v7, s18
	v_mul_lo_u32 v5, v3, s37
	s_add_u32 s46, s46, 32
	v_sub_u32_e32 v2, v4, v2
	v_sub_u32_e32 v5, v7, v5
	s_addc_u32 s47, s47, 0
	v_mul_lo_u32 v4, v2, s8
	v_mul_lo_u32 v2, v2, s9
	;; [unrolled: 1-line block ×4, first 2 shown]
	s_cmp_eq_u32 s2, s3
	v_add3_u32 v2, v2, v1, v5
	v_add3_u32 v0, v4, v0, v7
	s_cbranch_scc0 .LBB21_257
; %bb.258:
	v_mov_b32_e32 v1, v2
	s_branch .LBB21_261
.LBB21_259:
                                        ; implicit-def: $vgpr2
                                        ; implicit-def: $vgpr0
	s_branch .LBB21_266
.LBB21_260:
	s_mov_b32 s3, s2
	v_mov_b64_e32 v[0:1], s[2:3]
                                        ; implicit-def: $vgpr2
	v_mov_b32_e32 v3, v6
.LBB21_261:
	s_and_b32 s6, s58, 3
	s_cmp_eq_u32 s6, 0
	s_cbranch_scc1 .LBB21_265
; %bb.262:
	s_lshl_b32 s3, s2, 3
	s_add_u32 s3, s3, s0
	s_addc_u32 s5, s1, 0
	s_add_u32 s4, s3, 0xc4
	s_addc_u32 s5, s5, 0
	s_mul_i32 s2, s2, 12
	s_add_u32 s2, s0, s2
	s_addc_u32 s3, s1, 0
.LBB21_263:                             ; =>This Inner Loop Header: Depth=1
	s_load_dwordx2 s[8:9], s[2:3], 0x4
	s_load_dword s7, s[2:3], 0xc
	s_load_dwordx2 s[10:11], s[4:5], 0x0
	v_mov_b32_e32 v2, v1
	s_add_u32 s2, s2, 12
	s_waitcnt lgkmcnt(0)
	v_mul_hi_u32 v1, s9, v3
	v_add_u32_e32 v1, v3, v1
	v_lshrrev_b32_e32 v1, s7, v1
	s_addc_u32 s3, s3, 0
	v_mul_lo_u32 v4, v1, s8
	s_add_u32 s4, s4, 8
	v_sub_u32_e32 v7, v3, v4
	v_mov_b32_e32 v3, v1
	s_addc_u32 s5, s5, 0
	s_add_i32 s6, s6, -1
	v_mad_u64_u32 v[4:5], s[8:9], v7, s11, v[2:3]
	v_mad_u64_u32 v[0:1], s[8:9], v7, s10, v[0:1]
	s_cmp_lg_u32 s6, 0
	v_mov_b32_e32 v1, v4
	s_cbranch_scc1 .LBB21_263
; %bb.264:
	v_mov_b32_e32 v2, v1
.LBB21_265:
	s_cbranch_execnz .LBB21_268
.LBB21_266:
	s_waitcnt lgkmcnt(0)
	v_mul_hi_u32 v0, s29, v6
	v_add_u32_e32 v0, v6, v0
	v_lshrrev_b32_e32 v1, s30, v0
	v_mul_lo_u32 v0, v1, s28
	v_sub_u32_e32 v0, v6, v0
	v_mul_lo_u32 v2, v0, s25
	s_andn2_b64 vcc, exec, s[44:45]
	v_mul_lo_u32 v0, v0, s24
	s_cbranch_vccnz .LBB21_268
; %bb.267:
	v_mul_hi_u32 v3, s42, v1
	v_add_u32_e32 v3, v1, v3
	v_lshrrev_b32_e32 v3, s43, v3
	v_mul_lo_u32 v3, v3, s31
	v_sub_u32_e32 v3, v1, v3
	v_mad_u64_u32 v[0:1], s[2:3], v3, s26, v[0:1]
	v_mad_u64_u32 v[2:3], s[2:3], v3, s27, v[2:3]
.LBB21_268:
	s_waitcnt lgkmcnt(0)
	global_load_dword v1, v2, s[22:23]
	s_mov_b32 s2, 0x40a00000
                                        ; implicit-def: $vgpr2
	s_waitcnt vmcnt(0)
	v_cmp_ge_f32_e32 vcc, s2, v1
	s_and_saveexec_b64 s[2:3], vcc
	s_xor_b64 s[4:5], exec, s[2:3]
	s_cbranch_execz .LBB21_278
; %bb.269:
	v_cmp_neq_f32_e32 vcc, 0, v1
	v_mov_b32_e32 v2, 0xff800000
	s_and_saveexec_b64 s[6:7], vcc
	s_cbranch_execz .LBB21_277
; %bb.270:
	v_cmp_ngt_f32_e32 vcc, 0, v1
	v_mov_b32_e32 v2, 0x7fc00000
	s_and_saveexec_b64 s[8:9], vcc
	s_cbranch_execz .LBB21_276
; %bb.271:
	v_mul_f32_e32 v2, v1, v1
	s_mov_b32 s2, 0x3727c5ac
	v_mul_f32_e32 v4, 0, v2
	v_cmp_ngt_f32_e32 vcc, s2, v1
                                        ; implicit-def: $vgpr3
	s_and_saveexec_b64 s[2:3], vcc
	s_xor_b64 s[2:3], exec, s[2:3]
	s_cbranch_execz .LBB21_273
; %bb.272:
	v_add_f32_e32 v3, 0x43f9c815, v4
	v_fmaak_f32 v3, v2, v3, 0x4829b65a
	v_fmaak_f32 v3, v2, v3, 0x4c38c9a1
	v_fmaak_f32 v3, v2, v3, 0x5026ad80
	s_mov_b32 s10, 0xcf8ee29d
	v_mul_f32_e32 v5, v2, v3
	s_mov_b32 s11, 0x53f5f59c
	v_pk_add_f32 v[6:7], v[4:5], s[10:11]
	s_mov_b32 s10, 0x53e3ba8e
	s_mov_b32 s11, 0x578d3514
	v_pk_fma_f32 v[6:7], v[2:3], v[6:7], s[10:11] op_sel_hi:[0,1,1]
	s_mov_b32 s10, 0xd762b0a7
	s_mov_b32 s11, 0x5ae20a0c
	v_pk_fma_f32 v[6:7], v[2:3], v[6:7], s[10:11] op_sel_hi:[0,1,1]
	;; [unrolled: 3-line block ×3, first 2 shown]
	s_mov_b32 s10, 0xc0b90fdc
	s_mov_b32 s11, 0xc1f3c525
	v_pk_add_f32 v[8:9], v[2:3], s[10:11] op_sel_hi:[0,1]
	v_mul_f32_e32 v3, v8, v9
	v_mul_f32_e32 v3, v3, v6
	v_div_scale_f32 v5, s[10:11], v7, v7, v3
	v_rcp_f32_e32 v6, v5
	s_nop 0
	v_fma_f32 v8, -v5, v6, 1.0
	v_fmac_f32_e32 v6, v8, v6
	v_div_scale_f32 v8, vcc, v3, v7, v3
	v_mul_f32_e32 v9, v8, v6
	v_fma_f32 v10, -v5, v9, v8
	v_fmac_f32_e32 v9, v10, v6
	v_fma_f32 v5, -v5, v9, v8
	v_div_fmas_f32 v5, v5, v6, v9
	v_div_fixup_f32 v3, v5, v7, v3
.LBB21_273:
	s_andn2_saveexec_b64 s[2:3], s[2:3]
; %bb.274:
	v_mov_b32_e32 v3, 1.0
	v_fmamk_f32 v3, v2, 0xbe800000, v3
; %bb.275:
	s_or_b64 exec, exec, s[2:3]
	v_add_f32_e32 v5, 0x4673a1bf, v4
	v_fmaak_f32 v5, v2, v5, 0xcb5fc0fa
	v_add_f32_e32 v4, 0x44822913, v4
	v_fmaak_f32 v5, v2, v5, 0x4fa1fbc8
	v_fmaak_f32 v4, v2, v4, 0x4918dbb5
	;; [unrolled: 1-line block ×12, first 2 shown]
	v_div_scale_f32 v5, s[2:3], v4, v4, v2
	v_rcp_f32_e32 v6, v5
	s_mov_b32 s2, 0x800000
	v_cmp_gt_f32_e64 s[2:3], s2, v1
	s_mov_b32 s10, 0x3f317217
	v_fma_f32 v7, -v5, v6, 1.0
	v_fmac_f32_e32 v6, v7, v6
	v_div_scale_f32 v7, vcc, v2, v4, v2
	v_mul_f32_e32 v8, v7, v6
	v_fma_f32 v9, -v5, v8, v7
	v_fmac_f32_e32 v8, v9, v6
	v_fma_f32 v5, -v5, v8, v7
	v_mov_b32_e32 v7, 0x4f800000
	v_cndmask_b32_e64 v7, 1.0, v7, s[2:3]
	v_mul_f32_e32 v1, v1, v7
	v_log_f32_e32 v1, v1
	v_div_fmas_f32 v5, v5, v6, v8
	v_div_fixup_f32 v2, v5, v4, v2
	v_mul_f32_e32 v4, 0x3f317217, v1
	v_fma_f32 v5, v1, s10, -v4
	v_fmamk_f32 v5, v1, 0x3377d1cf, v5
	s_mov_b32 s10, 0x7f800000
	v_add_f32_e32 v4, v4, v5
	v_cmp_lt_f32_e64 vcc, |v1|, s10
	s_nop 1
	v_cndmask_b32_e32 v1, v1, v4, vcc
	v_mov_b32_e32 v4, 0x41b17218
	v_cndmask_b32_e64 v4, 0, v4, s[2:3]
	v_sub_f32_e32 v1, v1, v4
	v_mul_f32_e32 v1, 0x3f22f983, v1
	v_fmac_f32_e32 v2, v1, v3
.LBB21_276:
	s_or_b64 exec, exec, s[8:9]
.LBB21_277:
	s_or_b64 exec, exec, s[6:7]
                                        ; implicit-def: $vgpr1
.LBB21_278:
	s_andn2_saveexec_b64 s[8:9], s[4:5]
	s_cbranch_execz .LBB21_288
; %bb.279:
	v_add_f32_e32 v2, 0xbf490fdb, v1
	s_brev_b32 s2, 18
	v_and_b32_e32 v3, 0x7fffffff, v2
	v_cmp_nlt_f32_e64 s[10:11], |v2|, s2
                                        ; implicit-def: $vgpr4
                                        ; implicit-def: $vgpr5
	s_and_saveexec_b64 s[2:3], s[10:11]
	s_xor_b64 s[12:13], exec, s[2:3]
	s_cbranch_execz .LBB21_281
; %bb.280:
	v_lshrrev_b32_e32 v4, 23, v3
	v_add_u32_e32 v4, 0xffffff88, v4
	v_not_b32_e32 v6, 63
	v_cmp_lt_u32_e32 vcc, 63, v4
	s_mov_b32 s6, 0xfe5163ab
	v_mov_b32_e32 v5, 0
	v_cndmask_b32_e32 v6, 0, v6, vcc
	v_add_u32_e32 v4, v6, v4
	v_not_b32_e32 v6, 31
	v_cmp_lt_u32_e64 s[2:3], 31, v4
	s_nop 1
	v_cndmask_b32_e64 v7, 0, v6, s[2:3]
	v_add_u32_e32 v4, v7, v4
	v_cmp_lt_u32_e64 s[4:5], 31, v4
	s_nop 1
	v_cndmask_b32_e64 v6, 0, v6, s[4:5]
	v_add_u32_e32 v18, v6, v4
	v_and_b32_e32 v4, 0x7fffff, v3
	v_or_b32_e32 v19, 0x800000, v4
	v_mad_u64_u32 v[6:7], s[6:7], v19, s6, 0
	v_mov_b32_e32 v4, v7
	s_mov_b32 s6, 0x3c439041
	v_mad_u64_u32 v[8:9], s[6:7], v19, s6, v[4:5]
	v_mov_b32_e32 v4, v9
	s_mov_b32 s6, 0xdb629599
	;; [unrolled: 3-line block ×6, first 2 shown]
	v_mad_u64_u32 v[4:5], s[6:7], v19, s6, v[4:5]
	v_cndmask_b32_e32 v7, v16, v12, vcc
	v_cndmask_b32_e32 v4, v4, v14, vcc
	;; [unrolled: 1-line block ×3, first 2 shown]
	v_cndmask_b32_e64 v9, v4, v7, s[2:3]
	v_cndmask_b32_e64 v4, v5, v4, s[2:3]
	v_cndmask_b32_e32 v5, v14, v10, vcc
	v_cndmask_b32_e64 v7, v7, v5, s[2:3]
	v_cndmask_b32_e32 v8, v12, v8, vcc
	v_cndmask_b32_e64 v4, v4, v9, s[4:5]
	v_cndmask_b32_e64 v9, v9, v7, s[4:5]
	v_sub_u32_e32 v11, 32, v18
	v_cndmask_b32_e64 v5, v5, v8, s[2:3]
	v_alignbit_b32 v13, v4, v9, v11
	v_cmp_eq_u32_e64 s[6:7], 0, v18
	v_cndmask_b32_e64 v7, v7, v5, s[4:5]
	v_alignbit_b32 v12, v9, v7, v11
	v_cndmask_b32_e64 v4, v13, v4, s[6:7]
	v_cndmask_b32_e64 v9, v12, v9, s[6:7]
	v_bfe_u32 v14, v4, 29, 1
	v_cndmask_b32_e32 v6, v10, v6, vcc
	v_alignbit_b32 v12, v4, v9, 30
	v_sub_u32_e32 v15, 0, v14
	v_cndmask_b32_e64 v6, v8, v6, s[2:3]
	v_xor_b32_e32 v16, v12, v15
	v_cndmask_b32_e64 v5, v5, v6, s[4:5]
	v_alignbit_b32 v6, v7, v5, v11
	v_ffbh_u32_e32 v8, v16
	v_cndmask_b32_e64 v6, v6, v7, s[6:7]
	v_add_u32_e32 v8, 1, v8
	v_cmp_ne_u32_e32 vcc, v12, v15
	v_alignbit_b32 v7, v9, v6, 30
	v_alignbit_b32 v5, v6, v5, 30
	v_cndmask_b32_e32 v8, 33, v8, vcc
	v_xor_b32_e32 v7, v7, v15
	v_sub_u32_e32 v9, 32, v8
	v_xor_b32_e32 v5, v5, v15
	v_alignbit_b32 v10, v16, v7, v9
	v_alignbit_b32 v5, v7, v5, v9
	;; [unrolled: 1-line block ×3, first 2 shown]
	v_ffbh_u32_e32 v7, v6
	v_min_u32_e32 v7, 32, v7
	v_lshrrev_b32_e32 v13, 29, v4
	v_sub_u32_e32 v9, 31, v7
	v_alignbit_b32 v5, v6, v5, v9
	v_lshlrev_b32_e32 v6, 31, v13
	v_or_b32_e32 v9, 0x33800000, v6
	v_add_lshl_u32 v7, v7, v8, 23
	v_lshrrev_b32_e32 v5, 9, v5
	v_sub_u32_e32 v7, v9, v7
	v_or_b32_e32 v5, v7, v5
	v_alignbit_b32 v7, v8, v10, 9
	v_or_b32_e32 v6, v7, v6
	v_xor_b32_e32 v6, 1.0, v6
	s_mov_b32 s2, 0x3fc90fda
	v_mul_f32_e32 v7, 0x3fc90fda, v6
	v_fma_f32 v8, v6, s2, -v7
	v_fmamk_f32 v6, v6, 0x33a22168, v8
	v_fmac_f32_e32 v6, 0x3fc90fda, v5
	v_lshrrev_b32_e32 v4, 30, v4
	v_add_f32_e32 v5, v7, v6
	v_add_u32_e32 v4, v14, v4
	s_andn2_saveexec_b64 s[2:3], s[12:13]
	s_branch .LBB21_282
.LBB21_281:
	s_andn2_saveexec_b64 s[2:3], s[12:13]
.LBB21_282:
	s_mov_b32 s4, 0x3f22f983
	v_mul_f32_e64 v4, |v2|, s4
	v_rndne_f32_e32 v5, v4
	s_mov_b32 s4, 0xbfc90fda
	v_cvt_i32_f32_e32 v4, v5
	v_fma_f32 v6, v5, s4, |v2|
	v_fmamk_f32 v6, v5, 0xb3a22168, v6
	v_fmamk_f32 v5, v5, 0xa7c234c4, v6
; %bb.283:
	s_or_b64 exec, exec, s[2:3]
                                        ; implicit-def: $vgpr6
                                        ; implicit-def: $vgpr7
	s_and_saveexec_b64 s[2:3], s[10:11]
	s_xor_b64 s[10:11], exec, s[2:3]
	s_cbranch_execz .LBB21_285
; %bb.284:
	v_lshrrev_b32_e32 v6, 23, v3
	v_add_u32_e32 v6, 0xffffff88, v6
	v_not_b32_e32 v8, 63
	v_cmp_lt_u32_e32 vcc, 63, v6
	s_mov_b32 s6, 0xfe5163ab
	v_mov_b32_e32 v7, 0
	v_cndmask_b32_e32 v8, 0, v8, vcc
	v_add_u32_e32 v6, v8, v6
	v_not_b32_e32 v8, 31
	v_cmp_lt_u32_e64 s[2:3], 31, v6
	s_nop 1
	v_cndmask_b32_e64 v9, 0, v8, s[2:3]
	v_add_u32_e32 v6, v9, v6
	v_cmp_lt_u32_e64 s[4:5], 31, v6
	s_nop 1
	v_cndmask_b32_e64 v8, 0, v8, s[4:5]
	v_add_u32_e32 v20, v8, v6
	v_and_b32_e32 v6, 0x7fffff, v3
	v_or_b32_e32 v21, 0x800000, v6
	v_mad_u64_u32 v[8:9], s[6:7], v21, s6, 0
	v_mov_b32_e32 v6, v9
	s_mov_b32 s6, 0x3c439041
	v_mad_u64_u32 v[10:11], s[6:7], v21, s6, v[6:7]
	v_mov_b32_e32 v6, v11
	s_mov_b32 s6, 0xdb629599
	;; [unrolled: 3-line block ×6, first 2 shown]
	v_mad_u64_u32 v[6:7], s[6:7], v21, s6, v[6:7]
	v_cndmask_b32_e32 v9, v18, v14, vcc
	v_cndmask_b32_e32 v6, v6, v16, vcc
	;; [unrolled: 1-line block ×3, first 2 shown]
	v_cndmask_b32_e64 v11, v6, v9, s[2:3]
	v_cndmask_b32_e64 v6, v7, v6, s[2:3]
	v_cndmask_b32_e32 v7, v16, v12, vcc
	v_cndmask_b32_e64 v9, v9, v7, s[2:3]
	v_cndmask_b32_e32 v10, v14, v10, vcc
	v_cndmask_b32_e64 v6, v6, v11, s[4:5]
	v_cndmask_b32_e64 v11, v11, v9, s[4:5]
	v_sub_u32_e32 v13, 32, v20
	v_cndmask_b32_e64 v7, v7, v10, s[2:3]
	v_alignbit_b32 v15, v6, v11, v13
	v_cmp_eq_u32_e64 s[6:7], 0, v20
	v_cndmask_b32_e64 v9, v9, v7, s[4:5]
	v_alignbit_b32 v14, v11, v9, v13
	v_cndmask_b32_e64 v6, v15, v6, s[6:7]
	v_cndmask_b32_e64 v11, v14, v11, s[6:7]
	v_bfe_u32 v16, v6, 29, 1
	v_cndmask_b32_e32 v8, v12, v8, vcc
	v_alignbit_b32 v14, v6, v11, 30
	v_sub_u32_e32 v17, 0, v16
	v_cndmask_b32_e64 v8, v10, v8, s[2:3]
	v_xor_b32_e32 v18, v14, v17
	v_cndmask_b32_e64 v7, v7, v8, s[4:5]
	v_alignbit_b32 v8, v9, v7, v13
	v_ffbh_u32_e32 v10, v18
	v_cndmask_b32_e64 v8, v8, v9, s[6:7]
	v_add_u32_e32 v10, 1, v10
	v_cmp_ne_u32_e32 vcc, v14, v17
	v_alignbit_b32 v9, v11, v8, 30
	v_alignbit_b32 v7, v8, v7, 30
	v_cndmask_b32_e32 v10, 33, v10, vcc
	v_xor_b32_e32 v9, v9, v17
	v_sub_u32_e32 v11, 32, v10
	v_xor_b32_e32 v7, v7, v17
	v_alignbit_b32 v12, v18, v9, v11
	v_alignbit_b32 v7, v9, v7, v11
	;; [unrolled: 1-line block ×3, first 2 shown]
	v_ffbh_u32_e32 v9, v8
	v_min_u32_e32 v9, 32, v9
	v_lshrrev_b32_e32 v15, 29, v6
	v_sub_u32_e32 v11, 31, v9
	v_alignbit_b32 v7, v8, v7, v11
	v_lshlrev_b32_e32 v8, 31, v15
	v_or_b32_e32 v11, 0x33800000, v8
	v_add_lshl_u32 v9, v9, v10, 23
	v_lshrrev_b32_e32 v7, 9, v7
	v_sub_u32_e32 v9, v11, v9
	v_or_b32_e32 v7, v9, v7
	v_alignbit_b32 v9, v10, v12, 9
	v_or_b32_e32 v8, v9, v8
	v_xor_b32_e32 v8, 1.0, v8
	s_mov_b32 s2, 0x3fc90fda
	v_mul_f32_e32 v9, 0x3fc90fda, v8
	v_fma_f32 v10, v8, s2, -v9
	v_fmamk_f32 v8, v8, 0x33a22168, v10
	v_fmac_f32_e32 v8, 0x3fc90fda, v7
	v_lshrrev_b32_e32 v6, 30, v6
	v_add_f32_e32 v7, v9, v8
	v_add_u32_e32 v6, v16, v6
	s_andn2_saveexec_b64 s[2:3], s[10:11]
	s_cbranch_execnz .LBB21_286
	s_branch .LBB21_287
.LBB21_285:
	s_andn2_saveexec_b64 s[2:3], s[10:11]
.LBB21_286:
	s_mov_b32 s4, 0x3f22f983
	v_mul_f32_e64 v6, |v2|, s4
	v_rndne_f32_e32 v7, v6
	s_mov_b32 s4, 0xbfc90fda
	v_cvt_i32_f32_e32 v6, v7
	v_fma_f32 v8, v7, s4, |v2|
	v_fmamk_f32 v8, v7, 0xb3a22168, v8
	v_fmamk_f32 v7, v7, 0xa7c234c4, v8
.LBB21_287:
	s_or_b64 exec, exec, s[2:3]
	v_mul_f32_e32 v8, v1, v1
	s_mov_b32 s4, 0x41c80000
	v_div_scale_f32 v9, s[2:3], v8, v8, s4
	v_rcp_f32_e32 v10, v9
	v_xor_b32_e32 v3, v3, v2
	s_mov_b32 s6, 0x40a00000
	v_mov_b32_e32 v17, 0xbf000004
	v_fma_f32 v11, -v9, v10, 1.0
	v_fmac_f32_e32 v10, v11, v10
	v_div_scale_f32 v11, vcc, s4, v8, s4
	v_mul_f32_e32 v12, v11, v10
	v_fma_f32 v13, -v9, v12, v11
	v_fmac_f32_e32 v12, v13, v10
	v_fma_f32 v9, -v9, v12, v11
	v_div_fmas_f32 v9, v9, v10, v12
	v_div_fixup_f32 v8, v9, v8, s4
	v_mov_b32_e32 v9, 0x3a50e985
	v_mov_b32_e32 v10, 0x3a725406
	v_fmac_f32_e32 v9, 0, v8
	v_fmac_f32_e32 v10, 0, v8
	v_fmaak_f32 v9, v8, v9, 0x3da9a586
	v_fmaak_f32 v10, v8, v10, 0x3daf5e2d
	;; [unrolled: 1-line block ×8, first 2 shown]
	v_mov_b32_e32 v11, 0xbc3a3a12
	v_fmaak_f32 v9, v8, v9, 0x40a9b425
	v_fmaak_f32 v10, v8, v10, 0x40a9cb2f
	v_fmac_f32_e32 v11, 0, v8
	v_mov_b32_e32 v12, 0x4280a2ba
	v_fma_f32 v10, v8, v10, 1.0
	v_fmaak_f32 v11, v8, v11, 0xbfa429da
	v_fmac_f32_e32 v12, 0, v8
	v_fma_f32 v9, v8, v9, 1.0
	v_fmaak_f32 v11, v8, v11, 0xc19c6e80
	v_fmaak_f32 v12, v8, v12, 0x44561b86
	v_div_scale_f32 v13, s[2:3], v10, v10, v9
	v_fmaak_f32 v11, v8, v11, 0xc2ba697b
	v_fmaak_f32 v12, v8, v12, 0x4572a66e
	v_rcp_f32_e32 v14, v13
	v_fmaak_f32 v11, v8, v11, 0xc331ae61
	v_fmaak_f32 v12, v8, v12, 0x45e243be
	;; [unrolled: 1-line block ×8, first 2 shown]
	v_fma_f32 v12, -v13, v14, 1.0
	v_fmac_f32_e32 v14, v12, v14
	v_div_scale_f32 v12, vcc, v9, v10, v9
	v_mul_f32_e32 v15, v12, v14
	v_fma_f32 v16, -v13, v15, v12
	v_fmac_f32_e32 v15, v16, v14
	v_fma_f32 v12, -v13, v15, v12
	v_div_fmas_f32 v12, v12, v14, v15
	v_div_fixup_f32 v9, v12, v10, v9
	v_mul_f32_e32 v10, v5, v5
	v_mov_b32_e32 v12, 0x3c0881c4
	v_fmamk_f32 v13, v10, 0xb94c1982, v12
	v_fmaak_f32 v13, v10, v13, 0xbe2aaa9d
	v_mul_f32_e32 v13, v10, v13
	v_fmac_f32_e32 v5, v5, v13
	v_mov_b32_e32 v13, 0xbab64f3b
	v_fmamk_f32 v15, v10, 0x37d75334, v13
	v_fmaak_f32 v15, v10, v15, 0x3d2aabf7
	v_fmaak_f32 v15, v10, v15, 0xbf000004
	v_fma_f32 v10, v10, v15, 1.0
	v_and_b32_e32 v15, 1, v4
	v_lshlrev_b32_e32 v4, 30, v4
	v_cmp_eq_u32_e32 vcc, 0, v15
	v_and_b32_e32 v4, 0x80000000, v4
	v_xor_b32_e32 v3, v3, v4
	v_cndmask_b32_e32 v5, v10, v5, vcc
	v_div_scale_f32 v4, s[2:3], v1, v1, s6
	v_xor_b32_e32 v3, v3, v5
	v_rcp_f32_e32 v5, v4
	s_movk_i32 s4, 0x1f8
	v_mov_b32_e32 v10, 0x7fc00000
	v_cmp_class_f32_e64 s[2:3], v2, s4
	v_mov_b32_e32 v14, 0xbe2aaa9d
	v_mov_b32_e32 v16, 0x3d2aabf7
	v_cndmask_b32_e64 v2, v10, v3, s[2:3]
	v_fma_f32 v3, -v4, v5, 1.0
	v_fmac_f32_e32 v5, v3, v5
	v_div_scale_f32 v3, vcc, s6, v1, s6
	v_mul_f32_e32 v15, v3, v5
	v_fma_f32 v18, -v4, v15, v3
	v_fmac_f32_e32 v15, v18, v5
	v_fma_f32 v3, -v4, v15, v3
	v_div_scale_f32 v4, s[4:5], v8, v8, v11
	v_rcp_f32_e32 v18, v4
	v_div_fmas_f32 v3, v3, v5, v15
	v_div_fixup_f32 v3, v3, v1, s6
	v_fma_f32 v5, -v4, v18, 1.0
	v_fmac_f32_e32 v18, v5, v18
	v_div_scale_f32 v5, vcc, v11, v8, v11
	v_mul_f32_e32 v15, v5, v18
	v_fma_f32 v19, -v4, v15, v5
	v_fmac_f32_e32 v15, v19, v18
	v_fma_f32 v4, -v4, v15, v5
	v_div_fmas_f32 v4, v4, v18, v15
	v_div_fixup_f32 v4, v4, v8, v11
	v_mul_f32_e32 v3, v3, v4
	v_mul_f32_e32 v4, v7, v7
	v_fmac_f32_e32 v12, 0xb94c1982, v4
	v_fmac_f32_e32 v14, v4, v12
	;; [unrolled: 1-line block ×3, first 2 shown]
	v_mul_f32_e32 v5, v4, v14
	v_fmac_f32_e32 v16, v4, v13
	v_fmac_f32_e32 v7, v7, v5
	;; [unrolled: 1-line block ×3, first 2 shown]
	v_and_b32_e32 v5, 1, v6
	v_fma_f32 v4, v4, v17, 1.0
	v_cmp_eq_u32_e32 vcc, 0, v5
	v_lshlrev_b32_e32 v5, 30, v6
	v_and_b32_e32 v5, 0x80000000, v5
	v_cndmask_b32_e64 v4, -v7, v4, vcc
	v_xor_b32_e32 v4, v5, v4
	v_cndmask_b32_e64 v4, v10, v4, s[2:3]
	s_mov_b32 s2, 0xf800000
	v_mul_f32_e32 v5, 0x4f800000, v1
	v_cmp_gt_f32_e32 vcc, s2, v1
	v_mul_f32_e32 v3, v3, v4
	v_fmac_f32_e32 v3, v9, v2
	v_cndmask_b32_e32 v1, v1, v5, vcc
	v_sqrt_f32_e32 v5, v1
	v_mul_f32_e32 v2, 0x3f4c422a, v3
	v_add_u32_e32 v3, -1, v5
	v_fma_f32 v4, -v3, v5, v1
	v_cmp_ge_f32_e64 s[2:3], 0, v4
	v_add_u32_e32 v4, 1, v5
	s_nop 0
	v_cndmask_b32_e64 v3, v5, v3, s[2:3]
	v_fma_f32 v5, -v4, v5, v1
	v_cmp_lt_f32_e64 s[2:3], 0, v5
	s_nop 1
	v_cndmask_b32_e64 v3, v3, v4, s[2:3]
	v_mul_f32_e32 v4, 0x37800000, v3
	v_cndmask_b32_e32 v3, v3, v4, vcc
	v_mov_b32_e32 v4, 0x260
	v_cmp_class_f32_e32 vcc, v1, v4
	s_nop 1
	v_cndmask_b32_e32 v1, v3, v1, vcc
	v_div_scale_f32 v3, s[2:3], v1, v1, v2
	v_rcp_f32_e32 v4, v3
	s_nop 0
	v_fma_f32 v5, -v3, v4, 1.0
	v_fmac_f32_e32 v4, v5, v4
	v_div_scale_f32 v5, vcc, v2, v1, v2
	v_mul_f32_e32 v6, v5, v4
	v_fma_f32 v7, -v3, v6, v5
	v_fmac_f32_e32 v6, v7, v4
	v_fma_f32 v3, -v3, v6, v5
	v_div_fmas_f32 v3, v3, v4, v6
	v_div_fixup_f32 v2, v3, v1, v2
.LBB21_288:
	s_or_b64 exec, exec, s[8:9]
	global_store_dword v0, v2, s[20:21]
	s_or_b64 exec, exec, s[50:51]
                                        ; implicit-def: $vgpr9
                                        ; implicit-def: $vgpr6
	s_andn2_saveexec_b64 s[2:3], s[40:41]
	s_cbranch_execz .LBB21_223
	s_branch .LBB21_9
	.section	.rodata,"a",@progbits
	.p2align	6, 0x0
	.amdhsa_kernel _ZN2at6native32elementwise_kernel_manual_unrollILi128ELi4EZNS0_22gpu_kernel_impl_nocastIZZZNS0_12_GLOBAL__N_121bessel_y0_kernel_cudaERNS_18TensorIteratorBaseEENKUlvE_clEvENKUlvE0_clEvEUlfE_EEvS5_RKT_EUlibE_EEviT1_
		.amdhsa_group_segment_fixed_size 0
		.amdhsa_private_segment_fixed_size 0
		.amdhsa_kernarg_size 360
		.amdhsa_user_sgpr_count 2
		.amdhsa_user_sgpr_dispatch_ptr 0
		.amdhsa_user_sgpr_queue_ptr 0
		.amdhsa_user_sgpr_kernarg_segment_ptr 1
		.amdhsa_user_sgpr_dispatch_id 0
		.amdhsa_user_sgpr_kernarg_preload_length 0
		.amdhsa_user_sgpr_kernarg_preload_offset 0
		.amdhsa_user_sgpr_private_segment_size 0
		.amdhsa_uses_dynamic_stack 0
		.amdhsa_enable_private_segment 0
		.amdhsa_system_sgpr_workgroup_id_x 1
		.amdhsa_system_sgpr_workgroup_id_y 0
		.amdhsa_system_sgpr_workgroup_id_z 0
		.amdhsa_system_sgpr_workgroup_info 0
		.amdhsa_system_vgpr_workitem_id 0
		.amdhsa_next_free_vgpr 30
		.amdhsa_next_free_sgpr 60
		.amdhsa_accum_offset 32
		.amdhsa_reserve_vcc 1
		.amdhsa_float_round_mode_32 0
		.amdhsa_float_round_mode_16_64 0
		.amdhsa_float_denorm_mode_32 3
		.amdhsa_float_denorm_mode_16_64 3
		.amdhsa_dx10_clamp 1
		.amdhsa_ieee_mode 1
		.amdhsa_fp16_overflow 0
		.amdhsa_tg_split 0
		.amdhsa_exception_fp_ieee_invalid_op 0
		.amdhsa_exception_fp_denorm_src 0
		.amdhsa_exception_fp_ieee_div_zero 0
		.amdhsa_exception_fp_ieee_overflow 0
		.amdhsa_exception_fp_ieee_underflow 0
		.amdhsa_exception_fp_ieee_inexact 0
		.amdhsa_exception_int_div_zero 0
	.end_amdhsa_kernel
	.section	.text._ZN2at6native32elementwise_kernel_manual_unrollILi128ELi4EZNS0_22gpu_kernel_impl_nocastIZZZNS0_12_GLOBAL__N_121bessel_y0_kernel_cudaERNS_18TensorIteratorBaseEENKUlvE_clEvENKUlvE0_clEvEUlfE_EEvS5_RKT_EUlibE_EEviT1_,"axG",@progbits,_ZN2at6native32elementwise_kernel_manual_unrollILi128ELi4EZNS0_22gpu_kernel_impl_nocastIZZZNS0_12_GLOBAL__N_121bessel_y0_kernel_cudaERNS_18TensorIteratorBaseEENKUlvE_clEvENKUlvE0_clEvEUlfE_EEvS5_RKT_EUlibE_EEviT1_,comdat
.Lfunc_end21:
	.size	_ZN2at6native32elementwise_kernel_manual_unrollILi128ELi4EZNS0_22gpu_kernel_impl_nocastIZZZNS0_12_GLOBAL__N_121bessel_y0_kernel_cudaERNS_18TensorIteratorBaseEENKUlvE_clEvENKUlvE0_clEvEUlfE_EEvS5_RKT_EUlibE_EEviT1_, .Lfunc_end21-_ZN2at6native32elementwise_kernel_manual_unrollILi128ELi4EZNS0_22gpu_kernel_impl_nocastIZZZNS0_12_GLOBAL__N_121bessel_y0_kernel_cudaERNS_18TensorIteratorBaseEENKUlvE_clEvENKUlvE0_clEvEUlfE_EEvS5_RKT_EUlibE_EEviT1_
                                        ; -- End function
	.section	.AMDGPU.csdata,"",@progbits
; Kernel info:
; codeLenInByte = 30948
; NumSgprs: 66
; NumVgprs: 30
; NumAgprs: 0
; TotalNumVgprs: 30
; ScratchSize: 0
; MemoryBound: 0
; FloatMode: 240
; IeeeMode: 1
; LDSByteSize: 0 bytes/workgroup (compile time only)
; SGPRBlocks: 8
; VGPRBlocks: 3
; NumSGPRsForWavesPerEU: 66
; NumVGPRsForWavesPerEU: 30
; AccumOffset: 32
; Occupancy: 8
; WaveLimiterHint : 1
; COMPUTE_PGM_RSRC2:SCRATCH_EN: 0
; COMPUTE_PGM_RSRC2:USER_SGPR: 2
; COMPUTE_PGM_RSRC2:TRAP_HANDLER: 0
; COMPUTE_PGM_RSRC2:TGID_X_EN: 1
; COMPUTE_PGM_RSRC2:TGID_Y_EN: 0
; COMPUTE_PGM_RSRC2:TGID_Z_EN: 0
; COMPUTE_PGM_RSRC2:TIDIG_COMP_CNT: 0
; COMPUTE_PGM_RSRC3_GFX90A:ACCUM_OFFSET: 7
; COMPUTE_PGM_RSRC3_GFX90A:TG_SPLIT: 0
	.text
	.p2align	2                               ; -- Begin function _ZN2at6native6invokeIZZZNS0_12_GLOBAL__N_121bessel_y0_kernel_cudaERNS_18TensorIteratorBaseEENKUlvE_clEvENKUlvE0_clEvEUlfE_i15function_traitsIS7_EEENT1_11result_typeERKT_PrKPcPKT0_PKN3c1010ScalarTypeEi
	.type	_ZN2at6native6invokeIZZZNS0_12_GLOBAL__N_121bessel_y0_kernel_cudaERNS_18TensorIteratorBaseEENKUlvE_clEvENKUlvE0_clEvEUlfE_i15function_traitsIS7_EEENT1_11result_typeERKT_PrKPcPKT0_PKN3c1010ScalarTypeEi,@function
_ZN2at6native6invokeIZZZNS0_12_GLOBAL__N_121bessel_y0_kernel_cudaERNS_18TensorIteratorBaseEENKUlvE_clEvENKUlvE0_clEvEUlfE_i15function_traitsIS7_EEENT1_11result_typeERKT_PrKPcPKT0_PKN3c1010ScalarTypeEi: ; @_ZN2at6native6invokeIZZZNS0_12_GLOBAL__N_121bessel_y0_kernel_cudaERNS_18TensorIteratorBaseEENKUlvE_clEvENKUlvE0_clEvEUlfE_i15function_traitsIS7_EEENT1_11result_typeERKT_PrKPcPKT0_PKN3c1010ScalarTypeEi
; %bb.0:
	s_waitcnt vmcnt(0) expcnt(0) lgkmcnt(0)
	v_mul_lo_u32 v4, v4, v2
	v_ashrrev_i32_e32 v5, 31, v4
	v_mov_b32_e32 v2, 10
	v_lshl_add_u64 v[0:1], v[0:1], 0, v[4:5]
	v_cmp_gt_i16_sdwa s[0:1], v3, v2 src0_sel:BYTE_0 src1_sel:DWORD
	s_mov_b64 s[2:3], 0
                                        ; implicit-def: $vgpr4
	s_and_saveexec_b64 s[4:5], s[0:1]
	s_xor_b64 s[0:1], exec, s[4:5]
	s_cbranch_execz .LBB22_53
; %bb.1:
	v_mov_b32_e32 v2, 25
	v_cmp_gt_i16_sdwa s[6:7], v3, v2 src0_sel:BYTE_0 src1_sel:DWORD
	s_mov_b64 s[8:9], 0
	s_mov_b64 s[4:5], 0
                                        ; implicit-def: $vgpr4
	s_and_saveexec_b64 s[10:11], s[6:7]
	s_xor_b64 s[6:7], exec, s[10:11]
	s_cbranch_execz .LBB22_96
; %bb.2:
	v_mov_b32_e32 v2, 28
	v_cmp_gt_i16_sdwa s[4:5], v3, v2 src0_sel:BYTE_0 src1_sel:DWORD
	s_mov_b64 s[10:11], 0
                                        ; implicit-def: $vgpr4
	s_and_saveexec_b64 s[12:13], s[4:5]
	s_xor_b64 s[4:5], exec, s[12:13]
	s_cbranch_execz .LBB22_18
; %bb.3:
	v_mov_b32_e32 v2, 43
	v_cmp_gt_i16_sdwa s[8:9], v3, v2 src0_sel:BYTE_0 src1_sel:DWORD
	s_mov_b64 s[12:13], 0
	s_mov_b64 s[14:15], 0
                                        ; implicit-def: $vgpr4
	s_and_saveexec_b64 s[10:11], s[8:9]
	s_xor_b64 s[8:9], exec, s[10:11]
	s_cbranch_execz .LBB22_13
; %bb.4:
	v_mov_b32_e32 v2, 45
	v_cmp_gt_i16_sdwa s[14:15], v3, v2 src0_sel:BYTE_0 src1_sel:DWORD
	s_mov_b64 s[10:11], 0
                                        ; implicit-def: $vgpr4
	s_and_saveexec_b64 s[16:17], s[14:15]
	s_xor_b64 s[14:15], exec, s[16:17]
	s_cbranch_execz .LBB22_8
; %bb.5:
	v_mov_b32_e32 v2, 46
	v_cmp_eq_u16_sdwa s[18:19], v3, v2 src0_sel:BYTE_0 src1_sel:DWORD
	s_mov_b64 s[16:17], -1
                                        ; implicit-def: $vgpr4
	s_and_saveexec_b64 s[12:13], s[18:19]
	s_cbranch_execz .LBB22_7
; %bb.6:
	flat_load_dword v2, v[0:1]
	s_mov_b64 s[10:11], exec
	s_xor_b64 s[16:17], exec, -1
	s_waitcnt vmcnt(0) lgkmcnt(0)
	v_lshlrev_b32_e32 v4, 16, v2
.LBB22_7:
	s_or_b64 exec, exec, s[12:13]
	s_and_b64 s[12:13], s[10:11], exec
	s_and_b64 s[10:11], s[16:17], exec
                                        ; implicit-def: $vgpr3
.LBB22_8:
	s_andn2_saveexec_b64 s[14:15], s[14:15]
	s_cbranch_execz .LBB22_12
; %bb.9:
	v_mov_b32_e32 v2, 44
	v_cmp_eq_u16_sdwa s[22:23], v3, v2 src0_sel:BYTE_0 src1_sel:DWORD
	s_mov_b64 s[20:21], -1
	s_mov_b64 s[18:19], s[12:13]
                                        ; implicit-def: $vgpr4
	s_and_saveexec_b64 s[16:17], s[22:23]
	s_cbranch_execz .LBB22_11
; %bb.10:
	flat_load_ubyte v2, v[0:1]
	s_movk_i32 s20, 0xff
	v_mov_b32_e32 v3, 0x7f800001
	v_mov_b32_e32 v4, 0x400000
	s_or_b64 s[18:19], s[12:13], exec
	s_waitcnt vmcnt(0) lgkmcnt(0)
	v_lshlrev_b32_e32 v5, 23, v2
	v_cmp_ne_u32_e32 vcc, s20, v2
	s_xor_b64 s[20:21], exec, -1
	s_nop 0
	v_cndmask_b32_e32 v3, v3, v5, vcc
	v_cmp_ne_u32_e32 vcc, 0, v2
	s_nop 1
	v_cndmask_b32_e32 v4, v4, v3, vcc
.LBB22_11:
	s_or_b64 exec, exec, s[16:17]
	s_andn2_b64 s[12:13], s[12:13], exec
	s_and_b64 s[16:17], s[18:19], exec
	s_or_b64 s[12:13], s[12:13], s[16:17]
	s_andn2_b64 s[10:11], s[10:11], exec
	s_and_b64 s[16:17], s[20:21], exec
	s_or_b64 s[10:11], s[10:11], s[16:17]
.LBB22_12:
	s_or_b64 exec, exec, s[14:15]
	s_and_b64 s[14:15], s[12:13], exec
	s_and_b64 s[12:13], s[10:11], exec
                                        ; implicit-def: $vgpr3
.LBB22_13:
	s_andn2_saveexec_b64 s[8:9], s[8:9]
	s_cbranch_execz .LBB22_17
; %bb.14:
	v_mov_b32_e32 v2, 29
	v_cmp_eq_u16_sdwa s[20:21], v3, v2 src0_sel:BYTE_0 src1_sel:DWORD
	s_mov_b64 s[16:17], -1
	s_mov_b64 s[18:19], s[14:15]
                                        ; implicit-def: $vgpr4
	s_and_saveexec_b64 s[10:11], s[20:21]
	s_cbranch_execz .LBB22_16
; %bb.15:
	flat_load_dwordx2 v[2:3], v[0:1]
	s_or_b64 s[18:19], s[14:15], exec
	s_xor_b64 s[16:17], exec, -1
	s_waitcnt vmcnt(0) lgkmcnt(0)
	v_ffbh_u32_e32 v4, v3
	v_min_u32_e32 v4, 32, v4
	v_lshlrev_b64 v[2:3], v4, v[2:3]
	v_min_u32_e32 v2, 1, v2
	v_or_b32_e32 v2, v3, v2
	v_cvt_f32_u32_e32 v2, v2
	v_sub_u32_e32 v3, 32, v4
	v_ldexp_f32 v4, v2, v3
.LBB22_16:
	s_or_b64 exec, exec, s[10:11]
	s_andn2_b64 s[10:11], s[14:15], exec
	s_and_b64 s[14:15], s[18:19], exec
	s_or_b64 s[14:15], s[10:11], s[14:15]
	s_andn2_b64 s[10:11], s[12:13], exec
	s_and_b64 s[12:13], s[16:17], exec
	s_or_b64 s[12:13], s[10:11], s[12:13]
.LBB22_17:
	s_or_b64 exec, exec, s[8:9]
	s_and_b64 s[10:11], s[14:15], exec
	s_and_b64 s[8:9], s[12:13], exec
                                        ; implicit-def: $vgpr3
.LBB22_18:
	s_andn2_saveexec_b64 s[4:5], s[4:5]
	s_cbranch_execz .LBB22_34
; %bb.19:
	v_mov_b32_e32 v2, 26
	v_cmp_gt_i16_sdwa s[12:13], v3, v2 src0_sel:BYTE_0 src1_sel:DWORD
                                        ; implicit-def: $vgpr4
	s_and_saveexec_b64 s[14:15], s[12:13]
	s_xor_b64 s[12:13], exec, s[14:15]
	s_cbranch_execz .LBB22_25
; %bb.20:
	v_mov_b32_e32 v2, 27
	v_cmp_gt_i16_sdwa s[14:15], v3, v2 src0_sel:BYTE_0 src1_sel:DWORD
                                        ; implicit-def: $vgpr4
	s_and_saveexec_b64 s[16:17], s[14:15]
	s_xor_b64 s[14:15], exec, s[16:17]
	s_cbranch_execz .LBB22_22
; %bb.21:
	flat_load_dword v2, v[0:1]
	s_waitcnt vmcnt(0) lgkmcnt(0)
	v_cvt_f32_u32_e32 v4, v2
.LBB22_22:
	s_andn2_saveexec_b64 s[14:15], s[14:15]
	s_cbranch_execz .LBB22_24
; %bb.23:
	flat_load_ushort v2, v[0:1]
	s_waitcnt vmcnt(0) lgkmcnt(0)
	v_cvt_f32_u32_e32 v4, v2
.LBB22_24:
	s_or_b64 exec, exec, s[14:15]
.LBB22_25:
	s_andn2_saveexec_b64 s[12:13], s[12:13]
	s_cbranch_execz .LBB22_33
; %bb.26:
	flat_load_ubyte v2, v[0:1]
	s_movk_i32 s14, 0x7f
                                        ; implicit-def: $sgpr20
	s_waitcnt vmcnt(0) lgkmcnt(0)
	v_cmp_lt_i16_e32 vcc, s14, v2
	s_mov_b64 s[14:15], 0
	s_and_saveexec_b64 s[16:17], vcc
	s_xor_b64 s[16:17], exec, s[16:17]
	s_cbranch_execz .LBB22_131
; %bb.27:
	s_movk_i32 s14, 0x80
	v_cmp_eq_u16_e32 vcc, s14, v2
	s_mov_b64 s[14:15], -1
                                        ; implicit-def: $sgpr20
	s_and_saveexec_b64 s[18:19], vcc
; %bb.28:
	s_mov_b32 s20, 0x7f800001
	s_xor_b64 s[14:15], exec, -1
; %bb.29:
	s_or_b64 exec, exec, s[18:19]
	s_and_b64 s[14:15], s[14:15], exec
	s_or_saveexec_b64 s[16:17], s[16:17]
	v_mov_b32_e32 v4, s20
	s_xor_b64 exec, exec, s[16:17]
	s_cbranch_execnz .LBB22_132
.LBB22_30:
	s_or_b64 exec, exec, s[16:17]
	s_and_saveexec_b64 s[16:17], s[14:15]
	s_cbranch_execz .LBB22_32
.LBB22_31:
	v_lshlrev_b32_e32 v3, 24, v2
	v_and_b32_e32 v2, 0xffff, v2
	v_and_b32_e32 v4, 7, v2
	v_ffbh_u32_e32 v6, v4
	v_min_u32_e32 v6, 32, v6
	v_subrev_u32_e32 v7, 28, v6
	v_bfe_u32 v5, v2, 3, 4
	v_lshlrev_b32_e32 v2, v7, v2
	v_sub_u32_e32 v6, 29, v6
	v_and_b32_e32 v2, 7, v2
	v_cmp_eq_u32_e32 vcc, 0, v5
	v_and_b32_e32 v3, 0x80000000, v3
	s_nop 0
	v_cndmask_b32_e32 v5, v5, v6, vcc
	v_cndmask_b32_e32 v2, v4, v2, vcc
	v_mov_b32_e32 v4, 0x3b800000
	v_lshlrev_b32_e32 v2, 20, v2
	v_lshl_add_u32 v4, v5, 23, v4
	v_or3_b32 v4, v3, v4, v2
.LBB22_32:
	s_or_b64 exec, exec, s[16:17]
.LBB22_33:
	s_or_b64 exec, exec, s[12:13]
	s_or_b64 s[10:11], s[10:11], exec
.LBB22_34:
	s_or_b64 exec, exec, s[4:5]
	s_and_b64 s[4:5], s[10:11], exec
	s_and_b64 s[8:9], s[8:9], exec
                                        ; implicit-def: $vgpr3
	s_andn2_saveexec_b64 s[6:7], s[6:7]
	s_cbranch_execnz .LBB22_97
.LBB22_35:
	s_or_b64 exec, exec, s[6:7]
	s_and_saveexec_b64 s[6:7], s[8:9]
	s_cbranch_execnz .LBB22_122
.LBB22_36:
	s_or_b64 exec, exec, s[6:7]
	s_and_saveexec_b64 s[6:7], s[2:3]
	s_xor_b64 s[2:3], exec, s[6:7]
	s_cbranch_execz .LBB22_38
.LBB22_37:
	flat_load_ubyte v0, v[0:1]
	s_or_b64 s[4:5], s[4:5], exec
	s_waitcnt vmcnt(0) lgkmcnt(0)
	v_cmp_ne_u16_e32 vcc, 0, v0
	s_nop 1
	v_cndmask_b32_e64 v4, 0, 1.0, vcc
.LBB22_38:
	s_or_b64 exec, exec, s[2:3]
	s_and_b64 s[2:3], s[4:5], exec
                                        ; implicit-def: $vgpr3
                                        ; implicit-def: $vgpr0_vgpr1
	s_andn2_saveexec_b64 s[0:1], s[0:1]
	s_cbranch_execnz .LBB22_54
.LBB22_39:
	s_or_b64 exec, exec, s[0:1]
                                        ; implicit-def: $vgpr0
	s_and_saveexec_b64 s[6:7], s[2:3]
	s_cbranch_execz .LBB22_95
.LBB22_40:
	s_mov_b32 s0, 0x40a00000
	s_waitcnt vmcnt(0) lgkmcnt(0)
	v_cmp_ge_f32_e32 vcc, s0, v4
                                        ; implicit-def: $vgpr0
	s_and_saveexec_b64 s[0:1], vcc
	s_xor_b64 s[2:3], exec, s[0:1]
	s_cbranch_execz .LBB22_50
; %bb.41:
	v_cmp_neq_f32_e32 vcc, 0, v4
	v_mov_b32_e32 v0, 0xff800000
	s_and_saveexec_b64 s[4:5], vcc
	s_cbranch_execz .LBB22_49
; %bb.42:
	v_cmp_ngt_f32_e32 vcc, 0, v4
	v_mov_b32_e32 v0, 0x7fc00000
	s_and_saveexec_b64 s[8:9], vcc
	s_cbranch_execz .LBB22_48
; %bb.43:
	v_mul_f32_e32 v0, v4, v4
	s_mov_b32 s0, 0x3727c5ac
	v_mul_f32_e32 v2, 0, v0
	v_cmp_ngt_f32_e32 vcc, s0, v4
                                        ; implicit-def: $vgpr1
	s_and_saveexec_b64 s[0:1], vcc
	s_xor_b64 s[0:1], exec, s[0:1]
	s_cbranch_execz .LBB22_45
; %bb.44:
	v_add_f32_e32 v1, 0x43f9c815, v2
	v_fmaak_f32 v1, v0, v1, 0x4829b65a
	v_fmaak_f32 v1, v0, v1, 0x4c38c9a1
	;; [unrolled: 1-line block ×3, first 2 shown]
	s_mov_b32 s10, 0xcf8ee29d
	v_mul_f32_e32 v3, v0, v1
	s_mov_b32 s11, 0x53f5f59c
	v_pk_add_f32 v[6:7], v[2:3], s[10:11]
	s_mov_b32 s10, 0x53e3ba8e
	s_mov_b32 s11, 0x578d3514
	v_pk_fma_f32 v[6:7], v[0:1], v[6:7], s[10:11] op_sel_hi:[0,1,1]
	s_mov_b32 s10, 0xd762b0a7
	s_mov_b32 s11, 0x5ae20a0c
	v_pk_fma_f32 v[6:7], v[0:1], v[6:7], s[10:11] op_sel_hi:[0,1,1]
	s_mov_b32 s10, 0x5a09f7c3
	s_mov_b32 s11, 0x5dbdf1a6
	v_pk_fma_f32 v[6:7], v[0:1], v[6:7], s[10:11] op_sel_hi:[0,1,1]
	s_mov_b32 s10, 0xc0b90fdc
	s_mov_b32 s11, 0xc1f3c525
	v_pk_add_f32 v[8:9], v[0:1], s[10:11] op_sel_hi:[0,1]
	v_mul_f32_e32 v1, v8, v9
	v_mul_f32_e32 v1, v1, v6
	v_div_scale_f32 v3, s[10:11], v7, v7, v1
	v_rcp_f32_e32 v5, v3
	s_nop 0
	v_fma_f32 v6, -v3, v5, 1.0
	v_fmac_f32_e32 v5, v6, v5
	v_div_scale_f32 v6, vcc, v1, v7, v1
	v_mul_f32_e32 v8, v6, v5
	v_fma_f32 v9, -v3, v8, v6
	v_fmac_f32_e32 v8, v9, v5
	v_fma_f32 v3, -v3, v8, v6
	v_div_fmas_f32 v3, v3, v5, v8
	v_div_fixup_f32 v1, v3, v7, v1
.LBB22_45:
	s_andn2_saveexec_b64 s[0:1], s[0:1]
; %bb.46:
	v_mov_b32_e32 v1, 1.0
	v_fmamk_f32 v1, v0, 0xbe800000, v1
; %bb.47:
	s_or_b64 exec, exec, s[0:1]
	v_add_f32_e32 v3, 0x4673a1bf, v2
	v_fmaak_f32 v3, v0, v3, 0xcb5fc0fa
	v_add_f32_e32 v2, 0x44822913, v2
	v_fmaak_f32 v3, v0, v3, 0x4fa1fbc8
	v_fmaak_f32 v2, v0, v2, 0x4918dbb5
	;; [unrolled: 1-line block ×12, first 2 shown]
	v_div_scale_f32 v3, s[0:1], v2, v2, v0
	v_rcp_f32_e32 v5, v3
	s_mov_b32 s0, 0x800000
	v_cmp_gt_f32_e64 s[0:1], s0, v4
	s_mov_b32 s10, 0x3f317217
	v_fma_f32 v6, -v3, v5, 1.0
	v_fmac_f32_e32 v5, v6, v5
	v_div_scale_f32 v6, vcc, v0, v2, v0
	v_mul_f32_e32 v7, v6, v5
	v_fma_f32 v8, -v3, v7, v6
	v_fmac_f32_e32 v7, v8, v5
	v_fma_f32 v3, -v3, v7, v6
	v_mov_b32_e32 v6, 0x4f800000
	v_cndmask_b32_e64 v6, 1.0, v6, s[0:1]
	v_mul_f32_e32 v4, v4, v6
	v_log_f32_e32 v4, v4
	v_div_fmas_f32 v3, v3, v5, v7
	v_div_fixup_f32 v0, v3, v2, v0
	v_mul_f32_e32 v2, 0x3f317217, v4
	v_fma_f32 v3, v4, s10, -v2
	v_fmamk_f32 v3, v4, 0x3377d1cf, v3
	s_mov_b32 s10, 0x7f800000
	v_add_f32_e32 v2, v2, v3
	v_cmp_lt_f32_e64 vcc, |v4|, s10
	v_mov_b32_e32 v3, 0x41b17218
	v_cndmask_b32_e64 v3, 0, v3, s[0:1]
	v_cndmask_b32_e32 v2, v4, v2, vcc
	v_sub_f32_e32 v2, v2, v3
	v_mul_f32_e32 v2, 0x3f22f983, v2
	v_fmac_f32_e32 v0, v2, v1
.LBB22_48:
	s_or_b64 exec, exec, s[8:9]
.LBB22_49:
	s_or_b64 exec, exec, s[4:5]
                                        ; implicit-def: $vgpr4
.LBB22_50:
	s_andn2_saveexec_b64 s[8:9], s[2:3]
	s_cbranch_execz .LBB22_130
; %bb.51:
	v_add_f32_e32 v0, 0xbf490fdb, v4
	v_and_b32_e32 v1, 0x7fffffff, v0
	s_brev_b32 s0, 18
	v_cmp_nlt_f32_e64 s[10:11], |v0|, s0
	v_lshrrev_b32_e32 v7, 23, v1
                                        ; implicit-def: $vgpr2
                                        ; implicit-def: $vgpr3
	s_and_saveexec_b64 s[0:1], s[10:11]
	s_xor_b64 s[12:13], exec, s[0:1]
	s_cbranch_execz .LBB22_123
; %bb.52:
	v_add_u32_e32 v2, 0xffffff88, v7
	v_not_b32_e32 v5, 63
	v_cmp_lt_u32_e32 vcc, 63, v2
	s_mov_b32 s4, 0xfe5163ab
	v_mov_b32_e32 v3, 0
	v_cndmask_b32_e32 v5, 0, v5, vcc
	v_add_u32_e32 v2, v5, v2
	v_not_b32_e32 v5, 31
	v_cmp_lt_u32_e64 s[0:1], 31, v2
	s_nop 1
	v_cndmask_b32_e64 v6, 0, v5, s[0:1]
	v_add_u32_e32 v2, v6, v2
	v_cmp_lt_u32_e64 s[2:3], 31, v2
	s_nop 1
	v_cndmask_b32_e64 v5, 0, v5, s[2:3]
	v_add_u32_e32 v5, v5, v2
	v_and_b32_e32 v2, 0x7fffff, v1
	v_or_b32_e32 v6, 0x800000, v2
	v_mad_u64_u32 v[8:9], s[4:5], v6, s4, 0
	v_mov_b32_e32 v2, v9
	s_mov_b32 s4, 0x3c439041
	v_mad_u64_u32 v[10:11], s[4:5], v6, s4, v[2:3]
	v_mov_b32_e32 v2, v11
	s_mov_b32 s4, 0xdb629599
	;; [unrolled: 3-line block ×6, first 2 shown]
	v_mad_u64_u32 v[2:3], s[4:5], v6, s4, v[2:3]
	v_cndmask_b32_e32 v9, v18, v14, vcc
	v_cndmask_b32_e32 v2, v2, v16, vcc
	;; [unrolled: 1-line block ×3, first 2 shown]
	v_cndmask_b32_e64 v6, v2, v9, s[0:1]
	v_cndmask_b32_e64 v2, v3, v2, s[0:1]
	v_cndmask_b32_e32 v3, v16, v12, vcc
	v_cndmask_b32_e64 v9, v9, v3, s[0:1]
	v_sub_u32_e32 v11, 32, v5
	v_cmp_eq_u32_e64 s[4:5], 0, v5
	v_cndmask_b32_e32 v5, v14, v10, vcc
	v_cndmask_b32_e64 v2, v2, v6, s[2:3]
	v_cndmask_b32_e64 v6, v6, v9, s[2:3]
	;; [unrolled: 1-line block ×3, first 2 shown]
	v_alignbit_b32 v13, v2, v6, v11
	v_cndmask_b32_e64 v9, v9, v3, s[2:3]
	v_cndmask_b32_e64 v2, v13, v2, s[4:5]
	v_alignbit_b32 v10, v6, v9, v11
	v_cndmask_b32_e64 v6, v10, v6, s[4:5]
	v_bfe_u32 v14, v2, 29, 1
	v_cndmask_b32_e32 v8, v12, v8, vcc
	v_alignbit_b32 v10, v2, v6, 30
	v_sub_u32_e32 v15, 0, v14
	v_cndmask_b32_e64 v5, v5, v8, s[0:1]
	v_xor_b32_e32 v16, v10, v15
	v_cndmask_b32_e64 v3, v3, v5, s[2:3]
	v_alignbit_b32 v5, v9, v3, v11
	v_ffbh_u32_e32 v8, v16
	v_cndmask_b32_e64 v5, v5, v9, s[4:5]
	v_add_u32_e32 v8, 1, v8
	v_cmp_ne_u32_e32 vcc, v10, v15
	v_alignbit_b32 v6, v6, v5, 30
	v_alignbit_b32 v3, v5, v3, 30
	v_cndmask_b32_e32 v8, 33, v8, vcc
	v_xor_b32_e32 v6, v6, v15
	v_sub_u32_e32 v9, 32, v8
	v_xor_b32_e32 v3, v3, v15
	v_alignbit_b32 v10, v16, v6, v9
	v_alignbit_b32 v3, v6, v3, v9
	;; [unrolled: 1-line block ×3, first 2 shown]
	v_ffbh_u32_e32 v6, v5
	v_min_u32_e32 v6, 32, v6
	v_lshrrev_b32_e32 v13, 29, v2
	v_sub_u32_e32 v9, 31, v6
	v_alignbit_b32 v3, v5, v3, v9
	v_lshlrev_b32_e32 v5, 31, v13
	v_or_b32_e32 v9, 0x33800000, v5
	v_add_lshl_u32 v6, v6, v8, 23
	v_lshrrev_b32_e32 v3, 9, v3
	v_sub_u32_e32 v6, v9, v6
	v_or_b32_e32 v3, v6, v3
	v_alignbit_b32 v6, v8, v10, 9
	v_or_b32_e32 v5, v6, v5
	v_xor_b32_e32 v5, 1.0, v5
	s_mov_b32 s0, 0x3fc90fda
	v_mul_f32_e32 v6, 0x3fc90fda, v5
	v_fma_f32 v8, v5, s0, -v6
	v_fmamk_f32 v5, v5, 0x33a22168, v8
	v_fmac_f32_e32 v5, 0x3fc90fda, v3
	v_lshrrev_b32_e32 v2, 30, v2
	v_add_f32_e32 v3, v6, v5
	v_add_u32_e32 v2, v14, v2
	s_andn2_saveexec_b64 s[0:1], s[12:13]
	s_branch .LBB22_124
.LBB22_53:
	s_andn2_saveexec_b64 s[0:1], s[0:1]
	s_cbranch_execz .LBB22_39
.LBB22_54:
	v_mov_b32_e32 v2, 4
	v_cmp_gt_i16_sdwa s[4:5], v3, v2 src0_sel:BYTE_0 src1_sel:DWORD
                                        ; implicit-def: $vgpr4
	s_and_saveexec_b64 s[6:7], s[4:5]
	s_xor_b64 s[4:5], exec, s[6:7]
	s_cbranch_execz .LBB22_76
; %bb.55:
	v_mov_b32_e32 v2, 7
	v_cmp_gt_i16_sdwa s[6:7], v3, v2 src0_sel:BYTE_0 src1_sel:DWORD
                                        ; implicit-def: $vgpr4
	s_and_saveexec_b64 s[8:9], s[6:7]
	s_xor_b64 s[6:7], exec, s[8:9]
	s_cbranch_execz .LBB22_65
; %bb.56:
	;; [unrolled: 7-line block ×4, first 2 shown]
	flat_load_dwordx2 v[0:1], v[0:1]
	s_waitcnt vmcnt(0) lgkmcnt(0)
	v_cvt_f32_f64_e32 v4, v[0:1]
                                        ; implicit-def: $vgpr0_vgpr1
.LBB22_59:
	s_andn2_saveexec_b64 s[10:11], s[10:11]
	s_cbranch_execz .LBB22_61
; %bb.60:
	flat_load_dword v4, v[0:1]
.LBB22_61:
	s_or_b64 exec, exec, s[10:11]
                                        ; implicit-def: $vgpr0_vgpr1
.LBB22_62:
	s_andn2_saveexec_b64 s[8:9], s[8:9]
	s_cbranch_execz .LBB22_64
; %bb.63:
	flat_load_dword v0, v[0:1]
	s_waitcnt vmcnt(0) lgkmcnt(0)
	v_cvt_f32_f16_e32 v4, v0
.LBB22_64:
	s_or_b64 exec, exec, s[8:9]
                                        ; implicit-def: $vgpr0_vgpr1
                                        ; implicit-def: $vgpr3
.LBB22_65:
	s_andn2_saveexec_b64 s[6:7], s[6:7]
	s_cbranch_execz .LBB22_75
; %bb.66:
	v_mov_b32_e32 v2, 5
	v_cmp_gt_i16_sdwa s[8:9], v3, v2 src0_sel:BYTE_0 src1_sel:DWORD
                                        ; implicit-def: $vgpr4
	s_and_saveexec_b64 s[10:11], s[8:9]
	s_xor_b64 s[8:9], exec, s[10:11]
	s_cbranch_execz .LBB22_72
; %bb.67:
	v_mov_b32_e32 v2, 6
	v_cmp_gt_i16_sdwa s[10:11], v3, v2 src0_sel:BYTE_0 src1_sel:DWORD
                                        ; implicit-def: $vgpr4
	s_and_saveexec_b64 s[12:13], s[10:11]
	s_xor_b64 s[10:11], exec, s[12:13]
	s_cbranch_execz .LBB22_69
; %bb.68:
	flat_load_dwordx2 v[0:1], v[0:1]
	s_waitcnt vmcnt(0) lgkmcnt(0)
	v_cvt_f32_f64_e32 v4, v[0:1]
                                        ; implicit-def: $vgpr0_vgpr1
.LBB22_69:
	s_andn2_saveexec_b64 s[10:11], s[10:11]
	s_cbranch_execz .LBB22_71
; %bb.70:
	s_waitcnt vmcnt(0) lgkmcnt(0)
	flat_load_dword v4, v[0:1]
.LBB22_71:
	s_or_b64 exec, exec, s[10:11]
                                        ; implicit-def: $vgpr0_vgpr1
.LBB22_72:
	s_andn2_saveexec_b64 s[8:9], s[8:9]
	s_cbranch_execz .LBB22_74
; %bb.73:
	flat_load_ushort v0, v[0:1]
	s_waitcnt vmcnt(0) lgkmcnt(0)
	v_cvt_f32_f16_e32 v4, v0
.LBB22_74:
	s_or_b64 exec, exec, s[8:9]
.LBB22_75:
	s_or_b64 exec, exec, s[6:7]
                                        ; implicit-def: $vgpr3
                                        ; implicit-def: $vgpr0_vgpr1
.LBB22_76:
	s_andn2_saveexec_b64 s[4:5], s[4:5]
	s_cbranch_execz .LBB22_94
; %bb.77:
	v_mov_b32_e32 v2, 1
	v_cmp_gt_i16_sdwa s[6:7], v3, v2 src0_sel:BYTE_0 src1_sel:DWORD
                                        ; implicit-def: $vgpr4
	s_and_saveexec_b64 s[8:9], s[6:7]
	s_xor_b64 s[6:7], exec, s[8:9]
	s_cbranch_execz .LBB22_87
; %bb.78:
	v_mov_b32_e32 v2, 2
	v_cmp_gt_i16_sdwa s[8:9], v3, v2 src0_sel:BYTE_0 src1_sel:DWORD
                                        ; implicit-def: $vgpr4
	s_and_saveexec_b64 s[10:11], s[8:9]
	s_xor_b64 s[8:9], exec, s[10:11]
	s_cbranch_execz .LBB22_84
; %bb.79:
	v_mov_b32_e32 v2, 3
	v_cmp_gt_i16_sdwa s[10:11], v3, v2 src0_sel:BYTE_0 src1_sel:DWORD
                                        ; implicit-def: $vgpr4
	s_and_saveexec_b64 s[12:13], s[10:11]
	s_xor_b64 s[10:11], exec, s[12:13]
	s_cbranch_execz .LBB22_81
; %bb.80:
	flat_load_dwordx2 v[0:1], v[0:1]
	s_waitcnt vmcnt(0) lgkmcnt(0)
	v_xor_b32_e32 v3, v0, v1
	v_ffbh_i32_e32 v2, v1
	v_ashrrev_i32_e32 v3, 31, v3
	v_add_u32_e32 v2, -1, v2
	v_add_u32_e32 v3, 32, v3
	v_min_u32_e32 v2, v2, v3
	v_lshlrev_b64 v[0:1], v2, v[0:1]
	v_min_u32_e32 v0, 1, v0
	v_or_b32_e32 v0, v1, v0
	v_cvt_f32_i32_e32 v0, v0
	v_sub_u32_e32 v1, 32, v2
	v_ldexp_f32 v4, v0, v1
                                        ; implicit-def: $vgpr0_vgpr1
.LBB22_81:
	s_andn2_saveexec_b64 s[10:11], s[10:11]
	s_cbranch_execz .LBB22_83
; %bb.82:
	flat_load_dword v0, v[0:1]
	s_waitcnt vmcnt(0) lgkmcnt(0)
	v_cvt_f32_i32_e32 v4, v0
.LBB22_83:
	s_or_b64 exec, exec, s[10:11]
                                        ; implicit-def: $vgpr0_vgpr1
.LBB22_84:
	s_andn2_saveexec_b64 s[8:9], s[8:9]
	s_cbranch_execz .LBB22_86
; %bb.85:
	flat_load_sshort v0, v[0:1]
	s_waitcnt vmcnt(0) lgkmcnt(0)
	v_cvt_f32_i32_e32 v4, v0
.LBB22_86:
	s_or_b64 exec, exec, s[8:9]
                                        ; implicit-def: $vgpr0_vgpr1
                                        ; implicit-def: $vgpr3
.LBB22_87:
	s_andn2_saveexec_b64 s[6:7], s[6:7]
	s_cbranch_execz .LBB22_93
; %bb.88:
	v_mov_b32_e32 v2, 0
	v_cmp_gt_i16_sdwa s[8:9], v3, v2 src0_sel:BYTE_0 src1_sel:DWORD
                                        ; implicit-def: $vgpr4
	s_and_saveexec_b64 s[10:11], s[8:9]
	s_xor_b64 s[8:9], exec, s[10:11]
	s_cbranch_execz .LBB22_90
; %bb.89:
	flat_load_sbyte v0, v[0:1]
	s_waitcnt vmcnt(0) lgkmcnt(0)
	v_cvt_f32_i32_e32 v4, v0
                                        ; implicit-def: $vgpr0_vgpr1
.LBB22_90:
	s_andn2_saveexec_b64 s[8:9], s[8:9]
	s_cbranch_execz .LBB22_92
; %bb.91:
	flat_load_ubyte v0, v[0:1]
	s_waitcnt vmcnt(0) lgkmcnt(0)
	v_cvt_f32_ubyte0_e32 v4, v0
.LBB22_92:
	s_or_b64 exec, exec, s[8:9]
.LBB22_93:
	s_or_b64 exec, exec, s[6:7]
.LBB22_94:
	s_or_b64 exec, exec, s[4:5]
	s_or_b64 s[2:3], s[2:3], exec
	s_or_b64 exec, exec, s[0:1]
                                        ; implicit-def: $vgpr0
	s_and_saveexec_b64 s[6:7], s[2:3]
	s_cbranch_execnz .LBB22_40
.LBB22_95:
	s_or_b64 exec, exec, s[6:7]
	s_waitcnt vmcnt(0) lgkmcnt(0)
	s_setpc_b64 s[30:31]
.LBB22_96:
	s_andn2_saveexec_b64 s[6:7], s[6:7]
	s_cbranch_execz .LBB22_35
.LBB22_97:
	v_mov_b32_e32 v2, 22
	v_cmp_gt_i16_sdwa s[2:3], v3, v2 src0_sel:BYTE_0 src1_sel:DWORD
	s_mov_b64 s[10:11], s[4:5]
                                        ; implicit-def: $vgpr4
	s_and_saveexec_b64 s[12:13], s[2:3]
	s_xor_b64 s[2:3], exec, s[12:13]
	s_cbranch_execz .LBB22_113
; %bb.98:
	v_mov_b32_e32 v2, 23
	v_cmp_gt_i16_sdwa s[10:11], v3, v2 src0_sel:BYTE_0 src1_sel:DWORD
                                        ; implicit-def: $vgpr4
	s_and_saveexec_b64 s[12:13], s[10:11]
	s_xor_b64 s[10:11], exec, s[12:13]
	s_cbranch_execz .LBB22_110
; %bb.99:
	v_mov_b32_e32 v2, 24
	v_cmp_gt_i16_sdwa s[12:13], v3, v2 src0_sel:BYTE_0 src1_sel:DWORD
                                        ; implicit-def: $vgpr4
	s_and_saveexec_b64 s[14:15], s[12:13]
	s_xor_b64 s[12:13], exec, s[14:15]
	s_cbranch_execz .LBB22_107
; %bb.100:
	flat_load_ubyte v2, v[0:1]
	s_movk_i32 s14, 0x7f
                                        ; implicit-def: $sgpr20
	s_waitcnt vmcnt(0) lgkmcnt(0)
	v_cmp_lt_i16_e32 vcc, s14, v2
	s_mov_b64 s[14:15], 0
	s_and_saveexec_b64 s[16:17], vcc
	s_xor_b64 s[16:17], exec, s[16:17]
	s_cbranch_execz .LBB22_133
; %bb.101:
	s_movk_i32 s14, 0x80
	v_cmp_eq_u16_e32 vcc, s14, v2
	s_mov_b64 s[14:15], -1
                                        ; implicit-def: $sgpr20
	s_and_saveexec_b64 s[18:19], vcc
; %bb.102:
	s_mov_b32 s20, 0x7f800001
	s_xor_b64 s[14:15], exec, -1
; %bb.103:
	s_or_b64 exec, exec, s[18:19]
	s_and_b64 s[14:15], s[14:15], exec
	s_or_saveexec_b64 s[16:17], s[16:17]
	v_mov_b32_e32 v4, s20
	s_xor_b64 exec, exec, s[16:17]
	s_cbranch_execnz .LBB22_134
.LBB22_104:
	s_or_b64 exec, exec, s[16:17]
	s_and_saveexec_b64 s[16:17], s[14:15]
	s_cbranch_execz .LBB22_106
.LBB22_105:
	v_lshlrev_b32_e32 v3, 24, v2
	v_and_b32_e32 v2, 0xffff, v2
	v_and_b32_e32 v4, 3, v2
	v_ffbh_u32_e32 v6, v4
	v_min_u32_e32 v6, 32, v6
	v_subrev_u32_e32 v7, 29, v6
	v_bfe_u32 v5, v2, 2, 5
	v_lshlrev_b32_e32 v2, v7, v2
	v_sub_u32_e32 v6, 30, v6
	v_and_b32_e32 v2, 3, v2
	v_cmp_eq_u32_e32 vcc, 0, v5
	v_and_b32_e32 v3, 0x80000000, v3
	s_nop 0
	v_cndmask_b32_e32 v5, v5, v6, vcc
	v_cndmask_b32_e32 v2, v4, v2, vcc
	v_mov_b32_e32 v4, 0x37800000
	v_lshlrev_b32_e32 v2, 21, v2
	v_lshl_add_u32 v4, v5, 23, v4
	v_or3_b32 v4, v3, v4, v2
.LBB22_106:
	s_or_b64 exec, exec, s[16:17]
.LBB22_107:
	s_andn2_saveexec_b64 s[12:13], s[12:13]
	s_cbranch_execz .LBB22_109
; %bb.108:
	flat_load_ubyte v2, v[0:1]
	s_mov_b32 s14, 0x7f800000
	s_waitcnt vmcnt(0) lgkmcnt(0)
	v_lshlrev_b32_e32 v2, 24, v2
	v_and_b32_e32 v3, 0x7f000000, v2
	v_ffbh_u32_e32 v4, v3
	v_min_u32_e32 v4, 32, v4
	v_sub_u32_e64 v4, v4, 4 clamp
	v_lshlrev_b32_e32 v6, v4, v3
	v_lshlrev_b32_e32 v4, 23, v4
	v_lshrrev_b32_e32 v6, 4, v6
	v_add_u32_e32 v5, 0x1000000, v3
	v_sub_u32_e32 v4, v6, v4
	v_ashrrev_i32_e32 v5, 8, v5
	v_add_u32_e32 v4, 0x3c000000, v4
	v_and_or_b32 v4, v5, s14, v4
	v_cmp_ne_u32_e32 vcc, 0, v3
	s_brev_b32 s14, 1
	s_nop 0
	v_cndmask_b32_e32 v3, 0, v4, vcc
	v_and_or_b32 v4, v2, s14, v3
.LBB22_109:
	s_or_b64 exec, exec, s[12:13]
.LBB22_110:
	s_andn2_saveexec_b64 s[10:11], s[10:11]
	s_cbranch_execz .LBB22_112
; %bb.111:
	flat_load_ubyte v2, v[0:1]
	s_movk_i32 s12, 0x7f00
	s_brev_b32 s13, 16
	s_waitcnt vmcnt(0) lgkmcnt(0)
	v_lshlrev_b16_e32 v3, 8, v2
	v_lshlrev_b32_e32 v2, 25, v2
	v_lshrrev_b32_e32 v4, 4, v2
	v_and_or_b32 v5, v3, s12, 0.5
	v_or_b32_e32 v4, 0x70000000, v4
	v_add_f32_e32 v5, -0.5, v5
	v_mul_f32_e32 v4, 0x7800000, v4
	v_cmp_gt_u32_e32 vcc, s13, v2
	v_bfe_i32 v3, v3, 0, 16
	s_brev_b32 s12, 1
	v_cndmask_b32_e32 v2, v4, v5, vcc
	v_and_or_b32 v4, v3, s12, v2
.LBB22_112:
	s_or_b64 exec, exec, s[10:11]
	s_or_b64 s[10:11], s[4:5], exec
                                        ; implicit-def: $vgpr3
.LBB22_113:
	s_or_saveexec_b64 s[2:3], s[2:3]
	s_mov_b64 s[14:15], 0
	s_mov_b64 s[12:13], s[8:9]
	s_xor_b64 exec, exec, s[2:3]
	s_cbranch_execz .LBB22_121
; %bb.114:
	v_mov_b32_e32 v2, 14
	v_cmp_gt_i16_sdwa s[16:17], v3, v2 src0_sel:BYTE_0 src1_sel:DWORD
	s_mov_b64 s[12:13], s[8:9]
	s_mov_b64 s[14:15], s[10:11]
                                        ; implicit-def: $vgpr4
	s_and_saveexec_b64 s[18:19], s[16:17]
	s_xor_b64 s[16:17], exec, s[18:19]
	s_cbranch_execz .LBB22_118
; %bb.115:
	v_mov_b32_e32 v2, 15
	v_cmp_eq_u16_sdwa s[20:21], v3, v2 src0_sel:BYTE_0 src1_sel:DWORD
	s_mov_b64 s[12:13], -1
	s_mov_b64 s[14:15], s[10:11]
                                        ; implicit-def: $vgpr4
	s_and_saveexec_b64 s[18:19], s[20:21]
	s_cbranch_execz .LBB22_117
; %bb.116:
	flat_load_ushort v2, v[0:1]
	s_or_b64 s[14:15], s[10:11], exec
	s_xor_b64 s[12:13], exec, -1
	s_waitcnt vmcnt(0) lgkmcnt(0)
	v_lshlrev_b32_e32 v4, 16, v2
.LBB22_117:
	s_or_b64 exec, exec, s[18:19]
	s_andn2_b64 s[18:19], s[10:11], exec
	s_and_b64 s[14:15], s[14:15], exec
	s_or_b64 s[14:15], s[18:19], s[14:15]
	s_andn2_b64 s[18:19], s[8:9], exec
	s_and_b64 s[12:13], s[12:13], exec
	s_or_b64 s[12:13], s[18:19], s[12:13]
                                        ; implicit-def: $vgpr3
.LBB22_118:
	s_or_saveexec_b64 s[16:17], s[16:17]
	s_mov_b64 s[18:19], 0
	s_xor_b64 exec, exec, s[16:17]
; %bb.119:
	v_mov_b32_e32 v2, 11
	v_cmp_ne_u16_sdwa s[20:21], v3, v2 src0_sel:BYTE_0 src1_sel:DWORD
	s_andn2_b64 s[12:13], s[12:13], exec
	s_and_b64 s[20:21], s[20:21], exec
	s_mov_b64 s[18:19], exec
	s_or_b64 s[12:13], s[12:13], s[20:21]
                                        ; implicit-def: $vgpr4
; %bb.120:
	s_or_b64 exec, exec, s[16:17]
	s_andn2_b64 s[10:11], s[10:11], exec
	s_and_b64 s[14:15], s[14:15], exec
	s_andn2_b64 s[16:17], s[8:9], exec
	s_and_b64 s[12:13], s[12:13], exec
	s_or_b64 s[10:11], s[10:11], s[14:15]
	s_and_b64 s[14:15], s[18:19], exec
	s_or_b64 s[12:13], s[16:17], s[12:13]
.LBB22_121:
	s_or_b64 exec, exec, s[2:3]
	s_andn2_b64 s[2:3], s[4:5], exec
	s_and_b64 s[4:5], s[10:11], exec
	s_andn2_b64 s[8:9], s[8:9], exec
	s_and_b64 s[10:11], s[12:13], exec
	s_or_b64 s[4:5], s[2:3], s[4:5]
	s_and_b64 s[2:3], s[14:15], exec
	s_or_b64 s[8:9], s[8:9], s[10:11]
	s_or_b64 exec, exec, s[6:7]
	s_and_saveexec_b64 s[6:7], s[8:9]
	s_cbranch_execz .LBB22_36
.LBB22_122:
	s_trap 2
	; divergent unreachable
	s_andn2_b64 s[2:3], s[2:3], exec
                                        ; implicit-def: $vgpr4
	s_or_b64 exec, exec, s[6:7]
	s_and_saveexec_b64 s[6:7], s[2:3]
	s_xor_b64 s[2:3], exec, s[6:7]
	s_cbranch_execnz .LBB22_37
	s_branch .LBB22_38
.LBB22_123:
	s_andn2_saveexec_b64 s[0:1], s[12:13]
.LBB22_124:
	s_mov_b32 s2, 0x3f22f983
	v_mul_f32_e64 v2, |v0|, s2
	v_rndne_f32_e32 v3, v2
	s_mov_b32 s2, 0xbfc90fda
	v_cvt_i32_f32_e32 v2, v3
	v_fma_f32 v5, v3, s2, |v0|
	v_fmamk_f32 v5, v3, 0xb3a22168, v5
	v_fmamk_f32 v3, v3, 0xa7c234c4, v5
; %bb.125:
	s_or_b64 exec, exec, s[0:1]
                                        ; implicit-def: $vgpr5
                                        ; implicit-def: $vgpr6
	s_and_saveexec_b64 s[0:1], s[10:11]
	s_xor_b64 s[10:11], exec, s[0:1]
	s_cbranch_execz .LBB22_127
; %bb.126:
	v_add_u32_e32 v5, 0xffffff88, v7
	v_not_b32_e32 v6, 63
	v_cmp_lt_u32_e32 vcc, 63, v5
	s_mov_b32 s4, 0xfe5163ab
	v_mov_b32_e32 v7, 0
	v_cndmask_b32_e32 v6, 0, v6, vcc
	v_add_u32_e32 v5, v6, v5
	v_not_b32_e32 v6, 31
	v_cmp_lt_u32_e64 s[0:1], 31, v5
	s_nop 1
	v_cndmask_b32_e64 v8, 0, v6, s[0:1]
	v_add_u32_e32 v5, v8, v5
	v_cmp_lt_u32_e64 s[2:3], 31, v5
	s_nop 1
	v_cndmask_b32_e64 v6, 0, v6, s[2:3]
	v_add_u32_e32 v5, v6, v5
	v_and_b32_e32 v6, 0x7fffff, v1
	v_or_b32_e32 v20, 0x800000, v6
	v_mad_u64_u32 v[8:9], s[4:5], v20, s4, 0
	v_mov_b32_e32 v6, v9
	s_mov_b32 s4, 0x3c439041
	v_mad_u64_u32 v[10:11], s[4:5], v20, s4, v[6:7]
	v_mov_b32_e32 v6, v11
	s_mov_b32 s4, 0xdb629599
	;; [unrolled: 3-line block ×6, first 2 shown]
	v_mad_u64_u32 v[6:7], s[4:5], v20, s4, v[6:7]
	v_cndmask_b32_e32 v9, v18, v14, vcc
	v_cndmask_b32_e32 v6, v6, v16, vcc
	;; [unrolled: 1-line block ×3, first 2 shown]
	v_cndmask_b32_e64 v11, v6, v9, s[0:1]
	v_cndmask_b32_e64 v6, v7, v6, s[0:1]
	v_cndmask_b32_e32 v7, v16, v12, vcc
	v_cndmask_b32_e64 v9, v9, v7, s[0:1]
	v_cndmask_b32_e64 v6, v6, v11, s[2:3]
	;; [unrolled: 1-line block ×3, first 2 shown]
	v_sub_u32_e32 v13, 32, v5
	v_alignbit_b32 v15, v6, v11, v13
	v_cmp_eq_u32_e64 s[4:5], 0, v5
	v_cndmask_b32_e32 v8, v12, v8, vcc
	s_nop 0
	v_cndmask_b32_e64 v5, v15, v6, s[4:5]
	v_cndmask_b32_e32 v6, v14, v10, vcc
	v_cndmask_b32_e64 v7, v7, v6, s[0:1]
	v_cndmask_b32_e64 v9, v9, v7, s[2:3]
	v_alignbit_b32 v10, v11, v9, v13
	v_cndmask_b32_e64 v10, v10, v11, s[4:5]
	v_bfe_u32 v15, v5, 29, 1
	v_cndmask_b32_e64 v6, v6, v8, s[0:1]
	v_alignbit_b32 v11, v5, v10, 30
	v_sub_u32_e32 v16, 0, v15
	v_cndmask_b32_e64 v6, v7, v6, s[2:3]
	v_xor_b32_e32 v17, v11, v16
	v_alignbit_b32 v7, v9, v6, v13
	v_cndmask_b32_e64 v7, v7, v9, s[4:5]
	v_ffbh_u32_e32 v9, v17
	v_add_u32_e32 v9, 1, v9
	v_cmp_ne_u32_e32 vcc, v11, v16
	v_alignbit_b32 v8, v10, v7, 30
	v_alignbit_b32 v6, v7, v6, 30
	v_cndmask_b32_e32 v9, 33, v9, vcc
	v_xor_b32_e32 v8, v8, v16
	v_sub_u32_e32 v10, 32, v9
	v_xor_b32_e32 v6, v6, v16
	v_alignbit_b32 v11, v17, v8, v10
	v_alignbit_b32 v6, v8, v6, v10
	;; [unrolled: 1-line block ×3, first 2 shown]
	v_ffbh_u32_e32 v8, v7
	v_min_u32_e32 v8, 32, v8
	v_lshrrev_b32_e32 v14, 29, v5
	v_sub_u32_e32 v10, 31, v8
	v_alignbit_b32 v6, v7, v6, v10
	v_lshlrev_b32_e32 v7, 31, v14
	v_or_b32_e32 v10, 0x33800000, v7
	v_add_lshl_u32 v8, v8, v9, 23
	v_lshrrev_b32_e32 v6, 9, v6
	v_sub_u32_e32 v8, v10, v8
	v_or_b32_e32 v6, v8, v6
	v_alignbit_b32 v8, v9, v11, 9
	v_or_b32_e32 v7, v8, v7
	v_xor_b32_e32 v7, 1.0, v7
	s_mov_b32 s0, 0x3fc90fda
	v_mul_f32_e32 v8, 0x3fc90fda, v7
	v_fma_f32 v9, v7, s0, -v8
	v_fmamk_f32 v7, v7, 0x33a22168, v9
	v_fmac_f32_e32 v7, 0x3fc90fda, v6
	v_lshrrev_b32_e32 v5, 30, v5
	v_add_f32_e32 v6, v8, v7
	v_add_u32_e32 v5, v15, v5
	s_andn2_saveexec_b64 s[0:1], s[10:11]
	s_cbranch_execnz .LBB22_128
	s_branch .LBB22_129
.LBB22_127:
	s_andn2_saveexec_b64 s[0:1], s[10:11]
.LBB22_128:
	s_mov_b32 s2, 0x3f22f983
	v_mul_f32_e64 v5, |v0|, s2
	v_rndne_f32_e32 v6, v5
	s_mov_b32 s2, 0xbfc90fda
	v_cvt_i32_f32_e32 v5, v6
	v_fma_f32 v7, v6, s2, |v0|
	v_fmamk_f32 v7, v6, 0xb3a22168, v7
	v_fmamk_f32 v6, v6, 0xa7c234c4, v7
.LBB22_129:
	s_or_b64 exec, exec, s[0:1]
	v_mul_f32_e32 v7, v4, v4
	s_mov_b32 s2, 0x41c80000
	v_div_scale_f32 v8, s[0:1], v7, v7, s2
	v_rcp_f32_e32 v9, v8
	v_xor_b32_e32 v1, v1, v0
	s_mov_b32 s4, 0x40a00000
	v_mov_b32_e32 v16, 0xbf000004
	v_fma_f32 v10, -v8, v9, 1.0
	v_fmac_f32_e32 v9, v10, v9
	v_div_scale_f32 v10, vcc, s2, v7, s2
	v_mul_f32_e32 v11, v10, v9
	v_fma_f32 v12, -v8, v11, v10
	v_fmac_f32_e32 v11, v12, v9
	v_fma_f32 v8, -v8, v11, v10
	v_div_fmas_f32 v8, v8, v9, v11
	v_div_fixup_f32 v7, v8, v7, s2
	v_mov_b32_e32 v8, 0x3a50e985
	v_mov_b32_e32 v9, 0x3a725406
	v_fmac_f32_e32 v8, 0, v7
	v_fmac_f32_e32 v9, 0, v7
	v_fmaak_f32 v8, v7, v8, 0x3da9a586
	v_fmaak_f32 v9, v7, v9, 0x3daf5e2d
	;; [unrolled: 1-line block ×8, first 2 shown]
	v_mov_b32_e32 v10, 0xbc3a3a12
	v_fmaak_f32 v8, v7, v8, 0x40a9b425
	v_fmaak_f32 v9, v7, v9, 0x40a9cb2f
	v_fmac_f32_e32 v10, 0, v7
	v_mov_b32_e32 v11, 0x4280a2ba
	v_fma_f32 v9, v7, v9, 1.0
	v_fmaak_f32 v10, v7, v10, 0xbfa429da
	v_fmac_f32_e32 v11, 0, v7
	v_fma_f32 v8, v7, v8, 1.0
	v_fmaak_f32 v10, v7, v10, 0xc19c6e80
	v_fmaak_f32 v11, v7, v11, 0x44561b86
	v_div_scale_f32 v12, s[0:1], v9, v9, v8
	v_fmaak_f32 v10, v7, v10, 0xc2ba697b
	v_fmaak_f32 v11, v7, v11, 0x4572a66e
	v_rcp_f32_e32 v13, v12
	v_fmaak_f32 v10, v7, v10, 0xc331ae61
	v_fmaak_f32 v11, v7, v11, 0x45e243be
	;; [unrolled: 1-line block ×8, first 2 shown]
	v_fma_f32 v11, -v12, v13, 1.0
	v_fmac_f32_e32 v13, v11, v13
	v_div_scale_f32 v11, vcc, v8, v9, v8
	v_mul_f32_e32 v14, v11, v13
	v_fma_f32 v15, -v12, v14, v11
	v_fmac_f32_e32 v14, v15, v13
	v_fma_f32 v11, -v12, v14, v11
	v_div_fmas_f32 v11, v11, v13, v14
	v_div_fixup_f32 v8, v11, v9, v8
	v_mul_f32_e32 v9, v3, v3
	v_mov_b32_e32 v11, 0x3c0881c4
	v_fmamk_f32 v12, v9, 0xb94c1982, v11
	v_fmaak_f32 v12, v9, v12, 0xbe2aaa9d
	v_mul_f32_e32 v12, v9, v12
	v_fmac_f32_e32 v3, v3, v12
	v_mov_b32_e32 v12, 0xbab64f3b
	v_fmamk_f32 v14, v9, 0x37d75334, v12
	v_fmaak_f32 v14, v9, v14, 0x3d2aabf7
	v_fmaak_f32 v14, v9, v14, 0xbf000004
	v_fma_f32 v9, v9, v14, 1.0
	v_and_b32_e32 v14, 1, v2
	v_lshlrev_b32_e32 v2, 30, v2
	v_cmp_eq_u32_e32 vcc, 0, v14
	v_and_b32_e32 v2, 0x80000000, v2
	v_xor_b32_e32 v1, v1, v2
	v_cndmask_b32_e32 v3, v9, v3, vcc
	v_div_scale_f32 v2, s[0:1], v4, v4, s4
	v_xor_b32_e32 v1, v1, v3
	v_rcp_f32_e32 v3, v2
	s_movk_i32 s2, 0x1f8
	v_mov_b32_e32 v9, 0x7fc00000
	v_cmp_class_f32_e64 s[0:1], v0, s2
	v_mov_b32_e32 v13, 0xbe2aaa9d
	v_mov_b32_e32 v15, 0x3d2aabf7
	v_cndmask_b32_e64 v0, v9, v1, s[0:1]
	v_fma_f32 v1, -v2, v3, 1.0
	v_fmac_f32_e32 v3, v1, v3
	v_div_scale_f32 v1, vcc, s4, v4, s4
	v_mul_f32_e32 v14, v1, v3
	v_fma_f32 v17, -v2, v14, v1
	v_fmac_f32_e32 v14, v17, v3
	v_fma_f32 v1, -v2, v14, v1
	v_div_scale_f32 v2, s[2:3], v7, v7, v10
	v_rcp_f32_e32 v17, v2
	v_div_fmas_f32 v1, v1, v3, v14
	v_div_fixup_f32 v1, v1, v4, s4
	v_fma_f32 v3, -v2, v17, 1.0
	v_fmac_f32_e32 v17, v3, v17
	v_div_scale_f32 v3, vcc, v10, v7, v10
	v_mul_f32_e32 v14, v3, v17
	v_fma_f32 v18, -v2, v14, v3
	v_fmac_f32_e32 v14, v18, v17
	v_fma_f32 v2, -v2, v14, v3
	v_div_fmas_f32 v2, v2, v17, v14
	v_div_fixup_f32 v2, v2, v7, v10
	v_mul_f32_e32 v1, v1, v2
	v_mul_f32_e32 v2, v6, v6
	v_fmac_f32_e32 v11, 0xb94c1982, v2
	v_fmac_f32_e32 v13, v2, v11
	;; [unrolled: 1-line block ×3, first 2 shown]
	v_mul_f32_e32 v3, v2, v13
	v_fmac_f32_e32 v15, v2, v12
	v_fmac_f32_e32 v6, v6, v3
	;; [unrolled: 1-line block ×3, first 2 shown]
	v_and_b32_e32 v3, 1, v5
	v_fma_f32 v2, v2, v16, 1.0
	v_cmp_eq_u32_e32 vcc, 0, v3
	v_lshlrev_b32_e32 v3, 30, v5
	v_and_b32_e32 v3, 0x80000000, v3
	v_cndmask_b32_e64 v2, -v6, v2, vcc
	v_xor_b32_e32 v2, v3, v2
	v_cndmask_b32_e64 v2, v9, v2, s[0:1]
	s_mov_b32 s0, 0xf800000
	v_mul_f32_e32 v3, 0x4f800000, v4
	v_cmp_gt_f32_e32 vcc, s0, v4
	v_mul_f32_e32 v1, v1, v2
	v_fmac_f32_e32 v1, v8, v0
	v_cndmask_b32_e32 v3, v4, v3, vcc
	v_sqrt_f32_e32 v4, v3
	v_mul_f32_e32 v0, 0x3f4c422a, v1
	v_add_u32_e32 v1, -1, v4
	v_fma_f32 v2, -v1, v4, v3
	v_cmp_ge_f32_e64 s[0:1], 0, v2
	v_add_u32_e32 v2, 1, v4
	s_nop 0
	v_cndmask_b32_e64 v1, v4, v1, s[0:1]
	v_fma_f32 v4, -v2, v4, v3
	v_cmp_lt_f32_e64 s[0:1], 0, v4
	s_nop 1
	v_cndmask_b32_e64 v1, v1, v2, s[0:1]
	v_mul_f32_e32 v2, 0x37800000, v1
	v_cndmask_b32_e32 v1, v1, v2, vcc
	v_mov_b32_e32 v2, 0x260
	v_cmp_class_f32_e32 vcc, v3, v2
	s_nop 1
	v_cndmask_b32_e32 v1, v1, v3, vcc
	v_div_scale_f32 v2, s[0:1], v1, v1, v0
	v_rcp_f32_e32 v3, v2
	s_nop 0
	v_fma_f32 v4, -v2, v3, 1.0
	v_fmac_f32_e32 v3, v4, v3
	v_div_scale_f32 v4, vcc, v0, v1, v0
	v_mul_f32_e32 v5, v4, v3
	v_fma_f32 v6, -v2, v5, v4
	v_fmac_f32_e32 v5, v6, v3
	v_fma_f32 v2, -v2, v5, v4
	v_div_fmas_f32 v2, v2, v3, v5
	v_div_fixup_f32 v0, v2, v1, v0
.LBB22_130:
	s_or_b64 exec, exec, s[8:9]
	s_or_b64 exec, exec, s[6:7]
	s_setpc_b64 s[30:31]
.LBB22_131:
	s_or_saveexec_b64 s[16:17], s[16:17]
	v_mov_b32_e32 v4, s20
	s_xor_b64 exec, exec, s[16:17]
	s_cbranch_execz .LBB22_30
.LBB22_132:
	v_cmp_ne_u16_e32 vcc, 0, v2
	s_andn2_b64 s[14:15], s[14:15], exec
	s_and_b64 s[18:19], vcc, exec
	v_mov_b32_e32 v4, 0
	s_or_b64 s[14:15], s[14:15], s[18:19]
	s_or_b64 exec, exec, s[16:17]
	s_and_saveexec_b64 s[16:17], s[14:15]
	s_cbranch_execnz .LBB22_31
	s_branch .LBB22_32
.LBB22_133:
	s_or_saveexec_b64 s[16:17], s[16:17]
	v_mov_b32_e32 v4, s20
	s_xor_b64 exec, exec, s[16:17]
	s_cbranch_execz .LBB22_104
.LBB22_134:
	v_cmp_ne_u16_e32 vcc, 0, v2
	s_andn2_b64 s[14:15], s[14:15], exec
	s_and_b64 s[18:19], vcc, exec
	v_mov_b32_e32 v4, 0
	s_or_b64 s[14:15], s[14:15], s[18:19]
	s_or_b64 exec, exec, s[16:17]
	s_and_saveexec_b64 s[16:17], s[14:15]
	s_cbranch_execnz .LBB22_105
	s_branch .LBB22_106
.Lfunc_end22:
	.size	_ZN2at6native6invokeIZZZNS0_12_GLOBAL__N_121bessel_y0_kernel_cudaERNS_18TensorIteratorBaseEENKUlvE_clEvENKUlvE0_clEvEUlfE_i15function_traitsIS7_EEENT1_11result_typeERKT_PrKPcPKT0_PKN3c1010ScalarTypeEi, .Lfunc_end22-_ZN2at6native6invokeIZZZNS0_12_GLOBAL__N_121bessel_y0_kernel_cudaERNS_18TensorIteratorBaseEENKUlvE_clEvENKUlvE0_clEvEUlfE_i15function_traitsIS7_EEENT1_11result_typeERKT_PrKPcPKT0_PKN3c1010ScalarTypeEi
                                        ; -- End function
	.section	.AMDGPU.csdata,"",@progbits
; Function info:
; codeLenInByte = 5604
; NumSgprs: 38
; NumVgprs: 21
; NumAgprs: 0
; TotalNumVgprs: 21
; ScratchSize: 0
; MemoryBound: 1
	.section	.text._ZN2at6native32elementwise_kernel_manual_unrollILi128ELi4EZNS0_15gpu_kernel_implIZZZNS0_12_GLOBAL__N_121bessel_y0_kernel_cudaERNS_18TensorIteratorBaseEENKUlvE_clEvENKUlvE0_clEvEUlfE_EEvS5_RKT_EUlibE_EEviT1_,"axG",@progbits,_ZN2at6native32elementwise_kernel_manual_unrollILi128ELi4EZNS0_15gpu_kernel_implIZZZNS0_12_GLOBAL__N_121bessel_y0_kernel_cudaERNS_18TensorIteratorBaseEENKUlvE_clEvENKUlvE0_clEvEUlfE_EEvS5_RKT_EUlibE_EEviT1_,comdat
	.globl	_ZN2at6native32elementwise_kernel_manual_unrollILi128ELi4EZNS0_15gpu_kernel_implIZZZNS0_12_GLOBAL__N_121bessel_y0_kernel_cudaERNS_18TensorIteratorBaseEENKUlvE_clEvENKUlvE0_clEvEUlfE_EEvS5_RKT_EUlibE_EEviT1_ ; -- Begin function _ZN2at6native32elementwise_kernel_manual_unrollILi128ELi4EZNS0_15gpu_kernel_implIZZZNS0_12_GLOBAL__N_121bessel_y0_kernel_cudaERNS_18TensorIteratorBaseEENKUlvE_clEvENKUlvE0_clEvEUlfE_EEvS5_RKT_EUlibE_EEviT1_
	.p2align	8
	.type	_ZN2at6native32elementwise_kernel_manual_unrollILi128ELi4EZNS0_15gpu_kernel_implIZZZNS0_12_GLOBAL__N_121bessel_y0_kernel_cudaERNS_18TensorIteratorBaseEENKUlvE_clEvENKUlvE0_clEvEUlfE_EEvS5_RKT_EUlibE_EEviT1_,@function
_ZN2at6native32elementwise_kernel_manual_unrollILi128ELi4EZNS0_15gpu_kernel_implIZZZNS0_12_GLOBAL__N_121bessel_y0_kernel_cudaERNS_18TensorIteratorBaseEENKUlvE_clEvENKUlvE0_clEvEUlfE_EEvS5_RKT_EUlibE_EEviT1_: ; @_ZN2at6native32elementwise_kernel_manual_unrollILi128ELi4EZNS0_15gpu_kernel_implIZZZNS0_12_GLOBAL__N_121bessel_y0_kernel_cudaERNS_18TensorIteratorBaseEENKUlvE_clEvENKUlvE0_clEvEUlfE_EEvS5_RKT_EUlibE_EEviT1_
; %bb.0:
	v_mov_b32_e32 v1, 0
	global_load_ushort v28, v1, s[0:1] offset:33
	s_load_dwordx4 s[24:27], s[0:1], 0x8
	s_load_dwordx2 s[28:29], s[0:1], 0x18
	s_load_dword s33, s[0:1], 0x0
	v_lshl_or_b32 v21, s2, 9, v0
	v_or_b32_e32 v25, 0x180, v21
	s_mov_b64 s[34:35], 0
	s_mov_b64 s[38:39], 0
	s_waitcnt lgkmcnt(0)
	v_cmp_le_i32_e32 vcc, s33, v25
	s_mov_b32 s32, 0
	s_waitcnt vmcnt(0)
	v_lshrrev_b16_e32 v23, 8, v28
	s_and_saveexec_b64 s[0:1], vcc
	s_xor_b64 s[36:37], exec, s[0:1]
	s_cbranch_execz .LBB23_512
; %bb.1:
	v_cmp_gt_i32_e32 vcc, s33, v21
	s_mov_b64 s[0:1], -1
	s_mov_b64 s[44:45], 0
	s_and_saveexec_b64 s[40:41], vcc
	s_cbranch_execz .LBB23_124
; %bb.2:
	v_mov_b32_e32 v0, s26
	v_mov_b32_e32 v1, s27
	;; [unrolled: 1-line block ×5, first 2 shown]
	s_getpc_b64 s[0:1]
	s_add_u32 s0, s0, _ZN2at6native6invokeIZZZNS0_12_GLOBAL__N_121bessel_y0_kernel_cudaERNS_18TensorIteratorBaseEENKUlvE_clEvENKUlvE0_clEvEUlfE_i15function_traitsIS7_EEENT1_11result_typeERKT_PrKPcPKT0_PKN3c1010ScalarTypeEi@rel32@lo+4
	s_addc_u32 s1, s1, _ZN2at6native6invokeIZZZNS0_12_GLOBAL__N_121bessel_y0_kernel_cudaERNS_18TensorIteratorBaseEENKUlvE_clEvENKUlvE0_clEvEUlfE_i15function_traitsIS7_EEENT1_11result_typeERKT_PrKPcPKT0_PKN3c1010ScalarTypeEi@rel32@hi+12
	s_swappc_b64 s[30:31], s[0:1]
	v_mul_lo_u32 v2, v21, s28
	v_mov_b32_e32 v1, 11
	v_ashrrev_i32_e32 v3, 31, v2
	v_cmp_lt_i16_sdwa s[0:1], v28, v1 src0_sel:BYTE_0 src1_sel:DWORD
	v_lshl_add_u64 v[2:3], s[24:25], 0, v[2:3]
	s_and_b64 vcc, exec, s[0:1]
	s_cbranch_vccnz .LBB23_9
; %bb.3:
	v_mov_b32_e32 v1, 25
	v_cmp_gt_i16_sdwa s[0:1], v28, v1 src0_sel:BYTE_0 src1_sel:DWORD
	s_and_b64 vcc, exec, s[0:1]
	s_cbranch_vccz .LBB23_12
; %bb.4:
	v_mov_b32_e32 v1, 28
	v_cmp_gt_i16_sdwa s[0:1], v28, v1 src0_sel:BYTE_0 src1_sel:DWORD
	s_and_b64 vcc, exec, s[0:1]
	s_cbranch_vccz .LBB23_13
	;; [unrolled: 5-line block ×4, first 2 shown]
; %bb.7:
	v_mov_b32_e32 v1, 46
	v_cmp_eq_u16_sdwa s[2:3], v28, v1 src0_sel:BYTE_0 src1_sel:DWORD
	s_mov_b64 s[4:5], 0
	s_mov_b64 s[0:1], -1
	s_and_b64 vcc, exec, s[2:3]
	s_mov_b64 s[2:3], 0
	s_cbranch_vccz .LBB23_16
; %bb.8:
	v_bfe_u32 v1, v0, 16, 1
	s_movk_i32 s0, 0x7fff
	v_add3_u32 v1, v0, v1, s0
	v_lshrrev_b32_e32 v1, 16, v1
	v_mov_b32_e32 v4, 0x7fc0
	v_cmp_o_f32_e32 vcc, v0, v0
	s_mov_b64 s[2:3], -1
	s_mov_b64 s[0:1], 0
	v_cndmask_b32_e32 v1, v4, v1, vcc
	global_store_dword v[2:3], v1, off
	s_branch .LBB23_16
.LBB23_9:
	s_mov_b64 s[0:1], 0
	s_mov_b64 s[2:3], 0
	s_cbranch_execnz .LBB23_84
.LBB23_10:
	s_andn2_b64 vcc, exec, s[2:3]
	s_cbranch_vccnz .LBB23_122
.LBB23_11:
	v_add_u32_e32 v21, 0x80, v21
	s_mov_b64 s[2:3], -1
	s_branch .LBB23_123
.LBB23_12:
	s_mov_b64 s[0:1], 0
	s_mov_b64 s[2:3], 0
	s_cbranch_execnz .LBB23_43
	s_branch .LBB23_83
.LBB23_13:
	s_mov_b64 s[4:5], -1
	s_mov_b64 s[0:1], 0
	s_mov_b64 s[2:3], 0
	s_branch .LBB23_26
.LBB23_14:
	s_mov_b64 s[4:5], -1
	s_mov_b64 s[0:1], 0
	s_mov_b64 s[2:3], 0
	s_branch .LBB23_22
.LBB23_15:
	s_mov_b64 s[4:5], -1
	s_mov_b64 s[0:1], 0
	s_mov_b64 s[2:3], 0
.LBB23_16:
	s_and_b64 vcc, exec, s[4:5]
	s_cbranch_vccz .LBB23_21
; %bb.17:
	v_mov_b32_e32 v1, 44
	v_cmp_eq_u16_sdwa s[4:5], v28, v1 src0_sel:BYTE_0 src1_sel:DWORD
	s_mov_b64 s[0:1], -1
	s_and_b64 vcc, exec, s[4:5]
	s_cbranch_vccz .LBB23_21
; %bb.18:
	v_bfe_u32 v1, v0, 23, 8
	s_movk_i32 s0, 0xff
	v_cmp_ne_u32_e32 vcc, s0, v1
	v_mov_b32_e32 v4, 0xff
	s_and_saveexec_b64 s[2:3], vcc
; %bb.19:
	s_mov_b32 s0, 0x3fffff
	v_and_b32_e32 v5, 0x400000, v0
	v_and_or_b32 v1, v0, s0, v1
	v_cmp_ne_u32_e32 vcc, 0, v5
	v_cmp_ne_u32_e64 s[0:1], 0, v1
	s_and_b64 s[0:1], vcc, s[0:1]
	v_lshrrev_b32_e32 v4, 23, v0
	v_cndmask_b32_e64 v1, 0, 1, s[0:1]
	v_add_u32_e32 v4, v4, v1
; %bb.20:
	s_or_b64 exec, exec, s[2:3]
	s_mov_b64 s[2:3], -1
	s_mov_b64 s[0:1], 0
	global_store_byte v[2:3], v4, off
.LBB23_21:
	s_mov_b64 s[4:5], 0
.LBB23_22:
	s_and_b64 vcc, exec, s[4:5]
	s_cbranch_vccz .LBB23_25
; %bb.23:
	v_mov_b32_e32 v1, 29
	v_cmp_eq_u16_sdwa s[4:5], v28, v1 src0_sel:BYTE_0 src1_sel:DWORD
	s_mov_b64 s[0:1], -1
	s_and_b64 vcc, exec, s[4:5]
	s_cbranch_vccz .LBB23_25
; %bb.24:
	v_trunc_f32_e32 v1, v0
	v_mul_f32_e32 v4, 0x2f800000, v1
	v_floor_f32_e32 v4, v4
	v_fmamk_f32 v1, v4, 0xcf800000, v1
	v_cvt_u32_f32_e32 v5, v4
	v_cvt_u32_f32_e32 v4, v1
	s_mov_b64 s[2:3], -1
	s_mov_b64 s[0:1], 0
	s_mov_b64 s[4:5], 0
	global_store_dwordx2 v[2:3], v[4:5], off
	s_branch .LBB23_26
.LBB23_25:
	s_mov_b64 s[4:5], 0
.LBB23_26:
	s_and_b64 vcc, exec, s[4:5]
	s_cbranch_vccz .LBB23_42
; %bb.27:
	v_mov_b32_e32 v1, 27
	v_cmp_lt_i16_sdwa s[4:5], v28, v1 src0_sel:BYTE_0 src1_sel:DWORD
	s_mov_b64 s[2:3], -1
	s_and_b64 vcc, exec, s[4:5]
	s_cbranch_vccnz .LBB23_33
; %bb.28:
	v_cmp_gt_i16_sdwa s[4:5], v28, v1 src0_sel:BYTE_0 src1_sel:DWORD
	v_cvt_u32_f32_e32 v1, v0
	s_and_b64 vcc, exec, s[4:5]
	s_cbranch_vccz .LBB23_30
; %bb.29:
	s_mov_b64 s[2:3], 0
	global_store_dword v[2:3], v1, off
.LBB23_30:
	s_andn2_b64 vcc, exec, s[2:3]
	s_cbranch_vccnz .LBB23_32
; %bb.31:
	global_store_short v[2:3], v1, off
.LBB23_32:
	s_mov_b64 s[2:3], 0
.LBB23_33:
	s_andn2_b64 vcc, exec, s[2:3]
	s_cbranch_vccnz .LBB23_41
; %bb.34:
	v_and_b32_e32 v1, 0x7fffffff, v0
	s_mov_b32 s2, 0x43800000
	v_cmp_gt_u32_e32 vcc, s2, v1
	v_mov_b32_e32 v4, 0x80
	s_and_saveexec_b64 s[2:3], vcc
	s_cbranch_execz .LBB23_40
; %bb.35:
	s_mov_b32 s4, 0x3bffffff
	v_cmp_lt_u32_e32 vcc, s4, v1
	s_mov_b64 s[4:5], 0
                                        ; implicit-def: $vgpr1
	s_and_saveexec_b64 s[6:7], vcc
	s_xor_b64 s[6:7], exec, s[6:7]
	s_cbranch_execz .LBB23_141
; %bb.36:
	v_bfe_u32 v1, v0, 20, 1
	s_mov_b32 s8, 0x487ffff
	v_add3_u32 v1, v0, v1, s8
	s_mov_b64 s[4:5], exec
	v_lshrrev_b32_e32 v1, 20, v1
	s_or_saveexec_b64 s[6:7], s[6:7]
                                        ; implicit-def: $sgpr8
	s_xor_b64 exec, exec, s[6:7]
	s_cbranch_execnz .LBB23_142
.LBB23_37:
	s_or_b64 exec, exec, s[6:7]
	v_mov_b32_e32 v4, s8
	s_and_saveexec_b64 s[6:7], s[4:5]
.LBB23_38:
	v_lshrrev_b32_e32 v4, 24, v0
	s_movk_i32 s4, 0x80
	v_and_or_b32 v4, v4, s4, v1
.LBB23_39:
	s_or_b64 exec, exec, s[6:7]
.LBB23_40:
	s_or_b64 exec, exec, s[2:3]
	global_store_byte v[2:3], v4, off
.LBB23_41:
	s_mov_b64 s[2:3], -1
.LBB23_42:
	s_branch .LBB23_83
.LBB23_43:
	v_mov_b32_e32 v1, 22
	v_cmp_gt_i16_sdwa s[6:7], v28, v1 src0_sel:BYTE_0 src1_sel:DWORD
	s_mov_b64 s[4:5], -1
	s_and_b64 vcc, exec, s[6:7]
	s_cbranch_vccz .LBB23_75
; %bb.44:
	v_mov_b32_e32 v1, 24
	v_cmp_lt_i16_sdwa s[4:5], v28, v1 src0_sel:BYTE_0 src1_sel:DWORD
	s_mov_b64 s[2:3], -1
	s_and_b64 vcc, exec, s[4:5]
	s_cbranch_vccnz .LBB23_64
; %bb.45:
	v_cmp_gt_i16_sdwa s[4:5], v28, v1 src0_sel:BYTE_0 src1_sel:DWORD
	s_and_b64 vcc, exec, s[4:5]
	s_cbranch_vccz .LBB23_53
; %bb.46:
	v_and_b32_e32 v1, 0x7fffffff, v0
	s_mov_b32 s2, 0x47800000
	v_cmp_gt_u32_e32 vcc, s2, v1
	v_mov_b32_e32 v4, 0x80
	s_and_saveexec_b64 s[2:3], vcc
	s_cbranch_execz .LBB23_52
; %bb.47:
	s_mov_b32 s4, 0x37ffffff
	v_cmp_lt_u32_e32 vcc, s4, v1
	s_mov_b64 s[4:5], 0
                                        ; implicit-def: $vgpr1
	s_and_saveexec_b64 s[6:7], vcc
	s_xor_b64 s[6:7], exec, s[6:7]
	s_cbranch_execz .LBB23_144
; %bb.48:
	v_bfe_u32 v1, v0, 21, 1
	s_mov_b32 s8, 0x88fffff
	v_add3_u32 v1, v0, v1, s8
	s_mov_b64 s[4:5], exec
	v_lshrrev_b32_e32 v1, 21, v1
	s_or_saveexec_b64 s[6:7], s[6:7]
                                        ; implicit-def: $sgpr8
	s_xor_b64 exec, exec, s[6:7]
	s_cbranch_execnz .LBB23_145
.LBB23_49:
	s_or_b64 exec, exec, s[6:7]
	v_mov_b32_e32 v4, s8
	s_and_saveexec_b64 s[6:7], s[4:5]
.LBB23_50:
	v_lshrrev_b32_e32 v4, 24, v0
	s_movk_i32 s4, 0x80
	v_and_or_b32 v4, v4, s4, v1
.LBB23_51:
	s_or_b64 exec, exec, s[6:7]
.LBB23_52:
	s_or_b64 exec, exec, s[2:3]
	s_mov_b64 s[2:3], 0
	global_store_byte v[2:3], v4, off
.LBB23_53:
	s_and_b64 vcc, exec, s[2:3]
	s_cbranch_vccz .LBB23_63
; %bb.54:
	v_and_b32_e32 v4, 0x7fffffff, v0
	s_mov_b32 s2, 0x43f00000
	v_cmp_gt_u32_e32 vcc, s2, v4
                                        ; implicit-def: $vgpr1
	s_and_saveexec_b64 s[2:3], vcc
	s_xor_b64 s[2:3], exec, s[2:3]
	s_cbranch_execz .LBB23_60
; %bb.55:
	s_mov_b32 s4, 0x3c7fffff
	v_cmp_lt_u32_e32 vcc, s4, v4
                                        ; implicit-def: $vgpr1
	s_and_saveexec_b64 s[4:5], vcc
	s_xor_b64 s[4:5], exec, s[4:5]
; %bb.56:
	v_bfe_u32 v1, v0, 20, 1
	s_mov_b32 s6, 0x407ffff
	v_add3_u32 v1, v0, v1, s6
	v_lshrrev_b32_e32 v4, 20, v1
	v_and_b32_e32 v1, 0xff00000, v1
	s_mov_b32 s6, 0x7f00000
	v_mov_b32_e32 v5, 0x7e
	v_cmp_ne_u32_e32 vcc, s6, v1
	s_nop 1
	v_cndmask_b32_e32 v1, v5, v4, vcc
; %bb.57:
	s_andn2_saveexec_b64 s[4:5], s[4:5]
; %bb.58:
	s_mov_b32 s6, 0x46800000
	v_add_f32_e64 v1, |v0|, s6
; %bb.59:
	s_or_b64 exec, exec, s[4:5]
                                        ; implicit-def: $vgpr4
.LBB23_60:
	s_andn2_saveexec_b64 s[2:3], s[2:3]
; %bb.61:
	s_mov_b32 s4, 0x7f800000
	v_mov_b32_e32 v1, 0x7e
	v_mov_b32_e32 v5, 0x7f
	v_cmp_lt_u32_e32 vcc, s4, v4
	s_nop 1
	v_cndmask_b32_e32 v1, v1, v5, vcc
; %bb.62:
	s_or_b64 exec, exec, s[2:3]
	v_lshrrev_b32_e32 v4, 24, v0
	s_movk_i32 s2, 0x80
	v_and_or_b32 v1, v4, s2, v1
	global_store_byte v[2:3], v1, off
.LBB23_63:
	s_mov_b64 s[2:3], 0
.LBB23_64:
	s_andn2_b64 vcc, exec, s[2:3]
	s_cbranch_vccnz .LBB23_74
; %bb.65:
	v_and_b32_e32 v4, 0x7fffffff, v0
	s_mov_b32 s2, 0x47800000
	v_cmp_gt_u32_e32 vcc, s2, v4
                                        ; implicit-def: $vgpr1
	s_and_saveexec_b64 s[2:3], vcc
	s_xor_b64 s[2:3], exec, s[2:3]
	s_cbranch_execz .LBB23_71
; %bb.66:
	s_mov_b32 s4, 0x387fffff
	v_cmp_lt_u32_e32 vcc, s4, v4
                                        ; implicit-def: $vgpr1
	s_and_saveexec_b64 s[4:5], vcc
	s_xor_b64 s[4:5], exec, s[4:5]
; %bb.67:
	v_bfe_u32 v1, v0, 21, 1
	s_mov_b32 s6, 0x80fffff
	v_add3_u32 v1, v0, v1, s6
	v_lshrrev_b32_e32 v1, 21, v1
; %bb.68:
	s_andn2_saveexec_b64 s[4:5], s[4:5]
; %bb.69:
	s_mov_b32 s6, 0x43000000
	v_add_f32_e64 v1, |v0|, s6
; %bb.70:
	s_or_b64 exec, exec, s[4:5]
                                        ; implicit-def: $vgpr4
.LBB23_71:
	s_andn2_saveexec_b64 s[2:3], s[2:3]
; %bb.72:
	s_mov_b32 s4, 0x7f800000
	v_mov_b32_e32 v1, 0x7c
	v_mov_b32_e32 v5, 0x7f
	v_cmp_lt_u32_e32 vcc, s4, v4
	s_nop 1
	v_cndmask_b32_e32 v1, v1, v5, vcc
; %bb.73:
	s_or_b64 exec, exec, s[2:3]
	v_lshrrev_b32_e32 v4, 24, v0
	s_movk_i32 s2, 0x80
	v_and_or_b32 v1, v4, s2, v1
	global_store_byte v[2:3], v1, off
.LBB23_74:
	s_mov_b64 s[4:5], 0
	s_mov_b64 s[2:3], -1
.LBB23_75:
	s_andn2_b64 vcc, exec, s[4:5]
	s_cbranch_vccnz .LBB23_83
; %bb.76:
	v_mov_b32_e32 v1, 14
	v_cmp_gt_i16_sdwa s[6:7], v28, v1 src0_sel:BYTE_0 src1_sel:DWORD
	s_mov_b64 s[4:5], -1
	s_and_b64 vcc, exec, s[6:7]
	s_cbranch_vccz .LBB23_80
; %bb.77:
	v_mov_b32_e32 v1, 15
	v_cmp_eq_u16_sdwa s[4:5], v28, v1 src0_sel:BYTE_0 src1_sel:DWORD
	s_mov_b64 s[0:1], -1
	s_and_b64 vcc, exec, s[4:5]
	s_cbranch_vccz .LBB23_79
; %bb.78:
	v_bfe_u32 v1, v0, 16, 1
	s_movk_i32 s0, 0x7fff
	v_add3_u32 v1, v0, v1, s0
	v_lshrrev_b32_e32 v1, 16, v1
	v_mov_b32_e32 v4, 0x7fc0
	v_cmp_o_f32_e32 vcc, v0, v0
	s_mov_b64 s[2:3], -1
	s_mov_b64 s[0:1], 0
	v_cndmask_b32_e32 v1, v4, v1, vcc
	global_store_short v[2:3], v1, off
.LBB23_79:
	s_mov_b64 s[4:5], 0
.LBB23_80:
	s_and_b64 vcc, exec, s[4:5]
	s_cbranch_vccz .LBB23_83
; %bb.81:
	v_mov_b32_e32 v1, 11
	v_cmp_eq_u16_sdwa s[4:5], v28, v1 src0_sel:BYTE_0 src1_sel:DWORD
	s_mov_b64 s[0:1], -1
	s_and_b64 vcc, exec, s[4:5]
	s_cbranch_vccz .LBB23_83
; %bb.82:
	v_cmp_neq_f32_e32 vcc, 0, v0
	s_mov_b64 s[2:3], -1
	s_mov_b64 s[0:1], 0
	v_cndmask_b32_e64 v1, 0, 1, vcc
	global_store_byte v[2:3], v1, off
.LBB23_83:
	s_branch .LBB23_10
.LBB23_84:
	v_mov_b32_e32 v1, 5
	v_cmp_lt_i16_sdwa s[4:5], v28, v1 src0_sel:BYTE_0 src1_sel:DWORD
	s_mov_b64 s[2:3], -1
	s_and_b64 vcc, exec, s[4:5]
	s_cbranch_vccnz .LBB23_105
; %bb.85:
	v_mov_b32_e32 v1, 8
	v_cmp_lt_i16_sdwa s[4:5], v28, v1 src0_sel:BYTE_0 src1_sel:DWORD
	s_and_b64 vcc, exec, s[4:5]
	s_cbranch_vccnz .LBB23_95
; %bb.86:
	v_mov_b32_e32 v1, 9
	v_cmp_lt_i16_sdwa s[4:5], v28, v1 src0_sel:BYTE_0 src1_sel:DWORD
	s_and_b64 vcc, exec, s[4:5]
	s_cbranch_vccnz .LBB23_92
; %bb.87:
	v_cmp_gt_i16_sdwa s[4:5], v28, v1 src0_sel:BYTE_0 src1_sel:DWORD
	s_and_b64 vcc, exec, s[4:5]
	s_cbranch_vccz .LBB23_89
; %bb.88:
	v_mov_b32_e32 v6, 0
	v_cvt_f64_f32_e32 v[4:5], v0
	v_mov_b32_e32 v7, v6
	global_store_dwordx4 v[2:3], v[4:7], off
	s_mov_b64 s[2:3], 0
.LBB23_89:
	s_andn2_b64 vcc, exec, s[2:3]
	s_cbranch_vccnz .LBB23_91
; %bb.90:
	v_mov_b32_e32 v1, 0
	global_store_dwordx2 v[2:3], v[0:1], off
.LBB23_91:
	s_mov_b64 s[2:3], 0
.LBB23_92:
	s_andn2_b64 vcc, exec, s[2:3]
	s_cbranch_vccnz .LBB23_94
; %bb.93:
	v_cvt_f16_f32_e32 v1, v0
	global_store_dword v[2:3], v1, off
.LBB23_94:
	s_mov_b64 s[2:3], 0
.LBB23_95:
	s_andn2_b64 vcc, exec, s[2:3]
	s_cbranch_vccnz .LBB23_104
; %bb.96:
	v_mov_b32_e32 v1, 6
	v_cmp_lt_i16_sdwa s[4:5], v28, v1 src0_sel:BYTE_0 src1_sel:DWORD
	s_mov_b64 s[2:3], -1
	s_and_b64 vcc, exec, s[4:5]
	s_cbranch_vccnz .LBB23_102
; %bb.97:
	v_cmp_gt_i16_sdwa s[4:5], v28, v1 src0_sel:BYTE_0 src1_sel:DWORD
	s_and_b64 vcc, exec, s[4:5]
	s_cbranch_vccz .LBB23_99
; %bb.98:
	v_cvt_f64_f32_e32 v[4:5], v0
	global_store_dwordx2 v[2:3], v[4:5], off
	s_mov_b64 s[2:3], 0
.LBB23_99:
	s_andn2_b64 vcc, exec, s[2:3]
	s_cbranch_vccnz .LBB23_101
; %bb.100:
	global_store_dword v[2:3], v0, off
.LBB23_101:
	s_mov_b64 s[2:3], 0
.LBB23_102:
	s_andn2_b64 vcc, exec, s[2:3]
	s_cbranch_vccnz .LBB23_104
; %bb.103:
	v_cvt_f16_f32_e32 v1, v0
	global_store_short v[2:3], v1, off
.LBB23_104:
	s_mov_b64 s[2:3], 0
.LBB23_105:
	s_andn2_b64 vcc, exec, s[2:3]
	s_cbranch_vccnz .LBB23_121
; %bb.106:
	v_mov_b32_e32 v1, 2
	v_cmp_lt_i16_sdwa s[4:5], v28, v1 src0_sel:BYTE_0 src1_sel:DWORD
	s_mov_b64 s[2:3], -1
	s_and_b64 vcc, exec, s[4:5]
	s_cbranch_vccnz .LBB23_116
; %bb.107:
	v_mov_b32_e32 v1, 3
	v_cmp_lt_i16_sdwa s[4:5], v28, v1 src0_sel:BYTE_0 src1_sel:DWORD
	s_and_b64 vcc, exec, s[4:5]
	s_cbranch_vccnz .LBB23_113
; %bb.108:
	v_cmp_gt_i16_sdwa s[4:5], v28, v1 src0_sel:BYTE_0 src1_sel:DWORD
	s_and_b64 vcc, exec, s[4:5]
	s_cbranch_vccz .LBB23_110
; %bb.109:
	v_trunc_f32_e32 v1, v0
	s_mov_b32 s2, 0x2f800000
	v_mul_f32_e64 v4, |v1|, s2
	v_floor_f32_e32 v4, v4
	s_mov_b32 s2, 0xcf800000
	v_cvt_u32_f32_e32 v5, v4
	v_fma_f32 v4, v4, s2, |v1|
	v_cvt_u32_f32_e32 v4, v4
	v_ashrrev_i32_e32 v1, 31, v1
	v_xor_b32_e32 v5, v5, v1
	s_mov_b64 s[2:3], 0
	v_xor_b32_e32 v4, v4, v1
	v_sub_co_u32_e32 v4, vcc, v4, v1
	s_nop 1
	v_subb_co_u32_e32 v5, vcc, v5, v1, vcc
	global_store_dwordx2 v[2:3], v[4:5], off
.LBB23_110:
	s_andn2_b64 vcc, exec, s[2:3]
	s_cbranch_vccnz .LBB23_112
; %bb.111:
	v_cvt_i32_f32_e32 v1, v0
	global_store_dword v[2:3], v1, off
.LBB23_112:
	s_mov_b64 s[2:3], 0
.LBB23_113:
	s_andn2_b64 vcc, exec, s[2:3]
	s_cbranch_vccnz .LBB23_115
; %bb.114:
	v_cvt_i32_f32_e32 v1, v0
	global_store_short v[2:3], v1, off
.LBB23_115:
	s_mov_b64 s[2:3], 0
.LBB23_116:
	s_andn2_b64 vcc, exec, s[2:3]
	s_cbranch_vccnz .LBB23_121
; %bb.117:
	v_mov_b32_e32 v1, 0
	v_cmp_gt_i16_sdwa s[4:5], v28, v1 src0_sel:BYTE_0 src1_sel:DWORD
	s_mov_b64 s[2:3], -1
	s_and_b64 vcc, exec, s[4:5]
	s_cbranch_vccz .LBB23_119
; %bb.118:
	v_cvt_i32_f32_e32 v1, v0
	s_mov_b64 s[2:3], 0
	global_store_byte v[2:3], v1, off
.LBB23_119:
	s_andn2_b64 vcc, exec, s[2:3]
	s_cbranch_vccnz .LBB23_121
; %bb.120:
	v_trunc_f32_e32 v0, v0
	s_mov_b32 s2, 0x2f800000
	v_mul_f32_e64 v1, |v0|, s2
	v_floor_f32_e32 v1, v1
	s_mov_b32 s2, 0xcf800000
	v_fma_f32 v1, v1, s2, |v0|
	v_cvt_u32_f32_e32 v1, v1
	v_ashrrev_i32_e32 v0, 31, v0
	v_xor_b32_e32 v1, v1, v0
	v_sub_u32_e32 v0, v1, v0
	global_store_byte v[2:3], v0, off
.LBB23_121:
	s_branch .LBB23_11
.LBB23_122:
	s_mov_b64 s[2:3], 0
                                        ; implicit-def: $vgpr21
.LBB23_123:
	s_and_b64 s[38:39], s[0:1], exec
	s_orn2_b64 s[0:1], s[2:3], exec
.LBB23_124:
	s_or_b64 exec, exec, s[40:41]
	s_mov_b64 s[2:3], 0
                                        ; implicit-def: $vgpr4
                                        ; implicit-def: $vgpr2_vgpr3
                                        ; implicit-def: $vgpr0
	s_and_saveexec_b64 s[40:41], s[0:1]
	s_cbranch_execz .LBB23_133
; %bb.125:
	v_cmp_gt_i32_e32 vcc, s33, v21
	s_mov_b64 s[4:5], -1
	s_mov_b64 s[42:43], s[38:39]
	s_and_saveexec_b64 s[44:45], vcc
	s_cbranch_execz .LBB23_256
; %bb.126:
	v_mov_b32_e32 v0, s26
	v_mov_b32_e32 v1, s27
	;; [unrolled: 1-line block ×5, first 2 shown]
	s_getpc_b64 s[0:1]
	s_add_u32 s0, s0, _ZN2at6native6invokeIZZZNS0_12_GLOBAL__N_121bessel_y0_kernel_cudaERNS_18TensorIteratorBaseEENKUlvE_clEvENKUlvE0_clEvEUlfE_i15function_traitsIS7_EEENT1_11result_typeERKT_PrKPcPKT0_PKN3c1010ScalarTypeEi@rel32@lo+4
	s_addc_u32 s1, s1, _ZN2at6native6invokeIZZZNS0_12_GLOBAL__N_121bessel_y0_kernel_cudaERNS_18TensorIteratorBaseEENKUlvE_clEvENKUlvE0_clEvEUlfE_i15function_traitsIS7_EEENT1_11result_typeERKT_PrKPcPKT0_PKN3c1010ScalarTypeEi@rel32@hi+12
	s_swappc_b64 s[30:31], s[0:1]
	v_mul_lo_u32 v2, v21, s28
	v_mov_b32_e32 v1, 11
	v_ashrrev_i32_e32 v3, 31, v2
	v_cmp_lt_i16_sdwa s[0:1], v28, v1 src0_sel:BYTE_0 src1_sel:DWORD
	v_lshl_add_u64 v[2:3], s[24:25], 0, v[2:3]
	s_and_b64 vcc, exec, s[0:1]
	s_cbranch_vccnz .LBB23_136
; %bb.127:
	v_mov_b32_e32 v1, 25
	v_cmp_gt_i16_sdwa s[0:1], v28, v1 src0_sel:BYTE_0 src1_sel:DWORD
	s_and_b64 vcc, exec, s[0:1]
	s_cbranch_vccz .LBB23_139
; %bb.128:
	v_mov_b32_e32 v1, 28
	v_cmp_gt_i16_sdwa s[0:1], v28, v1 src0_sel:BYTE_0 src1_sel:DWORD
	s_and_b64 vcc, exec, s[0:1]
	s_cbranch_vccz .LBB23_140
	;; [unrolled: 5-line block ×4, first 2 shown]
; %bb.131:
	v_mov_b32_e32 v1, 46
	v_cmp_eq_u16_sdwa s[2:3], v28, v1 src0_sel:BYTE_0 src1_sel:DWORD
	s_mov_b64 s[4:5], 0
	s_mov_b64 s[0:1], -1
	s_and_b64 vcc, exec, s[2:3]
	s_mov_b64 s[2:3], 0
	s_cbranch_vccz .LBB23_147
; %bb.132:
	v_bfe_u32 v1, v0, 16, 1
	s_movk_i32 s0, 0x7fff
	v_add3_u32 v1, v0, v1, s0
	v_lshrrev_b32_e32 v1, 16, v1
	v_mov_b32_e32 v4, 0x7fc0
	v_cmp_o_f32_e32 vcc, v0, v0
	s_mov_b64 s[2:3], -1
	s_mov_b64 s[0:1], 0
	v_cndmask_b32_e32 v1, v4, v1, vcc
	global_store_dword v[2:3], v1, off
	s_branch .LBB23_147
.LBB23_133:
	s_or_b64 exec, exec, s[40:41]
	s_mov_b64 s[0:1], 0
	s_and_saveexec_b64 s[4:5], s[38:39]
	s_cbranch_execnz .LBB23_472
.LBB23_134:
	s_or_b64 exec, exec, s[4:5]
	s_and_saveexec_b64 s[4:5], s[44:45]
	s_xor_b64 s[4:5], exec, s[4:5]
	s_cbranch_execz .LBB23_473
.LBB23_135:
	v_cmp_neq_f32_e32 vcc, 0, v0
	s_nop 1
	v_cndmask_b32_e64 v1, 0, 1, vcc
	global_store_byte v[2:3], v1, off
	s_or_b64 exec, exec, s[4:5]
	s_and_saveexec_b64 s[4:5], s[2:3]
	s_xor_b64 s[2:3], exec, s[4:5]
	s_cbranch_execz .LBB23_511
	s_branch .LBB23_474
.LBB23_136:
	s_mov_b64 s[2:3], 0
	s_mov_b64 s[0:1], s[38:39]
	s_cbranch_execnz .LBB23_216
.LBB23_137:
	s_andn2_b64 vcc, exec, s[2:3]
	s_cbranch_vccnz .LBB23_254
.LBB23_138:
	v_add_u32_e32 v21, 0x80, v21
	s_mov_b64 s[2:3], -1
	s_branch .LBB23_255
.LBB23_139:
	s_mov_b64 s[4:5], -1
	s_mov_b64 s[2:3], 0
	s_mov_b64 s[0:1], s[38:39]
	s_branch .LBB23_174
.LBB23_140:
	s_mov_b64 s[4:5], -1
	s_mov_b64 s[2:3], 0
	s_mov_b64 s[0:1], s[38:39]
	s_branch .LBB23_157
.LBB23_141:
	s_or_saveexec_b64 s[6:7], s[6:7]
                                        ; implicit-def: $sgpr8
	s_xor_b64 exec, exec, s[6:7]
	s_cbranch_execz .LBB23_37
.LBB23_142:
	s_mov_b32 s8, 0x46000000
	v_add_f32_e64 v1, |v0|, s8
	v_and_b32_e32 v1, 0xff, v1
	v_cmp_ne_u32_e32 vcc, 0, v1
	s_andn2_b64 s[4:5], s[4:5], exec
	s_and_b64 s[10:11], vcc, exec
	s_mov_b32 s8, 0
	s_or_b64 s[4:5], s[4:5], s[10:11]
	s_or_b64 exec, exec, s[6:7]
	v_mov_b32_e32 v4, s8
	s_and_saveexec_b64 s[6:7], s[4:5]
	s_cbranch_execnz .LBB23_38
	s_branch .LBB23_39
.LBB23_143:
	s_mov_b64 s[4:5], -1
	s_mov_b64 s[2:3], 0
	s_mov_b64 s[0:1], s[38:39]
	s_branch .LBB23_153
.LBB23_144:
	s_or_saveexec_b64 s[6:7], s[6:7]
                                        ; implicit-def: $sgpr8
	s_xor_b64 exec, exec, s[6:7]
	s_cbranch_execz .LBB23_49
.LBB23_145:
	s_mov_b32 s8, 0x42800000
	v_add_f32_e64 v1, |v0|, s8
	v_and_b32_e32 v1, 0xff, v1
	v_cmp_ne_u32_e32 vcc, 0, v1
	s_andn2_b64 s[4:5], s[4:5], exec
	s_and_b64 s[10:11], vcc, exec
	s_mov_b32 s8, 0
	s_or_b64 s[4:5], s[4:5], s[10:11]
	s_or_b64 exec, exec, s[6:7]
	v_mov_b32_e32 v4, s8
	s_and_saveexec_b64 s[6:7], s[4:5]
	s_cbranch_execnz .LBB23_50
	s_branch .LBB23_51
.LBB23_146:
	s_mov_b64 s[4:5], -1
	s_mov_b64 s[2:3], 0
	s_mov_b64 s[0:1], s[38:39]
.LBB23_147:
	s_and_b64 vcc, exec, s[4:5]
	s_cbranch_vccz .LBB23_152
; %bb.148:
	v_mov_b32_e32 v1, 44
	v_cmp_eq_u16_sdwa s[4:5], v28, v1 src0_sel:BYTE_0 src1_sel:DWORD
	s_mov_b64 s[0:1], -1
	s_and_b64 vcc, exec, s[4:5]
	s_cbranch_vccz .LBB23_152
; %bb.149:
	v_bfe_u32 v1, v0, 23, 8
	s_movk_i32 s0, 0xff
	v_cmp_ne_u32_e32 vcc, s0, v1
	v_mov_b32_e32 v4, 0xff
	s_and_saveexec_b64 s[2:3], vcc
; %bb.150:
	s_mov_b32 s0, 0x3fffff
	v_and_b32_e32 v5, 0x400000, v0
	v_and_or_b32 v1, v0, s0, v1
	v_cmp_ne_u32_e32 vcc, 0, v5
	v_cmp_ne_u32_e64 s[0:1], 0, v1
	s_and_b64 s[0:1], vcc, s[0:1]
	v_lshrrev_b32_e32 v4, 23, v0
	v_cndmask_b32_e64 v1, 0, 1, s[0:1]
	v_add_u32_e32 v4, v4, v1
; %bb.151:
	s_or_b64 exec, exec, s[2:3]
	s_mov_b64 s[2:3], -1
	s_mov_b64 s[0:1], 0
	global_store_byte v[2:3], v4, off
.LBB23_152:
	s_mov_b64 s[4:5], 0
.LBB23_153:
	s_and_b64 vcc, exec, s[4:5]
	s_cbranch_vccz .LBB23_156
; %bb.154:
	v_mov_b32_e32 v1, 29
	v_cmp_eq_u16_sdwa s[4:5], v28, v1 src0_sel:BYTE_0 src1_sel:DWORD
	s_mov_b64 s[0:1], -1
	s_and_b64 vcc, exec, s[4:5]
	s_cbranch_vccz .LBB23_156
; %bb.155:
	v_trunc_f32_e32 v1, v0
	v_mul_f32_e32 v4, 0x2f800000, v1
	v_floor_f32_e32 v4, v4
	v_fmamk_f32 v1, v4, 0xcf800000, v1
	v_cvt_u32_f32_e32 v5, v4
	v_cvt_u32_f32_e32 v4, v1
	s_mov_b64 s[2:3], -1
	s_mov_b64 s[0:1], 0
	s_mov_b64 s[4:5], 0
	global_store_dwordx2 v[2:3], v[4:5], off
	s_branch .LBB23_157
.LBB23_156:
	s_mov_b64 s[4:5], 0
.LBB23_157:
	s_and_b64 vcc, exec, s[4:5]
	s_cbranch_vccz .LBB23_173
; %bb.158:
	v_mov_b32_e32 v1, 27
	v_cmp_lt_i16_sdwa s[4:5], v28, v1 src0_sel:BYTE_0 src1_sel:DWORD
	s_mov_b64 s[2:3], -1
	s_and_b64 vcc, exec, s[4:5]
	s_cbranch_vccnz .LBB23_164
; %bb.159:
	v_cmp_gt_i16_sdwa s[4:5], v28, v1 src0_sel:BYTE_0 src1_sel:DWORD
	v_cvt_u32_f32_e32 v1, v0
	s_and_b64 vcc, exec, s[4:5]
	s_cbranch_vccz .LBB23_161
; %bb.160:
	s_mov_b64 s[2:3], 0
	global_store_dword v[2:3], v1, off
.LBB23_161:
	s_andn2_b64 vcc, exec, s[2:3]
	s_cbranch_vccnz .LBB23_163
; %bb.162:
	global_store_short v[2:3], v1, off
.LBB23_163:
	s_mov_b64 s[2:3], 0
.LBB23_164:
	s_andn2_b64 vcc, exec, s[2:3]
	s_cbranch_vccnz .LBB23_172
; %bb.165:
	v_and_b32_e32 v1, 0x7fffffff, v0
	s_mov_b32 s2, 0x43800000
	v_cmp_gt_u32_e32 vcc, s2, v1
	v_mov_b32_e32 v4, 0x80
	s_and_saveexec_b64 s[2:3], vcc
	s_cbranch_execz .LBB23_171
; %bb.166:
	s_mov_b32 s4, 0x3bffffff
	v_cmp_lt_u32_e32 vcc, s4, v1
	s_mov_b64 s[4:5], 0
                                        ; implicit-def: $vgpr1
	s_and_saveexec_b64 s[6:7], vcc
	s_xor_b64 s[6:7], exec, s[6:7]
	s_cbranch_execz .LBB23_268
; %bb.167:
	v_bfe_u32 v1, v0, 20, 1
	s_mov_b32 s8, 0x487ffff
	v_add3_u32 v1, v0, v1, s8
	s_mov_b64 s[4:5], exec
	v_lshrrev_b32_e32 v1, 20, v1
	s_or_saveexec_b64 s[6:7], s[6:7]
                                        ; implicit-def: $sgpr8
	s_xor_b64 exec, exec, s[6:7]
	s_cbranch_execnz .LBB23_269
.LBB23_168:
	s_or_b64 exec, exec, s[6:7]
	v_mov_b32_e32 v4, s8
	s_and_saveexec_b64 s[6:7], s[4:5]
.LBB23_169:
	v_lshrrev_b32_e32 v4, 24, v0
	s_movk_i32 s4, 0x80
	v_and_or_b32 v4, v4, s4, v1
.LBB23_170:
	s_or_b64 exec, exec, s[6:7]
.LBB23_171:
	s_or_b64 exec, exec, s[2:3]
	global_store_byte v[2:3], v4, off
.LBB23_172:
	s_mov_b64 s[2:3], -1
.LBB23_173:
	s_mov_b64 s[4:5], 0
.LBB23_174:
	s_and_b64 vcc, exec, s[4:5]
	s_cbranch_vccz .LBB23_215
; %bb.175:
	v_mov_b32_e32 v1, 22
	v_cmp_gt_i16_sdwa s[6:7], v28, v1 src0_sel:BYTE_0 src1_sel:DWORD
	s_mov_b64 s[4:5], -1
	s_and_b64 vcc, exec, s[6:7]
	s_cbranch_vccz .LBB23_207
; %bb.176:
	v_mov_b32_e32 v1, 24
	v_cmp_lt_i16_sdwa s[4:5], v28, v1 src0_sel:BYTE_0 src1_sel:DWORD
	s_mov_b64 s[2:3], -1
	s_and_b64 vcc, exec, s[4:5]
	s_cbranch_vccnz .LBB23_196
; %bb.177:
	v_cmp_gt_i16_sdwa s[4:5], v28, v1 src0_sel:BYTE_0 src1_sel:DWORD
	s_and_b64 vcc, exec, s[4:5]
	s_cbranch_vccz .LBB23_185
; %bb.178:
	v_and_b32_e32 v1, 0x7fffffff, v0
	s_mov_b32 s2, 0x47800000
	v_cmp_gt_u32_e32 vcc, s2, v1
	v_mov_b32_e32 v4, 0x80
	s_and_saveexec_b64 s[2:3], vcc
	s_cbranch_execz .LBB23_184
; %bb.179:
	s_mov_b32 s4, 0x37ffffff
	v_cmp_lt_u32_e32 vcc, s4, v1
	s_mov_b64 s[4:5], 0
                                        ; implicit-def: $vgpr1
	s_and_saveexec_b64 s[6:7], vcc
	s_xor_b64 s[6:7], exec, s[6:7]
	s_cbranch_execz .LBB23_271
; %bb.180:
	v_bfe_u32 v1, v0, 21, 1
	s_mov_b32 s8, 0x88fffff
	v_add3_u32 v1, v0, v1, s8
	s_mov_b64 s[4:5], exec
	v_lshrrev_b32_e32 v1, 21, v1
	s_or_saveexec_b64 s[6:7], s[6:7]
                                        ; implicit-def: $sgpr8
	s_xor_b64 exec, exec, s[6:7]
	s_cbranch_execnz .LBB23_272
.LBB23_181:
	s_or_b64 exec, exec, s[6:7]
	v_mov_b32_e32 v4, s8
	s_and_saveexec_b64 s[6:7], s[4:5]
.LBB23_182:
	v_lshrrev_b32_e32 v4, 24, v0
	s_movk_i32 s4, 0x80
	v_and_or_b32 v4, v4, s4, v1
.LBB23_183:
	s_or_b64 exec, exec, s[6:7]
.LBB23_184:
	s_or_b64 exec, exec, s[2:3]
	s_mov_b64 s[2:3], 0
	global_store_byte v[2:3], v4, off
.LBB23_185:
	s_and_b64 vcc, exec, s[2:3]
	s_cbranch_vccz .LBB23_195
; %bb.186:
	v_and_b32_e32 v4, 0x7fffffff, v0
	s_mov_b32 s2, 0x43f00000
	v_cmp_gt_u32_e32 vcc, s2, v4
                                        ; implicit-def: $vgpr1
	s_and_saveexec_b64 s[2:3], vcc
	s_xor_b64 s[2:3], exec, s[2:3]
	s_cbranch_execz .LBB23_192
; %bb.187:
	s_mov_b32 s4, 0x3c7fffff
	v_cmp_lt_u32_e32 vcc, s4, v4
                                        ; implicit-def: $vgpr1
	s_and_saveexec_b64 s[4:5], vcc
	s_xor_b64 s[4:5], exec, s[4:5]
; %bb.188:
	v_bfe_u32 v1, v0, 20, 1
	s_mov_b32 s6, 0x407ffff
	v_add3_u32 v1, v0, v1, s6
	v_lshrrev_b32_e32 v4, 20, v1
	v_and_b32_e32 v1, 0xff00000, v1
	s_mov_b32 s6, 0x7f00000
	v_mov_b32_e32 v5, 0x7e
	v_cmp_ne_u32_e32 vcc, s6, v1
	s_nop 1
	v_cndmask_b32_e32 v1, v5, v4, vcc
; %bb.189:
	s_andn2_saveexec_b64 s[4:5], s[4:5]
; %bb.190:
	s_mov_b32 s6, 0x46800000
	v_add_f32_e64 v1, |v0|, s6
; %bb.191:
	s_or_b64 exec, exec, s[4:5]
                                        ; implicit-def: $vgpr4
.LBB23_192:
	s_andn2_saveexec_b64 s[2:3], s[2:3]
; %bb.193:
	s_mov_b32 s4, 0x7f800000
	v_mov_b32_e32 v1, 0x7e
	v_mov_b32_e32 v5, 0x7f
	v_cmp_lt_u32_e32 vcc, s4, v4
	s_nop 1
	v_cndmask_b32_e32 v1, v1, v5, vcc
; %bb.194:
	s_or_b64 exec, exec, s[2:3]
	v_lshrrev_b32_e32 v4, 24, v0
	s_movk_i32 s2, 0x80
	v_and_or_b32 v1, v4, s2, v1
	global_store_byte v[2:3], v1, off
.LBB23_195:
	s_mov_b64 s[2:3], 0
.LBB23_196:
	s_andn2_b64 vcc, exec, s[2:3]
	s_cbranch_vccnz .LBB23_206
; %bb.197:
	v_and_b32_e32 v4, 0x7fffffff, v0
	s_mov_b32 s2, 0x47800000
	v_cmp_gt_u32_e32 vcc, s2, v4
                                        ; implicit-def: $vgpr1
	s_and_saveexec_b64 s[2:3], vcc
	s_xor_b64 s[2:3], exec, s[2:3]
	s_cbranch_execz .LBB23_203
; %bb.198:
	s_mov_b32 s4, 0x387fffff
	v_cmp_lt_u32_e32 vcc, s4, v4
                                        ; implicit-def: $vgpr1
	s_and_saveexec_b64 s[4:5], vcc
	s_xor_b64 s[4:5], exec, s[4:5]
; %bb.199:
	v_bfe_u32 v1, v0, 21, 1
	s_mov_b32 s6, 0x80fffff
	v_add3_u32 v1, v0, v1, s6
	v_lshrrev_b32_e32 v1, 21, v1
; %bb.200:
	s_andn2_saveexec_b64 s[4:5], s[4:5]
; %bb.201:
	s_mov_b32 s6, 0x43000000
	v_add_f32_e64 v1, |v0|, s6
; %bb.202:
	s_or_b64 exec, exec, s[4:5]
                                        ; implicit-def: $vgpr4
.LBB23_203:
	s_andn2_saveexec_b64 s[2:3], s[2:3]
; %bb.204:
	s_mov_b32 s4, 0x7f800000
	v_mov_b32_e32 v1, 0x7c
	v_mov_b32_e32 v5, 0x7f
	v_cmp_lt_u32_e32 vcc, s4, v4
	s_nop 1
	v_cndmask_b32_e32 v1, v1, v5, vcc
; %bb.205:
	s_or_b64 exec, exec, s[2:3]
	v_lshrrev_b32_e32 v4, 24, v0
	s_movk_i32 s2, 0x80
	v_and_or_b32 v1, v4, s2, v1
	global_store_byte v[2:3], v1, off
.LBB23_206:
	s_mov_b64 s[4:5], 0
	s_mov_b64 s[2:3], -1
.LBB23_207:
	s_andn2_b64 vcc, exec, s[4:5]
	s_cbranch_vccnz .LBB23_215
; %bb.208:
	v_mov_b32_e32 v1, 14
	v_cmp_gt_i16_sdwa s[6:7], v28, v1 src0_sel:BYTE_0 src1_sel:DWORD
	s_mov_b64 s[4:5], -1
	s_and_b64 vcc, exec, s[6:7]
	s_cbranch_vccz .LBB23_212
; %bb.209:
	v_mov_b32_e32 v1, 15
	v_cmp_eq_u16_sdwa s[4:5], v28, v1 src0_sel:BYTE_0 src1_sel:DWORD
	s_mov_b64 s[0:1], -1
	s_and_b64 vcc, exec, s[4:5]
	s_cbranch_vccz .LBB23_211
; %bb.210:
	v_bfe_u32 v1, v0, 16, 1
	s_movk_i32 s0, 0x7fff
	v_add3_u32 v1, v0, v1, s0
	v_lshrrev_b32_e32 v1, 16, v1
	v_mov_b32_e32 v4, 0x7fc0
	v_cmp_o_f32_e32 vcc, v0, v0
	s_mov_b64 s[2:3], -1
	s_mov_b64 s[0:1], 0
	v_cndmask_b32_e32 v1, v4, v1, vcc
	global_store_short v[2:3], v1, off
.LBB23_211:
	s_mov_b64 s[4:5], 0
.LBB23_212:
	s_and_b64 vcc, exec, s[4:5]
	s_cbranch_vccz .LBB23_215
; %bb.213:
	v_mov_b32_e32 v1, 11
	v_cmp_eq_u16_sdwa s[4:5], v28, v1 src0_sel:BYTE_0 src1_sel:DWORD
	s_mov_b64 s[0:1], -1
	s_and_b64 vcc, exec, s[4:5]
	s_cbranch_vccz .LBB23_215
; %bb.214:
	v_cmp_neq_f32_e32 vcc, 0, v0
	s_mov_b64 s[2:3], -1
	s_mov_b64 s[0:1], 0
	v_cndmask_b32_e64 v1, 0, 1, vcc
	global_store_byte v[2:3], v1, off
.LBB23_215:
	s_branch .LBB23_137
.LBB23_216:
	v_mov_b32_e32 v1, 5
	v_cmp_lt_i16_sdwa s[4:5], v28, v1 src0_sel:BYTE_0 src1_sel:DWORD
	s_mov_b64 s[2:3], -1
	s_and_b64 vcc, exec, s[4:5]
	s_cbranch_vccnz .LBB23_237
; %bb.217:
	v_mov_b32_e32 v1, 8
	v_cmp_lt_i16_sdwa s[4:5], v28, v1 src0_sel:BYTE_0 src1_sel:DWORD
	s_and_b64 vcc, exec, s[4:5]
	s_cbranch_vccnz .LBB23_227
; %bb.218:
	v_mov_b32_e32 v1, 9
	v_cmp_lt_i16_sdwa s[4:5], v28, v1 src0_sel:BYTE_0 src1_sel:DWORD
	s_and_b64 vcc, exec, s[4:5]
	s_cbranch_vccnz .LBB23_224
; %bb.219:
	v_cmp_gt_i16_sdwa s[4:5], v28, v1 src0_sel:BYTE_0 src1_sel:DWORD
	s_and_b64 vcc, exec, s[4:5]
	s_cbranch_vccz .LBB23_221
; %bb.220:
	v_mov_b32_e32 v6, 0
	v_cvt_f64_f32_e32 v[4:5], v0
	v_mov_b32_e32 v7, v6
	s_mov_b64 s[2:3], 0
	global_store_dwordx4 v[2:3], v[4:7], off
.LBB23_221:
	s_andn2_b64 vcc, exec, s[2:3]
	s_cbranch_vccnz .LBB23_223
; %bb.222:
	v_mov_b32_e32 v1, 0
	global_store_dwordx2 v[2:3], v[0:1], off
.LBB23_223:
	s_mov_b64 s[2:3], 0
.LBB23_224:
	s_andn2_b64 vcc, exec, s[2:3]
	s_cbranch_vccnz .LBB23_226
; %bb.225:
	v_cvt_f16_f32_e32 v1, v0
	global_store_dword v[2:3], v1, off
.LBB23_226:
	s_mov_b64 s[2:3], 0
.LBB23_227:
	s_andn2_b64 vcc, exec, s[2:3]
	s_cbranch_vccnz .LBB23_236
; %bb.228:
	v_mov_b32_e32 v1, 6
	v_cmp_lt_i16_sdwa s[4:5], v28, v1 src0_sel:BYTE_0 src1_sel:DWORD
	s_mov_b64 s[2:3], -1
	s_and_b64 vcc, exec, s[4:5]
	s_cbranch_vccnz .LBB23_234
; %bb.229:
	v_cmp_gt_i16_sdwa s[4:5], v28, v1 src0_sel:BYTE_0 src1_sel:DWORD
	s_and_b64 vcc, exec, s[4:5]
	s_cbranch_vccz .LBB23_231
; %bb.230:
	v_cvt_f64_f32_e32 v[4:5], v0
	s_mov_b64 s[2:3], 0
	global_store_dwordx2 v[2:3], v[4:5], off
.LBB23_231:
	s_andn2_b64 vcc, exec, s[2:3]
	s_cbranch_vccnz .LBB23_233
; %bb.232:
	global_store_dword v[2:3], v0, off
.LBB23_233:
	s_mov_b64 s[2:3], 0
.LBB23_234:
	s_andn2_b64 vcc, exec, s[2:3]
	s_cbranch_vccnz .LBB23_236
; %bb.235:
	v_cvt_f16_f32_e32 v1, v0
	global_store_short v[2:3], v1, off
.LBB23_236:
	s_mov_b64 s[2:3], 0
.LBB23_237:
	s_andn2_b64 vcc, exec, s[2:3]
	s_cbranch_vccnz .LBB23_253
; %bb.238:
	v_mov_b32_e32 v1, 2
	v_cmp_lt_i16_sdwa s[4:5], v28, v1 src0_sel:BYTE_0 src1_sel:DWORD
	s_mov_b64 s[2:3], -1
	s_and_b64 vcc, exec, s[4:5]
	s_cbranch_vccnz .LBB23_248
; %bb.239:
	v_mov_b32_e32 v1, 3
	v_cmp_lt_i16_sdwa s[4:5], v28, v1 src0_sel:BYTE_0 src1_sel:DWORD
	s_and_b64 vcc, exec, s[4:5]
	s_cbranch_vccnz .LBB23_245
; %bb.240:
	v_cmp_gt_i16_sdwa s[4:5], v28, v1 src0_sel:BYTE_0 src1_sel:DWORD
	s_and_b64 vcc, exec, s[4:5]
	s_cbranch_vccz .LBB23_242
; %bb.241:
	v_trunc_f32_e32 v1, v0
	s_mov_b32 s2, 0x2f800000
	v_mul_f32_e64 v4, |v1|, s2
	v_floor_f32_e32 v4, v4
	s_mov_b32 s2, 0xcf800000
	v_cvt_u32_f32_e32 v5, v4
	v_fma_f32 v4, v4, s2, |v1|
	v_cvt_u32_f32_e32 v4, v4
	v_ashrrev_i32_e32 v1, 31, v1
	v_xor_b32_e32 v5, v5, v1
	s_mov_b64 s[2:3], 0
	v_xor_b32_e32 v4, v4, v1
	v_sub_co_u32_e32 v4, vcc, v4, v1
	s_nop 1
	v_subb_co_u32_e32 v5, vcc, v5, v1, vcc
	global_store_dwordx2 v[2:3], v[4:5], off
.LBB23_242:
	s_andn2_b64 vcc, exec, s[2:3]
	s_cbranch_vccnz .LBB23_244
; %bb.243:
	v_cvt_i32_f32_e32 v1, v0
	global_store_dword v[2:3], v1, off
.LBB23_244:
	s_mov_b64 s[2:3], 0
.LBB23_245:
	s_andn2_b64 vcc, exec, s[2:3]
	s_cbranch_vccnz .LBB23_247
; %bb.246:
	v_cvt_i32_f32_e32 v1, v0
	global_store_short v[2:3], v1, off
.LBB23_247:
	s_mov_b64 s[2:3], 0
.LBB23_248:
	s_andn2_b64 vcc, exec, s[2:3]
	s_cbranch_vccnz .LBB23_253
; %bb.249:
	v_mov_b32_e32 v1, 0
	v_cmp_gt_i16_sdwa s[4:5], v28, v1 src0_sel:BYTE_0 src1_sel:DWORD
	s_mov_b64 s[2:3], -1
	s_and_b64 vcc, exec, s[4:5]
	s_cbranch_vccz .LBB23_251
; %bb.250:
	v_cvt_i32_f32_e32 v1, v0
	s_mov_b64 s[2:3], 0
	global_store_byte v[2:3], v1, off
.LBB23_251:
	s_andn2_b64 vcc, exec, s[2:3]
	s_cbranch_vccnz .LBB23_253
; %bb.252:
	v_trunc_f32_e32 v0, v0
	s_mov_b32 s2, 0x2f800000
	v_mul_f32_e64 v1, |v0|, s2
	v_floor_f32_e32 v1, v1
	s_mov_b32 s2, 0xcf800000
	v_fma_f32 v1, v1, s2, |v0|
	v_cvt_u32_f32_e32 v1, v1
	v_ashrrev_i32_e32 v0, 31, v0
	v_xor_b32_e32 v1, v1, v0
	v_sub_u32_e32 v0, v1, v0
	global_store_byte v[2:3], v0, off
.LBB23_253:
	s_branch .LBB23_138
.LBB23_254:
	s_mov_b64 s[2:3], 0
                                        ; implicit-def: $vgpr21
.LBB23_255:
	s_andn2_b64 s[4:5], s[38:39], exec
	s_and_b64 s[0:1], s[0:1], exec
	s_or_b64 s[42:43], s[4:5], s[0:1]
	s_orn2_b64 s[4:5], s[2:3], exec
.LBB23_256:
	s_or_b64 exec, exec, s[44:45]
	s_mov_b64 s[0:1], 0
	s_mov_b64 s[2:3], 0
                                        ; implicit-def: $vgpr4
                                        ; implicit-def: $vgpr2_vgpr3
                                        ; implicit-def: $vgpr0
	s_and_saveexec_b64 s[44:45], s[4:5]
	s_cbranch_execz .LBB23_471
; %bb.257:
	v_cmp_gt_i32_e32 vcc, s33, v21
	s_mov_b64 s[2:3], -1
	s_mov_b64 s[48:49], s[42:43]
	s_and_saveexec_b64 s[46:47], vcc
	s_cbranch_execz .LBB23_386
; %bb.258:
	v_mov_b32_e32 v0, s26
	v_mov_b32_e32 v1, s27
	v_mov_b32_e32 v2, s29
	v_mov_b32_e32 v3, v23
	v_mov_b32_e32 v4, v21
	s_getpc_b64 s[0:1]
	s_add_u32 s0, s0, _ZN2at6native6invokeIZZZNS0_12_GLOBAL__N_121bessel_y0_kernel_cudaERNS_18TensorIteratorBaseEENKUlvE_clEvENKUlvE0_clEvEUlfE_i15function_traitsIS7_EEENT1_11result_typeERKT_PrKPcPKT0_PKN3c1010ScalarTypeEi@rel32@lo+4
	s_addc_u32 s1, s1, _ZN2at6native6invokeIZZZNS0_12_GLOBAL__N_121bessel_y0_kernel_cudaERNS_18TensorIteratorBaseEENKUlvE_clEvENKUlvE0_clEvEUlfE_i15function_traitsIS7_EEENT1_11result_typeERKT_PrKPcPKT0_PKN3c1010ScalarTypeEi@rel32@hi+12
	s_swappc_b64 s[30:31], s[0:1]
	v_mul_lo_u32 v2, v21, s28
	v_mov_b32_e32 v1, 11
	v_ashrrev_i32_e32 v3, 31, v2
	v_cmp_lt_i16_sdwa s[0:1], v28, v1 src0_sel:BYTE_0 src1_sel:DWORD
	v_lshl_add_u64 v[2:3], s[24:25], 0, v[2:3]
	s_and_b64 vcc, exec, s[0:1]
	s_cbranch_vccnz .LBB23_265
; %bb.259:
	v_mov_b32_e32 v1, 25
	v_cmp_gt_i16_sdwa s[0:1], v28, v1 src0_sel:BYTE_0 src1_sel:DWORD
	s_and_b64 vcc, exec, s[0:1]
	s_cbranch_vccz .LBB23_266
; %bb.260:
	v_mov_b32_e32 v1, 28
	v_cmp_gt_i16_sdwa s[0:1], v28, v1 src0_sel:BYTE_0 src1_sel:DWORD
	s_and_b64 vcc, exec, s[0:1]
	s_cbranch_vccz .LBB23_267
	;; [unrolled: 5-line block ×4, first 2 shown]
; %bb.263:
	v_mov_b32_e32 v1, 46
	v_cmp_eq_u16_sdwa s[2:3], v28, v1 src0_sel:BYTE_0 src1_sel:DWORD
	s_mov_b64 s[4:5], 0
	s_mov_b64 s[0:1], -1
	s_and_b64 vcc, exec, s[2:3]
	s_mov_b64 s[2:3], 0
	s_cbranch_vccz .LBB23_274
; %bb.264:
	v_bfe_u32 v1, v0, 16, 1
	s_movk_i32 s0, 0x7fff
	v_add3_u32 v1, v0, v1, s0
	v_lshrrev_b32_e32 v1, 16, v1
	v_mov_b32_e32 v4, 0x7fc0
	v_cmp_o_f32_e32 vcc, v0, v0
	s_mov_b64 s[2:3], -1
	s_mov_b64 s[0:1], 0
	v_cndmask_b32_e32 v1, v4, v1, vcc
	global_store_dword v[2:3], v1, off
	s_branch .LBB23_274
.LBB23_265:
	s_mov_b64 s[4:5], -1
	s_mov_b64 s[2:3], 0
	s_mov_b64 s[0:1], s[42:43]
	s_branch .LBB23_343
.LBB23_266:
	s_mov_b64 s[4:5], -1
	s_mov_b64 s[2:3], 0
	s_mov_b64 s[0:1], s[42:43]
	s_branch .LBB23_301
.LBB23_267:
	s_mov_b64 s[4:5], -1
	s_mov_b64 s[2:3], 0
	s_mov_b64 s[0:1], s[42:43]
	s_branch .LBB23_284
.LBB23_268:
	s_or_saveexec_b64 s[6:7], s[6:7]
                                        ; implicit-def: $sgpr8
	s_xor_b64 exec, exec, s[6:7]
	s_cbranch_execz .LBB23_168
.LBB23_269:
	s_mov_b32 s8, 0x46000000
	v_add_f32_e64 v1, |v0|, s8
	v_and_b32_e32 v1, 0xff, v1
	v_cmp_ne_u32_e32 vcc, 0, v1
	s_andn2_b64 s[4:5], s[4:5], exec
	s_and_b64 s[10:11], vcc, exec
	s_mov_b32 s8, 0
	s_or_b64 s[4:5], s[4:5], s[10:11]
	s_or_b64 exec, exec, s[6:7]
	v_mov_b32_e32 v4, s8
	s_and_saveexec_b64 s[6:7], s[4:5]
	s_cbranch_execnz .LBB23_169
	s_branch .LBB23_170
.LBB23_270:
	s_mov_b64 s[4:5], -1
	s_mov_b64 s[2:3], 0
	s_mov_b64 s[0:1], s[42:43]
	s_branch .LBB23_280
.LBB23_271:
	s_or_saveexec_b64 s[6:7], s[6:7]
                                        ; implicit-def: $sgpr8
	s_xor_b64 exec, exec, s[6:7]
	s_cbranch_execz .LBB23_181
.LBB23_272:
	s_mov_b32 s8, 0x42800000
	v_add_f32_e64 v1, |v0|, s8
	v_and_b32_e32 v1, 0xff, v1
	v_cmp_ne_u32_e32 vcc, 0, v1
	s_andn2_b64 s[4:5], s[4:5], exec
	s_and_b64 s[10:11], vcc, exec
	s_mov_b32 s8, 0
	s_or_b64 s[4:5], s[4:5], s[10:11]
	s_or_b64 exec, exec, s[6:7]
	v_mov_b32_e32 v4, s8
	s_and_saveexec_b64 s[6:7], s[4:5]
	s_cbranch_execnz .LBB23_182
	s_branch .LBB23_183
.LBB23_273:
	s_mov_b64 s[4:5], -1
	s_mov_b64 s[2:3], 0
	s_mov_b64 s[0:1], s[42:43]
.LBB23_274:
	s_and_b64 vcc, exec, s[4:5]
	s_cbranch_vccz .LBB23_279
; %bb.275:
	v_mov_b32_e32 v1, 44
	v_cmp_eq_u16_sdwa s[4:5], v28, v1 src0_sel:BYTE_0 src1_sel:DWORD
	s_mov_b64 s[0:1], -1
	s_and_b64 vcc, exec, s[4:5]
	s_cbranch_vccz .LBB23_279
; %bb.276:
	v_bfe_u32 v1, v0, 23, 8
	s_movk_i32 s0, 0xff
	v_cmp_ne_u32_e32 vcc, s0, v1
	v_mov_b32_e32 v4, 0xff
	s_and_saveexec_b64 s[2:3], vcc
; %bb.277:
	s_mov_b32 s0, 0x3fffff
	v_and_b32_e32 v5, 0x400000, v0
	v_and_or_b32 v1, v0, s0, v1
	v_cmp_ne_u32_e32 vcc, 0, v5
	v_cmp_ne_u32_e64 s[0:1], 0, v1
	s_and_b64 s[0:1], vcc, s[0:1]
	v_lshrrev_b32_e32 v4, 23, v0
	v_cndmask_b32_e64 v1, 0, 1, s[0:1]
	v_add_u32_e32 v4, v4, v1
; %bb.278:
	s_or_b64 exec, exec, s[2:3]
	s_mov_b64 s[2:3], -1
	s_mov_b64 s[0:1], 0
	global_store_byte v[2:3], v4, off
.LBB23_279:
	s_mov_b64 s[4:5], 0
.LBB23_280:
	s_and_b64 vcc, exec, s[4:5]
	s_cbranch_vccz .LBB23_283
; %bb.281:
	v_mov_b32_e32 v1, 29
	v_cmp_eq_u16_sdwa s[4:5], v28, v1 src0_sel:BYTE_0 src1_sel:DWORD
	s_mov_b64 s[0:1], -1
	s_and_b64 vcc, exec, s[4:5]
	s_cbranch_vccz .LBB23_283
; %bb.282:
	v_trunc_f32_e32 v1, v0
	v_mul_f32_e32 v4, 0x2f800000, v1
	v_floor_f32_e32 v4, v4
	v_fmamk_f32 v1, v4, 0xcf800000, v1
	v_cvt_u32_f32_e32 v5, v4
	v_cvt_u32_f32_e32 v4, v1
	s_mov_b64 s[2:3], -1
	s_mov_b64 s[0:1], 0
	s_mov_b64 s[4:5], 0
	global_store_dwordx2 v[2:3], v[4:5], off
	s_branch .LBB23_284
.LBB23_283:
	s_mov_b64 s[4:5], 0
.LBB23_284:
	s_and_b64 vcc, exec, s[4:5]
	s_cbranch_vccz .LBB23_300
; %bb.285:
	v_mov_b32_e32 v1, 27
	v_cmp_lt_i16_sdwa s[4:5], v28, v1 src0_sel:BYTE_0 src1_sel:DWORD
	s_mov_b64 s[2:3], -1
	s_and_b64 vcc, exec, s[4:5]
	s_cbranch_vccnz .LBB23_291
; %bb.286:
	v_cmp_gt_i16_sdwa s[4:5], v28, v1 src0_sel:BYTE_0 src1_sel:DWORD
	v_cvt_u32_f32_e32 v1, v0
	s_and_b64 vcc, exec, s[4:5]
	s_cbranch_vccz .LBB23_288
; %bb.287:
	s_mov_b64 s[2:3], 0
	global_store_dword v[2:3], v1, off
.LBB23_288:
	s_andn2_b64 vcc, exec, s[2:3]
	s_cbranch_vccnz .LBB23_290
; %bb.289:
	global_store_short v[2:3], v1, off
.LBB23_290:
	s_mov_b64 s[2:3], 0
.LBB23_291:
	s_andn2_b64 vcc, exec, s[2:3]
	s_cbranch_vccnz .LBB23_299
; %bb.292:
	v_and_b32_e32 v1, 0x7fffffff, v0
	s_mov_b32 s2, 0x43800000
	v_cmp_gt_u32_e32 vcc, s2, v1
	v_mov_b32_e32 v4, 0x80
	s_and_saveexec_b64 s[2:3], vcc
	s_cbranch_execz .LBB23_298
; %bb.293:
	s_mov_b32 s4, 0x3bffffff
	v_cmp_lt_u32_e32 vcc, s4, v1
	s_mov_b64 s[4:5], 0
                                        ; implicit-def: $vgpr1
	s_and_saveexec_b64 s[6:7], vcc
	s_xor_b64 s[6:7], exec, s[6:7]
	s_cbranch_execz .LBB23_396
; %bb.294:
	v_bfe_u32 v1, v0, 20, 1
	s_mov_b32 s8, 0x487ffff
	v_add3_u32 v1, v0, v1, s8
	s_mov_b64 s[4:5], exec
	v_lshrrev_b32_e32 v1, 20, v1
	s_or_saveexec_b64 s[6:7], s[6:7]
                                        ; implicit-def: $sgpr8
	s_xor_b64 exec, exec, s[6:7]
	s_cbranch_execnz .LBB23_397
.LBB23_295:
	s_or_b64 exec, exec, s[6:7]
	v_mov_b32_e32 v4, s8
	s_and_saveexec_b64 s[6:7], s[4:5]
.LBB23_296:
	v_lshrrev_b32_e32 v4, 24, v0
	s_movk_i32 s4, 0x80
	v_and_or_b32 v4, v4, s4, v1
.LBB23_297:
	s_or_b64 exec, exec, s[6:7]
.LBB23_298:
	s_or_b64 exec, exec, s[2:3]
	global_store_byte v[2:3], v4, off
.LBB23_299:
	s_mov_b64 s[2:3], -1
.LBB23_300:
	s_mov_b64 s[4:5], 0
.LBB23_301:
	s_and_b64 vcc, exec, s[4:5]
	s_cbranch_vccz .LBB23_342
; %bb.302:
	v_mov_b32_e32 v1, 22
	v_cmp_gt_i16_sdwa s[6:7], v28, v1 src0_sel:BYTE_0 src1_sel:DWORD
	s_mov_b64 s[4:5], -1
	s_and_b64 vcc, exec, s[6:7]
	s_cbranch_vccz .LBB23_334
; %bb.303:
	v_mov_b32_e32 v1, 24
	v_cmp_lt_i16_sdwa s[4:5], v28, v1 src0_sel:BYTE_0 src1_sel:DWORD
	s_mov_b64 s[2:3], -1
	s_and_b64 vcc, exec, s[4:5]
	s_cbranch_vccnz .LBB23_323
; %bb.304:
	v_cmp_gt_i16_sdwa s[4:5], v28, v1 src0_sel:BYTE_0 src1_sel:DWORD
	s_and_b64 vcc, exec, s[4:5]
	s_cbranch_vccz .LBB23_312
; %bb.305:
	v_and_b32_e32 v1, 0x7fffffff, v0
	s_mov_b32 s2, 0x47800000
	v_cmp_gt_u32_e32 vcc, s2, v1
	v_mov_b32_e32 v4, 0x80
	s_and_saveexec_b64 s[2:3], vcc
	s_cbranch_execz .LBB23_311
; %bb.306:
	s_mov_b32 s4, 0x37ffffff
	v_cmp_lt_u32_e32 vcc, s4, v1
	s_mov_b64 s[4:5], 0
                                        ; implicit-def: $vgpr1
	s_and_saveexec_b64 s[6:7], vcc
	s_xor_b64 s[6:7], exec, s[6:7]
	s_cbranch_execz .LBB23_398
; %bb.307:
	v_bfe_u32 v1, v0, 21, 1
	s_mov_b32 s8, 0x88fffff
	v_add3_u32 v1, v0, v1, s8
	s_mov_b64 s[4:5], exec
	v_lshrrev_b32_e32 v1, 21, v1
	s_or_saveexec_b64 s[6:7], s[6:7]
                                        ; implicit-def: $sgpr8
	s_xor_b64 exec, exec, s[6:7]
	s_cbranch_execnz .LBB23_399
.LBB23_308:
	s_or_b64 exec, exec, s[6:7]
	v_mov_b32_e32 v4, s8
	s_and_saveexec_b64 s[6:7], s[4:5]
.LBB23_309:
	v_lshrrev_b32_e32 v4, 24, v0
	s_movk_i32 s4, 0x80
	v_and_or_b32 v4, v4, s4, v1
.LBB23_310:
	s_or_b64 exec, exec, s[6:7]
.LBB23_311:
	s_or_b64 exec, exec, s[2:3]
	s_mov_b64 s[2:3], 0
	global_store_byte v[2:3], v4, off
.LBB23_312:
	s_and_b64 vcc, exec, s[2:3]
	s_cbranch_vccz .LBB23_322
; %bb.313:
	v_and_b32_e32 v4, 0x7fffffff, v0
	s_mov_b32 s2, 0x43f00000
	v_cmp_gt_u32_e32 vcc, s2, v4
                                        ; implicit-def: $vgpr1
	s_and_saveexec_b64 s[2:3], vcc
	s_xor_b64 s[2:3], exec, s[2:3]
	s_cbranch_execz .LBB23_319
; %bb.314:
	s_mov_b32 s4, 0x3c7fffff
	v_cmp_lt_u32_e32 vcc, s4, v4
                                        ; implicit-def: $vgpr1
	s_and_saveexec_b64 s[4:5], vcc
	s_xor_b64 s[4:5], exec, s[4:5]
; %bb.315:
	v_bfe_u32 v1, v0, 20, 1
	s_mov_b32 s6, 0x407ffff
	v_add3_u32 v1, v0, v1, s6
	v_lshrrev_b32_e32 v4, 20, v1
	v_and_b32_e32 v1, 0xff00000, v1
	s_mov_b32 s6, 0x7f00000
	v_mov_b32_e32 v5, 0x7e
	v_cmp_ne_u32_e32 vcc, s6, v1
	s_nop 1
	v_cndmask_b32_e32 v1, v5, v4, vcc
; %bb.316:
	s_andn2_saveexec_b64 s[4:5], s[4:5]
; %bb.317:
	s_mov_b32 s6, 0x46800000
	v_add_f32_e64 v1, |v0|, s6
; %bb.318:
	s_or_b64 exec, exec, s[4:5]
                                        ; implicit-def: $vgpr4
.LBB23_319:
	s_andn2_saveexec_b64 s[2:3], s[2:3]
; %bb.320:
	s_mov_b32 s4, 0x7f800000
	v_mov_b32_e32 v1, 0x7e
	v_mov_b32_e32 v5, 0x7f
	v_cmp_lt_u32_e32 vcc, s4, v4
	s_nop 1
	v_cndmask_b32_e32 v1, v1, v5, vcc
; %bb.321:
	s_or_b64 exec, exec, s[2:3]
	v_lshrrev_b32_e32 v4, 24, v0
	s_movk_i32 s2, 0x80
	v_and_or_b32 v1, v4, s2, v1
	global_store_byte v[2:3], v1, off
.LBB23_322:
	s_mov_b64 s[2:3], 0
.LBB23_323:
	s_andn2_b64 vcc, exec, s[2:3]
	s_cbranch_vccnz .LBB23_333
; %bb.324:
	v_and_b32_e32 v4, 0x7fffffff, v0
	s_mov_b32 s2, 0x47800000
	v_cmp_gt_u32_e32 vcc, s2, v4
                                        ; implicit-def: $vgpr1
	s_and_saveexec_b64 s[2:3], vcc
	s_xor_b64 s[2:3], exec, s[2:3]
	s_cbranch_execz .LBB23_330
; %bb.325:
	s_mov_b32 s4, 0x387fffff
	v_cmp_lt_u32_e32 vcc, s4, v4
                                        ; implicit-def: $vgpr1
	s_and_saveexec_b64 s[4:5], vcc
	s_xor_b64 s[4:5], exec, s[4:5]
; %bb.326:
	v_bfe_u32 v1, v0, 21, 1
	s_mov_b32 s6, 0x80fffff
	v_add3_u32 v1, v0, v1, s6
	v_lshrrev_b32_e32 v1, 21, v1
; %bb.327:
	s_andn2_saveexec_b64 s[4:5], s[4:5]
; %bb.328:
	s_mov_b32 s6, 0x43000000
	v_add_f32_e64 v1, |v0|, s6
; %bb.329:
	s_or_b64 exec, exec, s[4:5]
                                        ; implicit-def: $vgpr4
.LBB23_330:
	s_andn2_saveexec_b64 s[2:3], s[2:3]
; %bb.331:
	s_mov_b32 s4, 0x7f800000
	v_mov_b32_e32 v1, 0x7c
	v_mov_b32_e32 v5, 0x7f
	v_cmp_lt_u32_e32 vcc, s4, v4
	s_nop 1
	v_cndmask_b32_e32 v1, v1, v5, vcc
; %bb.332:
	s_or_b64 exec, exec, s[2:3]
	v_lshrrev_b32_e32 v4, 24, v0
	s_movk_i32 s2, 0x80
	v_and_or_b32 v1, v4, s2, v1
	global_store_byte v[2:3], v1, off
.LBB23_333:
	s_mov_b64 s[4:5], 0
	s_mov_b64 s[2:3], -1
.LBB23_334:
	s_andn2_b64 vcc, exec, s[4:5]
	s_cbranch_vccnz .LBB23_342
; %bb.335:
	v_mov_b32_e32 v1, 14
	v_cmp_gt_i16_sdwa s[6:7], v28, v1 src0_sel:BYTE_0 src1_sel:DWORD
	s_mov_b64 s[4:5], -1
	s_and_b64 vcc, exec, s[6:7]
	s_cbranch_vccz .LBB23_339
; %bb.336:
	v_mov_b32_e32 v1, 15
	v_cmp_eq_u16_sdwa s[4:5], v28, v1 src0_sel:BYTE_0 src1_sel:DWORD
	s_mov_b64 s[0:1], -1
	s_and_b64 vcc, exec, s[4:5]
	s_cbranch_vccz .LBB23_338
; %bb.337:
	v_bfe_u32 v1, v0, 16, 1
	s_movk_i32 s0, 0x7fff
	v_add3_u32 v1, v0, v1, s0
	v_lshrrev_b32_e32 v1, 16, v1
	v_mov_b32_e32 v4, 0x7fc0
	v_cmp_o_f32_e32 vcc, v0, v0
	s_mov_b64 s[2:3], -1
	s_mov_b64 s[0:1], 0
	v_cndmask_b32_e32 v1, v4, v1, vcc
	global_store_short v[2:3], v1, off
.LBB23_338:
	s_mov_b64 s[4:5], 0
.LBB23_339:
	s_and_b64 vcc, exec, s[4:5]
	s_cbranch_vccz .LBB23_342
; %bb.340:
	v_mov_b32_e32 v1, 11
	v_cmp_eq_u16_sdwa s[4:5], v28, v1 src0_sel:BYTE_0 src1_sel:DWORD
	s_mov_b64 s[0:1], -1
	s_and_b64 vcc, exec, s[4:5]
	s_cbranch_vccz .LBB23_342
; %bb.341:
	v_cmp_neq_f32_e32 vcc, 0, v0
	s_mov_b64 s[2:3], -1
	s_mov_b64 s[0:1], 0
	v_cndmask_b32_e64 v1, 0, 1, vcc
	global_store_byte v[2:3], v1, off
.LBB23_342:
	s_mov_b64 s[4:5], 0
.LBB23_343:
	s_and_b64 vcc, exec, s[4:5]
	s_cbranch_vccz .LBB23_382
; %bb.344:
	v_mov_b32_e32 v1, 5
	v_cmp_lt_i16_sdwa s[4:5], v28, v1 src0_sel:BYTE_0 src1_sel:DWORD
	s_mov_b64 s[2:3], -1
	s_and_b64 vcc, exec, s[4:5]
	s_cbranch_vccnz .LBB23_365
; %bb.345:
	v_mov_b32_e32 v1, 8
	v_cmp_lt_i16_sdwa s[4:5], v28, v1 src0_sel:BYTE_0 src1_sel:DWORD
	s_and_b64 vcc, exec, s[4:5]
	s_cbranch_vccnz .LBB23_355
; %bb.346:
	v_mov_b32_e32 v1, 9
	v_cmp_lt_i16_sdwa s[4:5], v28, v1 src0_sel:BYTE_0 src1_sel:DWORD
	s_and_b64 vcc, exec, s[4:5]
	s_cbranch_vccnz .LBB23_352
; %bb.347:
	v_cmp_gt_i16_sdwa s[4:5], v28, v1 src0_sel:BYTE_0 src1_sel:DWORD
	s_and_b64 vcc, exec, s[4:5]
	s_cbranch_vccz .LBB23_349
; %bb.348:
	v_mov_b32_e32 v6, 0
	v_cvt_f64_f32_e32 v[4:5], v0
	v_mov_b32_e32 v7, v6
	s_mov_b64 s[2:3], 0
	global_store_dwordx4 v[2:3], v[4:7], off
.LBB23_349:
	s_andn2_b64 vcc, exec, s[2:3]
	s_cbranch_vccnz .LBB23_351
; %bb.350:
	v_mov_b32_e32 v1, 0
	global_store_dwordx2 v[2:3], v[0:1], off
.LBB23_351:
	s_mov_b64 s[2:3], 0
.LBB23_352:
	s_andn2_b64 vcc, exec, s[2:3]
	s_cbranch_vccnz .LBB23_354
; %bb.353:
	v_cvt_f16_f32_e32 v1, v0
	global_store_dword v[2:3], v1, off
.LBB23_354:
	s_mov_b64 s[2:3], 0
.LBB23_355:
	s_andn2_b64 vcc, exec, s[2:3]
	s_cbranch_vccnz .LBB23_364
; %bb.356:
	v_mov_b32_e32 v1, 6
	v_cmp_lt_i16_sdwa s[4:5], v28, v1 src0_sel:BYTE_0 src1_sel:DWORD
	s_mov_b64 s[2:3], -1
	s_and_b64 vcc, exec, s[4:5]
	s_cbranch_vccnz .LBB23_362
; %bb.357:
	v_cmp_gt_i16_sdwa s[4:5], v28, v1 src0_sel:BYTE_0 src1_sel:DWORD
	s_and_b64 vcc, exec, s[4:5]
	s_cbranch_vccz .LBB23_359
; %bb.358:
	v_cvt_f64_f32_e32 v[4:5], v0
	s_mov_b64 s[2:3], 0
	global_store_dwordx2 v[2:3], v[4:5], off
.LBB23_359:
	s_andn2_b64 vcc, exec, s[2:3]
	s_cbranch_vccnz .LBB23_361
; %bb.360:
	global_store_dword v[2:3], v0, off
.LBB23_361:
	s_mov_b64 s[2:3], 0
.LBB23_362:
	s_andn2_b64 vcc, exec, s[2:3]
	s_cbranch_vccnz .LBB23_364
; %bb.363:
	v_cvt_f16_f32_e32 v1, v0
	global_store_short v[2:3], v1, off
.LBB23_364:
	s_mov_b64 s[2:3], 0
.LBB23_365:
	s_andn2_b64 vcc, exec, s[2:3]
	s_cbranch_vccnz .LBB23_381
; %bb.366:
	v_mov_b32_e32 v1, 2
	v_cmp_lt_i16_sdwa s[4:5], v28, v1 src0_sel:BYTE_0 src1_sel:DWORD
	s_mov_b64 s[2:3], -1
	s_and_b64 vcc, exec, s[4:5]
	s_cbranch_vccnz .LBB23_376
; %bb.367:
	v_mov_b32_e32 v1, 3
	v_cmp_lt_i16_sdwa s[4:5], v28, v1 src0_sel:BYTE_0 src1_sel:DWORD
	s_and_b64 vcc, exec, s[4:5]
	s_cbranch_vccnz .LBB23_373
; %bb.368:
	v_cmp_gt_i16_sdwa s[4:5], v28, v1 src0_sel:BYTE_0 src1_sel:DWORD
	s_and_b64 vcc, exec, s[4:5]
	s_cbranch_vccz .LBB23_370
; %bb.369:
	v_trunc_f32_e32 v1, v0
	s_mov_b32 s2, 0x2f800000
	v_mul_f32_e64 v4, |v1|, s2
	v_floor_f32_e32 v4, v4
	s_mov_b32 s2, 0xcf800000
	v_cvt_u32_f32_e32 v5, v4
	v_fma_f32 v4, v4, s2, |v1|
	v_cvt_u32_f32_e32 v4, v4
	v_ashrrev_i32_e32 v1, 31, v1
	v_xor_b32_e32 v5, v5, v1
	s_mov_b64 s[2:3], 0
	v_xor_b32_e32 v4, v4, v1
	v_sub_co_u32_e32 v4, vcc, v4, v1
	s_nop 1
	v_subb_co_u32_e32 v5, vcc, v5, v1, vcc
	global_store_dwordx2 v[2:3], v[4:5], off
.LBB23_370:
	s_andn2_b64 vcc, exec, s[2:3]
	s_cbranch_vccnz .LBB23_372
; %bb.371:
	v_cvt_i32_f32_e32 v1, v0
	global_store_dword v[2:3], v1, off
.LBB23_372:
	s_mov_b64 s[2:3], 0
.LBB23_373:
	s_andn2_b64 vcc, exec, s[2:3]
	s_cbranch_vccnz .LBB23_375
; %bb.374:
	v_cvt_i32_f32_e32 v1, v0
	global_store_short v[2:3], v1, off
.LBB23_375:
	s_mov_b64 s[2:3], 0
.LBB23_376:
	s_andn2_b64 vcc, exec, s[2:3]
	s_cbranch_vccnz .LBB23_381
; %bb.377:
	v_mov_b32_e32 v1, 0
	v_cmp_gt_i16_sdwa s[4:5], v28, v1 src0_sel:BYTE_0 src1_sel:DWORD
	s_mov_b64 s[2:3], -1
	s_and_b64 vcc, exec, s[4:5]
	s_cbranch_vccz .LBB23_379
; %bb.378:
	v_cvt_i32_f32_e32 v1, v0
	s_mov_b64 s[2:3], 0
	global_store_byte v[2:3], v1, off
.LBB23_379:
	s_andn2_b64 vcc, exec, s[2:3]
	s_cbranch_vccnz .LBB23_381
; %bb.380:
	v_trunc_f32_e32 v0, v0
	s_mov_b32 s2, 0x2f800000
	v_mul_f32_e64 v1, |v0|, s2
	v_floor_f32_e32 v1, v1
	s_mov_b32 s2, 0xcf800000
	v_fma_f32 v1, v1, s2, |v0|
	v_cvt_u32_f32_e32 v1, v1
	v_ashrrev_i32_e32 v0, 31, v0
	v_xor_b32_e32 v1, v1, v0
	v_sub_u32_e32 v0, v1, v0
	global_store_byte v[2:3], v0, off
.LBB23_381:
	s_mov_b64 s[2:3], -1
.LBB23_382:
	s_andn2_b64 vcc, exec, s[2:3]
	s_cbranch_vccnz .LBB23_384
; %bb.383:
	v_add_u32_e32 v21, 0x80, v21
	s_mov_b64 s[2:3], -1
	s_branch .LBB23_385
.LBB23_384:
	s_mov_b64 s[2:3], 0
                                        ; implicit-def: $vgpr21
.LBB23_385:
	s_andn2_b64 s[4:5], s[42:43], exec
	s_and_b64 s[0:1], s[0:1], exec
	s_or_b64 s[48:49], s[4:5], s[0:1]
	s_orn2_b64 s[2:3], s[2:3], exec
.LBB23_386:
	s_or_b64 exec, exec, s[46:47]
	s_mov_b64 s[0:1], 0
	s_mov_b64 s[6:7], 0
                                        ; implicit-def: $vgpr4
                                        ; implicit-def: $vgpr2_vgpr3
                                        ; implicit-def: $vgpr0
	s_and_saveexec_b64 s[46:47], s[2:3]
	s_cbranch_execz .LBB23_470
; %bb.387:
	v_cmp_gt_i32_e32 vcc, s33, v21
	s_mov_b64 s[2:3], 0
	s_mov_b64 s[4:5], s[48:49]
                                        ; implicit-def: $vgpr4
                                        ; implicit-def: $vgpr2_vgpr3
                                        ; implicit-def: $vgpr0
	s_and_saveexec_b64 s[50:51], vcc
	s_cbranch_execz .LBB23_469
; %bb.388:
	v_mov_b32_e32 v0, s26
	v_mov_b32_e32 v1, s27
	;; [unrolled: 1-line block ×5, first 2 shown]
	s_getpc_b64 s[0:1]
	s_add_u32 s0, s0, _ZN2at6native6invokeIZZZNS0_12_GLOBAL__N_121bessel_y0_kernel_cudaERNS_18TensorIteratorBaseEENKUlvE_clEvENKUlvE0_clEvEUlfE_i15function_traitsIS7_EEENT1_11result_typeERKT_PrKPcPKT0_PKN3c1010ScalarTypeEi@rel32@lo+4
	s_addc_u32 s1, s1, _ZN2at6native6invokeIZZZNS0_12_GLOBAL__N_121bessel_y0_kernel_cudaERNS_18TensorIteratorBaseEENKUlvE_clEvENKUlvE0_clEvEUlfE_i15function_traitsIS7_EEENT1_11result_typeERKT_PrKPcPKT0_PKN3c1010ScalarTypeEi@rel32@hi+12
	s_swappc_b64 s[30:31], s[0:1]
	v_mul_lo_u32 v2, v21, s28
	v_and_b32_e32 v4, 0xff, v28
	v_ashrrev_i32_e32 v3, 31, v2
	v_cmp_gt_i16_e32 vcc, 11, v4
	v_lshl_add_u64 v[2:3], s[24:25], 0, v[2:3]
	s_cbranch_vccnz .LBB23_395
; %bb.389:
	v_cmp_lt_i16_e32 vcc, 25, v4
	s_mov_b64 s[4:5], -1
	s_mov_b64 s[0:1], s[48:49]
	s_cbranch_vccz .LBB23_427
; %bb.390:
	v_cmp_lt_i16_e32 vcc, 28, v4
	s_mov_b64 s[2:3], -1
	s_mov_b64 s[0:1], s[48:49]
	s_cbranch_vccz .LBB23_411
; %bb.391:
	v_cmp_lt_i16_e32 vcc, 43, v4
	s_mov_b64 s[0:1], s[48:49]
	s_cbranch_vccz .LBB23_407
; %bb.392:
	v_cmp_lt_i16_e32 vcc, 45, v4
	s_mov_b64 s[0:1], s[48:49]
	s_cbranch_vccz .LBB23_401
; %bb.393:
	v_cmp_eq_u16_e32 vcc, 46, v4
	s_mov_b64 s[0:1], -1
	s_cbranch_vccz .LBB23_400
; %bb.394:
	v_bfe_u32 v1, v0, 16, 1
	s_movk_i32 s0, 0x7fff
	v_add3_u32 v1, v0, v1, s0
	v_lshrrev_b32_e32 v1, 16, v1
	v_mov_b32_e32 v5, 0x7fc0
	v_cmp_o_f32_e32 vcc, v0, v0
	s_mov_b64 s[0:1], 0
	s_mov_b64 s[2:3], 0
	v_cndmask_b32_e32 v1, v5, v1, vcc
	global_store_dword v[2:3], v1, off
	s_branch .LBB23_401
.LBB23_395:
	s_mov_b64 s[4:5], 0
	s_mov_b64 s[2:3], -1
	s_mov_b64 s[0:1], s[48:49]
	s_branch .LBB23_468
.LBB23_396:
	s_or_saveexec_b64 s[6:7], s[6:7]
                                        ; implicit-def: $sgpr8
	s_xor_b64 exec, exec, s[6:7]
	s_cbranch_execz .LBB23_295
.LBB23_397:
	s_mov_b32 s8, 0x46000000
	v_add_f32_e64 v1, |v0|, s8
	v_and_b32_e32 v1, 0xff, v1
	v_cmp_ne_u32_e32 vcc, 0, v1
	s_andn2_b64 s[4:5], s[4:5], exec
	s_and_b64 s[10:11], vcc, exec
	s_mov_b32 s8, 0
	s_or_b64 s[4:5], s[4:5], s[10:11]
	s_or_b64 exec, exec, s[6:7]
	v_mov_b32_e32 v4, s8
	s_and_saveexec_b64 s[6:7], s[4:5]
	s_cbranch_execnz .LBB23_296
	s_branch .LBB23_297
.LBB23_398:
	s_or_saveexec_b64 s[6:7], s[6:7]
                                        ; implicit-def: $sgpr8
	s_xor_b64 exec, exec, s[6:7]
	s_cbranch_execz .LBB23_308
.LBB23_399:
	s_mov_b32 s8, 0x42800000
	v_add_f32_e64 v1, |v0|, s8
	v_and_b32_e32 v1, 0xff, v1
	v_cmp_ne_u32_e32 vcc, 0, v1
	s_andn2_b64 s[4:5], s[4:5], exec
	s_and_b64 s[10:11], vcc, exec
	s_mov_b32 s8, 0
	s_or_b64 s[4:5], s[4:5], s[10:11]
	s_or_b64 exec, exec, s[6:7]
	v_mov_b32_e32 v4, s8
	s_and_saveexec_b64 s[6:7], s[4:5]
	s_cbranch_execnz .LBB23_309
	s_branch .LBB23_310
.LBB23_400:
	s_mov_b64 s[2:3], 0
.LBB23_401:
	s_and_b64 vcc, exec, s[2:3]
	s_cbranch_vccz .LBB23_406
; %bb.402:
	v_cmp_eq_u16_e32 vcc, 44, v4
	s_mov_b64 s[0:1], -1
	s_cbranch_vccz .LBB23_406
; %bb.403:
	v_bfe_u32 v1, v0, 23, 8
	s_movk_i32 s0, 0xff
	v_cmp_ne_u32_e32 vcc, s0, v1
	v_mov_b32_e32 v5, 0xff
	s_and_saveexec_b64 s[2:3], vcc
; %bb.404:
	s_mov_b32 s0, 0x3fffff
	v_and_b32_e32 v6, 0x400000, v0
	v_and_or_b32 v1, v0, s0, v1
	v_cmp_ne_u32_e32 vcc, 0, v6
	v_cmp_ne_u32_e64 s[0:1], 0, v1
	s_and_b64 s[0:1], vcc, s[0:1]
	v_lshrrev_b32_e32 v5, 23, v0
	v_cndmask_b32_e64 v1, 0, 1, s[0:1]
	v_add_u32_e32 v5, v5, v1
; %bb.405:
	s_or_b64 exec, exec, s[2:3]
	s_mov_b64 s[0:1], 0
	global_store_byte v[2:3], v5, off
.LBB23_406:
	s_mov_b64 s[2:3], 0
.LBB23_407:
	s_and_b64 vcc, exec, s[2:3]
	s_cbranch_vccz .LBB23_410
; %bb.408:
	v_cmp_eq_u16_e32 vcc, 29, v4
	s_mov_b64 s[0:1], -1
	s_cbranch_vccz .LBB23_410
; %bb.409:
	v_trunc_f32_e32 v1, v0
	v_mul_f32_e32 v5, 0x2f800000, v1
	v_floor_f32_e32 v5, v5
	v_fmamk_f32 v1, v5, 0xcf800000, v1
	v_cvt_u32_f32_e32 v7, v5
	v_cvt_u32_f32_e32 v6, v1
	s_mov_b64 s[0:1], 0
	s_mov_b64 s[2:3], 0
	global_store_dwordx2 v[2:3], v[6:7], off
	s_branch .LBB23_411
.LBB23_410:
	s_mov_b64 s[2:3], 0
.LBB23_411:
	s_and_b64 vcc, exec, s[2:3]
	s_cbranch_vccz .LBB23_426
; %bb.412:
	v_cmp_gt_i16_e32 vcc, 27, v4
	s_mov_b64 s[2:3], -1
	s_cbranch_vccnz .LBB23_418
; %bb.413:
	v_cvt_u32_f32_e32 v1, v0
	v_cmp_lt_i16_e32 vcc, 27, v4
	s_cbranch_vccz .LBB23_415
; %bb.414:
	s_mov_b64 s[2:3], 0
	global_store_dword v[2:3], v1, off
.LBB23_415:
	s_andn2_b64 vcc, exec, s[2:3]
	s_cbranch_vccnz .LBB23_417
; %bb.416:
	global_store_short v[2:3], v1, off
.LBB23_417:
	s_mov_b64 s[2:3], 0
.LBB23_418:
	s_andn2_b64 vcc, exec, s[2:3]
	s_cbranch_vccnz .LBB23_426
; %bb.419:
	v_and_b32_e32 v1, 0x7fffffff, v0
	s_mov_b32 s2, 0x43800000
	v_cmp_gt_u32_e32 vcc, s2, v1
	v_mov_b32_e32 v5, 0x80
	s_and_saveexec_b64 s[2:3], vcc
	s_cbranch_execz .LBB23_425
; %bb.420:
	s_mov_b32 s4, 0x3bffffff
	v_cmp_lt_u32_e32 vcc, s4, v1
	s_mov_b64 s[4:5], 0
                                        ; implicit-def: $vgpr1
	s_and_saveexec_b64 s[6:7], vcc
	s_xor_b64 s[6:7], exec, s[6:7]
	s_cbranch_execz .LBB23_1015
; %bb.421:
	v_bfe_u32 v1, v0, 20, 1
	s_mov_b32 s8, 0x487ffff
	v_add3_u32 v1, v0, v1, s8
	s_mov_b64 s[4:5], exec
	v_lshrrev_b32_e32 v1, 20, v1
	s_or_saveexec_b64 s[6:7], s[6:7]
                                        ; implicit-def: $sgpr8
	s_xor_b64 exec, exec, s[6:7]
	s_cbranch_execnz .LBB23_1016
.LBB23_422:
	s_or_b64 exec, exec, s[6:7]
	v_mov_b32_e32 v5, s8
	s_and_saveexec_b64 s[6:7], s[4:5]
.LBB23_423:
	v_lshrrev_b32_e32 v5, 24, v0
	s_movk_i32 s4, 0x80
	v_and_or_b32 v5, v5, s4, v1
.LBB23_424:
	s_or_b64 exec, exec, s[6:7]
.LBB23_425:
	s_or_b64 exec, exec, s[2:3]
	global_store_byte v[2:3], v5, off
.LBB23_426:
	s_mov_b64 s[4:5], 0
.LBB23_427:
	s_mov_b64 s[2:3], 0
	s_and_b64 vcc, exec, s[4:5]
	s_cbranch_vccz .LBB23_467
; %bb.428:
	v_cmp_lt_i16_e32 vcc, 22, v4
	s_mov_b64 s[4:5], -1
	s_cbranch_vccz .LBB23_460
; %bb.429:
	v_cmp_gt_i16_e32 vcc, 24, v4
	s_cbranch_vccnz .LBB23_449
; %bb.430:
	v_cmp_lt_i16_e32 vcc, 24, v4
	s_cbranch_vccz .LBB23_438
; %bb.431:
	v_and_b32_e32 v1, 0x7fffffff, v0
	s_mov_b32 s4, 0x47800000
	v_cmp_gt_u32_e32 vcc, s4, v1
	v_mov_b32_e32 v5, 0x80
	s_and_saveexec_b64 s[4:5], vcc
	s_cbranch_execz .LBB23_437
; %bb.432:
	s_mov_b32 s6, 0x37ffffff
	v_cmp_lt_u32_e32 vcc, s6, v1
	s_mov_b64 s[6:7], 0
                                        ; implicit-def: $vgpr1
	s_and_saveexec_b64 s[8:9], vcc
	s_xor_b64 s[8:9], exec, s[8:9]
	s_cbranch_execz .LBB23_1019
; %bb.433:
	v_bfe_u32 v1, v0, 21, 1
	s_mov_b32 s10, 0x88fffff
	v_add3_u32 v1, v0, v1, s10
	s_mov_b64 s[6:7], exec
	v_lshrrev_b32_e32 v1, 21, v1
	s_or_saveexec_b64 s[8:9], s[8:9]
                                        ; implicit-def: $sgpr10
	s_xor_b64 exec, exec, s[8:9]
	s_cbranch_execnz .LBB23_1020
.LBB23_434:
	s_or_b64 exec, exec, s[8:9]
	v_mov_b32_e32 v5, s10
	s_and_saveexec_b64 s[8:9], s[6:7]
.LBB23_435:
	v_lshrrev_b32_e32 v5, 24, v0
	s_movk_i32 s6, 0x80
	v_and_or_b32 v5, v5, s6, v1
.LBB23_436:
	s_or_b64 exec, exec, s[8:9]
.LBB23_437:
	s_or_b64 exec, exec, s[4:5]
	s_mov_b64 s[4:5], 0
	global_store_byte v[2:3], v5, off
.LBB23_438:
	s_and_b64 vcc, exec, s[4:5]
	s_cbranch_vccz .LBB23_448
; %bb.439:
	v_and_b32_e32 v5, 0x7fffffff, v0
	s_mov_b32 s4, 0x43f00000
	v_cmp_gt_u32_e32 vcc, s4, v5
                                        ; implicit-def: $vgpr1
	s_and_saveexec_b64 s[4:5], vcc
	s_xor_b64 s[4:5], exec, s[4:5]
	s_cbranch_execz .LBB23_445
; %bb.440:
	s_mov_b32 s6, 0x3c7fffff
	v_cmp_lt_u32_e32 vcc, s6, v5
                                        ; implicit-def: $vgpr1
	s_and_saveexec_b64 s[6:7], vcc
	s_xor_b64 s[6:7], exec, s[6:7]
; %bb.441:
	v_bfe_u32 v1, v0, 20, 1
	s_mov_b32 s8, 0x407ffff
	v_add3_u32 v1, v0, v1, s8
	v_lshrrev_b32_e32 v5, 20, v1
	v_and_b32_e32 v1, 0xff00000, v1
	s_mov_b32 s8, 0x7f00000
	v_mov_b32_e32 v6, 0x7e
	v_cmp_ne_u32_e32 vcc, s8, v1
	s_nop 1
	v_cndmask_b32_e32 v1, v6, v5, vcc
; %bb.442:
	s_andn2_saveexec_b64 s[6:7], s[6:7]
; %bb.443:
	s_mov_b32 s8, 0x46800000
	v_add_f32_e64 v1, |v0|, s8
; %bb.444:
	s_or_b64 exec, exec, s[6:7]
                                        ; implicit-def: $vgpr5
.LBB23_445:
	s_andn2_saveexec_b64 s[4:5], s[4:5]
; %bb.446:
	s_mov_b32 s6, 0x7f800000
	v_mov_b32_e32 v1, 0x7e
	v_mov_b32_e32 v6, 0x7f
	v_cmp_lt_u32_e32 vcc, s6, v5
	s_nop 1
	v_cndmask_b32_e32 v1, v1, v6, vcc
; %bb.447:
	s_or_b64 exec, exec, s[4:5]
	v_lshrrev_b32_e32 v5, 24, v0
	s_movk_i32 s4, 0x80
	v_and_or_b32 v1, v5, s4, v1
	global_store_byte v[2:3], v1, off
.LBB23_448:
	s_mov_b64 s[4:5], 0
.LBB23_449:
	s_andn2_b64 vcc, exec, s[4:5]
	s_cbranch_vccnz .LBB23_459
; %bb.450:
	v_and_b32_e32 v5, 0x7fffffff, v0
	s_mov_b32 s4, 0x47800000
	v_cmp_gt_u32_e32 vcc, s4, v5
                                        ; implicit-def: $vgpr1
	s_and_saveexec_b64 s[4:5], vcc
	s_xor_b64 s[4:5], exec, s[4:5]
	s_cbranch_execz .LBB23_456
; %bb.451:
	s_mov_b32 s6, 0x387fffff
	v_cmp_lt_u32_e32 vcc, s6, v5
                                        ; implicit-def: $vgpr1
	s_and_saveexec_b64 s[6:7], vcc
	s_xor_b64 s[6:7], exec, s[6:7]
; %bb.452:
	v_bfe_u32 v1, v0, 21, 1
	s_mov_b32 s8, 0x80fffff
	v_add3_u32 v1, v0, v1, s8
	v_lshrrev_b32_e32 v1, 21, v1
; %bb.453:
	s_andn2_saveexec_b64 s[6:7], s[6:7]
; %bb.454:
	s_mov_b32 s8, 0x43000000
	v_add_f32_e64 v1, |v0|, s8
; %bb.455:
	s_or_b64 exec, exec, s[6:7]
                                        ; implicit-def: $vgpr5
.LBB23_456:
	s_andn2_saveexec_b64 s[4:5], s[4:5]
; %bb.457:
	s_mov_b32 s6, 0x7f800000
	v_mov_b32_e32 v1, 0x7c
	v_mov_b32_e32 v6, 0x7f
	v_cmp_lt_u32_e32 vcc, s6, v5
	s_nop 1
	v_cndmask_b32_e32 v1, v1, v6, vcc
; %bb.458:
	s_or_b64 exec, exec, s[4:5]
	v_lshrrev_b32_e32 v5, 24, v0
	s_movk_i32 s4, 0x80
	v_and_or_b32 v1, v5, s4, v1
	global_store_byte v[2:3], v1, off
.LBB23_459:
	s_mov_b64 s[4:5], 0
.LBB23_460:
	s_andn2_b64 vcc, exec, s[4:5]
	s_mov_b64 s[4:5], 0
	s_cbranch_vccnz .LBB23_468
; %bb.461:
	v_cmp_lt_i16_e32 vcc, 14, v4
	s_mov_b64 s[6:7], -1
	s_cbranch_vccz .LBB23_465
; %bb.462:
	v_cmp_eq_u16_e32 vcc, 15, v4
	s_mov_b64 s[0:1], -1
	s_cbranch_vccz .LBB23_464
; %bb.463:
	v_bfe_u32 v1, v0, 16, 1
	s_movk_i32 s0, 0x7fff
	v_add3_u32 v1, v0, v1, s0
	v_lshrrev_b32_e32 v1, 16, v1
	v_mov_b32_e32 v5, 0x7fc0
	v_cmp_o_f32_e32 vcc, v0, v0
	s_mov_b64 s[0:1], 0
	s_nop 0
	v_cndmask_b32_e32 v1, v5, v1, vcc
	global_store_short v[2:3], v1, off
.LBB23_464:
	s_mov_b64 s[6:7], 0
.LBB23_465:
	s_and_b64 vcc, exec, s[6:7]
	s_cbranch_vccz .LBB23_468
; %bb.466:
	v_cmp_ne_u16_e32 vcc, 11, v4
	s_andn2_b64 s[0:1], s[0:1], exec
	s_and_b64 s[6:7], vcc, exec
	s_mov_b64 s[4:5], -1
	s_or_b64 s[0:1], s[0:1], s[6:7]
	s_branch .LBB23_468
.LBB23_467:
	s_mov_b64 s[4:5], 0
.LBB23_468:
	s_and_b64 s[6:7], s[2:3], exec
	s_and_b64 s[2:3], s[4:5], exec
	s_andn2_b64 s[4:5], s[48:49], exec
	s_and_b64 s[0:1], s[0:1], exec
	s_or_b64 s[4:5], s[4:5], s[0:1]
.LBB23_469:
	s_or_b64 exec, exec, s[50:51]
	s_and_b64 s[0:1], s[2:3], exec
	s_andn2_b64 s[2:3], s[48:49], exec
	s_and_b64 s[4:5], s[4:5], exec
	s_and_b64 s[6:7], s[6:7], exec
	s_or_b64 s[48:49], s[2:3], s[4:5]
.LBB23_470:
	s_or_b64 exec, exec, s[46:47]
	s_and_b64 s[2:3], s[6:7], exec
	s_andn2_b64 s[4:5], s[42:43], exec
	s_and_b64 s[6:7], s[48:49], exec
	s_and_b64 s[0:1], s[0:1], exec
	s_or_b64 s[42:43], s[4:5], s[6:7]
.LBB23_471:
	s_or_b64 exec, exec, s[44:45]
	s_and_b64 s[44:45], s[0:1], exec
	s_andn2_b64 s[0:1], s[38:39], exec
	s_and_b64 s[4:5], s[42:43], exec
	s_and_b64 s[2:3], s[2:3], exec
	s_or_b64 s[38:39], s[0:1], s[4:5]
	s_or_b64 exec, exec, s[40:41]
	s_mov_b64 s[0:1], 0
	s_and_saveexec_b64 s[4:5], s[38:39]
	s_cbranch_execz .LBB23_134
.LBB23_472:
	s_mov_b64 s[0:1], exec
	s_andn2_b64 s[44:45], s[44:45], exec
	s_trap 2
	s_or_b64 exec, exec, s[4:5]
	s_and_saveexec_b64 s[4:5], s[44:45]
	s_xor_b64 s[4:5], exec, s[4:5]
	s_cbranch_execnz .LBB23_135
.LBB23_473:
	s_or_b64 exec, exec, s[4:5]
	s_and_saveexec_b64 s[4:5], s[2:3]
	s_xor_b64 s[2:3], exec, s[4:5]
	s_cbranch_execz .LBB23_511
.LBB23_474:
	v_cmp_gt_i16_e32 vcc, 5, v4
	s_mov_b64 s[4:5], -1
	s_cbranch_vccnz .LBB23_495
; %bb.475:
	v_cmp_gt_i16_e32 vcc, 8, v4
	s_cbranch_vccnz .LBB23_485
; %bb.476:
	v_cmp_gt_i16_e32 vcc, 9, v4
	s_cbranch_vccnz .LBB23_482
; %bb.477:
	v_cmp_lt_i16_e32 vcc, 9, v4
	s_cbranch_vccz .LBB23_479
; %bb.478:
	v_mov_b32_e32 v8, 0
	v_cvt_f64_f32_e32 v[6:7], v0
	v_mov_b32_e32 v9, v8
	s_mov_b64 s[4:5], 0
	global_store_dwordx4 v[2:3], v[6:9], off
.LBB23_479:
	s_andn2_b64 vcc, exec, s[4:5]
	s_cbranch_vccnz .LBB23_481
; %bb.480:
	v_mov_b32_e32 v1, 0
	global_store_dwordx2 v[2:3], v[0:1], off
.LBB23_481:
	s_mov_b64 s[4:5], 0
.LBB23_482:
	s_andn2_b64 vcc, exec, s[4:5]
	s_cbranch_vccnz .LBB23_484
; %bb.483:
	v_cvt_f16_f32_e32 v1, v0
	global_store_dword v[2:3], v1, off
.LBB23_484:
	s_mov_b64 s[4:5], 0
.LBB23_485:
	s_andn2_b64 vcc, exec, s[4:5]
	s_cbranch_vccnz .LBB23_494
; %bb.486:
	v_cmp_gt_i16_e32 vcc, 6, v4
	s_mov_b64 s[4:5], -1
	s_cbranch_vccnz .LBB23_492
; %bb.487:
	v_cmp_lt_i16_e32 vcc, 6, v4
	s_cbranch_vccz .LBB23_489
; %bb.488:
	v_cvt_f64_f32_e32 v[6:7], v0
	s_mov_b64 s[4:5], 0
	global_store_dwordx2 v[2:3], v[6:7], off
.LBB23_489:
	s_andn2_b64 vcc, exec, s[4:5]
	s_cbranch_vccnz .LBB23_491
; %bb.490:
	global_store_dword v[2:3], v0, off
.LBB23_491:
	s_mov_b64 s[4:5], 0
.LBB23_492:
	s_andn2_b64 vcc, exec, s[4:5]
	s_cbranch_vccnz .LBB23_494
; %bb.493:
	v_cvt_f16_f32_e32 v1, v0
	global_store_short v[2:3], v1, off
.LBB23_494:
	s_mov_b64 s[4:5], 0
.LBB23_495:
	s_andn2_b64 vcc, exec, s[4:5]
	s_cbranch_vccnz .LBB23_511
; %bb.496:
	v_cmp_gt_i16_e32 vcc, 2, v4
	s_mov_b64 s[4:5], -1
	s_cbranch_vccnz .LBB23_506
; %bb.497:
	v_cmp_gt_i16_e32 vcc, 3, v4
	s_cbranch_vccnz .LBB23_503
; %bb.498:
	v_cmp_lt_i16_e32 vcc, 3, v4
	s_cbranch_vccz .LBB23_500
; %bb.499:
	v_trunc_f32_e32 v1, v0
	s_mov_b32 s4, 0x2f800000
	v_mul_f32_e64 v5, |v1|, s4
	v_floor_f32_e32 v5, v5
	s_mov_b32 s4, 0xcf800000
	v_cvt_u32_f32_e32 v6, v5
	v_fma_f32 v5, v5, s4, |v1|
	v_cvt_u32_f32_e32 v5, v5
	v_ashrrev_i32_e32 v1, 31, v1
	v_xor_b32_e32 v7, v6, v1
	s_mov_b64 s[4:5], 0
	v_xor_b32_e32 v5, v5, v1
	v_sub_co_u32_e32 v6, vcc, v5, v1
	s_nop 1
	v_subb_co_u32_e32 v7, vcc, v7, v1, vcc
	global_store_dwordx2 v[2:3], v[6:7], off
.LBB23_500:
	s_andn2_b64 vcc, exec, s[4:5]
	s_cbranch_vccnz .LBB23_502
; %bb.501:
	v_cvt_i32_f32_e32 v1, v0
	global_store_dword v[2:3], v1, off
.LBB23_502:
	s_mov_b64 s[4:5], 0
.LBB23_503:
	s_andn2_b64 vcc, exec, s[4:5]
	s_cbranch_vccnz .LBB23_505
; %bb.504:
	v_cvt_i32_f32_e32 v1, v0
	global_store_short v[2:3], v1, off
.LBB23_505:
	s_mov_b64 s[4:5], 0
.LBB23_506:
	s_andn2_b64 vcc, exec, s[4:5]
	s_cbranch_vccnz .LBB23_511
; %bb.507:
	v_cmp_lt_i16_e32 vcc, 0, v4
	s_mov_b64 s[4:5], -1
	s_cbranch_vccz .LBB23_509
; %bb.508:
	v_cvt_i32_f32_e32 v1, v0
	s_mov_b64 s[4:5], 0
	global_store_byte v[2:3], v1, off
.LBB23_509:
	s_andn2_b64 vcc, exec, s[4:5]
	s_cbranch_vccnz .LBB23_511
; %bb.510:
	v_trunc_f32_e32 v0, v0
	s_mov_b32 s4, 0x2f800000
	v_mul_f32_e64 v1, |v0|, s4
	v_floor_f32_e32 v1, v1
	s_mov_b32 s4, 0xcf800000
	v_fma_f32 v1, v1, s4, |v0|
	v_cvt_u32_f32_e32 v1, v1
	v_ashrrev_i32_e32 v0, 31, v0
	v_xor_b32_e32 v1, v1, v0
	v_sub_u32_e32 v0, v1, v0
	global_store_byte v[2:3], v0, off
.LBB23_511:
	s_or_b64 exec, exec, s[2:3]
	s_and_b64 s[38:39], s[0:1], exec
                                        ; implicit-def: $vgpr28
                                        ; implicit-def: $vgpr21
                                        ; implicit-def: $vgpr23
                                        ; implicit-def: $vgpr25
.LBB23_512:
	s_or_saveexec_b64 s[36:37], s[36:37]
	s_mov_b64 s[0:1], 0
                                        ; implicit-def: $vgpr4
                                        ; implicit-def: $vgpr2_vgpr3
                                        ; implicit-def: $vgpr0
	s_xor_b64 exec, exec, s[36:37]
	s_cbranch_execz .LBB23_964
; %bb.513:
	v_mov_b32_e32 v0, s26
	v_mov_b32_e32 v1, s27
	;; [unrolled: 1-line block ×5, first 2 shown]
	v_add_u32_e32 v22, 0x80, v21
	v_add_u32_e32 v27, 0x100, v21
	s_getpc_b64 s[34:35]
	s_add_u32 s34, s34, _ZN2at6native6invokeIZZZNS0_12_GLOBAL__N_121bessel_y0_kernel_cudaERNS_18TensorIteratorBaseEENKUlvE_clEvENKUlvE0_clEvEUlfE_i15function_traitsIS7_EEENT1_11result_typeERKT_PrKPcPKT0_PKN3c1010ScalarTypeEi@rel32@lo+4
	s_addc_u32 s35, s35, _ZN2at6native6invokeIZZZNS0_12_GLOBAL__N_121bessel_y0_kernel_cudaERNS_18TensorIteratorBaseEENKUlvE_clEvENKUlvE0_clEvEUlfE_i15function_traitsIS7_EEENT1_11result_typeERKT_PrKPcPKT0_PKN3c1010ScalarTypeEi@rel32@hi+12
	s_swappc_b64 s[30:31], s[34:35]
	v_mov_b32_e32 v26, v0
	v_mov_b32_e32 v0, s26
	v_mov_b32_e32 v1, s27
	v_mov_b32_e32 v2, s29
	v_mov_b32_e32 v3, v23
	v_mov_b32_e32 v4, v22
	s_swappc_b64 s[30:31], s[34:35]
	v_mov_b32_e32 v24, v0
	v_mov_b32_e32 v0, s26
	v_mov_b32_e32 v1, s27
	v_mov_b32_e32 v2, s29
	v_mov_b32_e32 v3, v23
	v_mov_b32_e32 v4, v27
	s_swappc_b64 s[30:31], s[34:35]
	v_mov_b32_e32 v22, v0
	v_mov_b32_e32 v0, s26
	v_mov_b32_e32 v1, s27
	v_mov_b32_e32 v2, s29
	v_mov_b32_e32 v3, v23
	v_mov_b32_e32 v4, v25
	s_swappc_b64 s[30:31], s[34:35]
	v_mul_lo_u32 v2, s28, v21
	v_mov_b32_e32 v1, 11
	v_ashrrev_i32_e32 v3, 31, v2
	v_cmp_lt_i16_sdwa s[0:1], v28, v1 src0_sel:BYTE_0 src1_sel:DWORD
	v_lshl_add_u64 v[4:5], s[24:25], 0, v[2:3]
	s_and_b64 vcc, exec, s[0:1]
	s_cbranch_vccnz .LBB23_520
; %bb.514:
	v_mov_b32_e32 v1, 25
	v_cmp_gt_i16_sdwa s[0:1], v28, v1 src0_sel:BYTE_0 src1_sel:DWORD
	s_mov_b64 s[2:3], -1
	s_mov_b64 s[4:5], 0
	s_and_b64 vcc, exec, s[0:1]
	s_mov_b64 s[6:7], 0
	s_mov_b64 s[0:1], 0
	s_cbranch_vccz .LBB23_551
; %bb.515:
	v_mov_b32_e32 v1, 28
	v_cmp_gt_i16_sdwa s[0:1], v28, v1 src0_sel:BYTE_0 src1_sel:DWORD
	s_and_b64 vcc, exec, s[0:1]
	s_cbranch_vccz .LBB23_522
; %bb.516:
	v_mov_b32_e32 v1, 43
	v_cmp_gt_i16_sdwa s[0:1], v28, v1 src0_sel:BYTE_0 src1_sel:DWORD
	s_and_b64 vcc, exec, s[0:1]
	s_cbranch_vccz .LBB23_523
; %bb.517:
	v_mov_b32_e32 v1, 45
	v_cmp_gt_i16_sdwa s[0:1], v28, v1 src0_sel:BYTE_0 src1_sel:DWORD
	s_and_b64 vcc, exec, s[0:1]
	s_cbranch_vccz .LBB23_524
; %bb.518:
	v_mov_b32_e32 v1, 46
	v_cmp_eq_u16_sdwa s[6:7], v28, v1 src0_sel:BYTE_0 src1_sel:DWORD
	s_mov_b64 s[0:1], -1
	s_mov_b64 s[2:3], 0
	s_and_b64 vcc, exec, s[6:7]
	s_mov_b64 s[6:7], 0
	s_cbranch_vccz .LBB23_525
; %bb.519:
	v_bfe_u32 v1, v26, 16, 1
	s_movk_i32 s0, 0x7fff
	v_add3_u32 v1, v26, v1, s0
	v_lshrrev_b32_e32 v1, 16, v1
	v_mov_b32_e32 v3, 0x7fc0
	v_cmp_o_f32_e32 vcc, v26, v26
	s_mov_b64 s[0:1], 0
	s_mov_b64 s[6:7], -1
	v_cndmask_b32_e32 v1, v3, v1, vcc
	global_store_dword v[4:5], v1, off
	s_branch .LBB23_525
.LBB23_520:
	s_mov_b64 s[6:7], 0
	s_mov_b64 s[2:3], s[38:39]
	s_cbranch_execnz .LBB23_595
.LBB23_521:
	s_andn2_b64 vcc, exec, s[6:7]
	s_cbranch_vccz .LBB23_633
	s_branch .LBB23_962
.LBB23_522:
	s_mov_b64 s[0:1], 0
	s_branch .LBB23_534
.LBB23_523:
	s_mov_b64 s[0:1], 0
	s_and_b64 vcc, exec, s[2:3]
	s_cbranch_vccnz .LBB23_531
	s_branch .LBB23_533
.LBB23_524:
	s_mov_b64 s[0:1], 0
.LBB23_525:
	s_and_b64 vcc, exec, s[2:3]
	s_cbranch_vccz .LBB23_530
; %bb.526:
	v_mov_b32_e32 v1, 44
	v_cmp_eq_u16_sdwa s[2:3], v28, v1 src0_sel:BYTE_0 src1_sel:DWORD
	s_mov_b64 s[0:1], -1
	s_and_b64 vcc, exec, s[2:3]
	s_cbranch_vccz .LBB23_530
; %bb.527:
	v_bfe_u32 v1, v26, 23, 8
	s_movk_i32 s0, 0xff
	v_cmp_ne_u32_e32 vcc, s0, v1
	v_mov_b32_e32 v3, 0xff
	s_and_saveexec_b64 s[2:3], vcc
; %bb.528:
	s_mov_b32 s0, 0x3fffff
	v_and_b32_e32 v6, 0x400000, v26
	v_and_or_b32 v1, v26, s0, v1
	v_cmp_ne_u32_e32 vcc, 0, v6
	v_cmp_ne_u32_e64 s[0:1], 0, v1
	s_and_b64 s[0:1], vcc, s[0:1]
	v_lshrrev_b32_e32 v3, 23, v26
	v_cndmask_b32_e64 v1, 0, 1, s[0:1]
	v_add_u32_e32 v3, v3, v1
; %bb.529:
	s_or_b64 exec, exec, s[2:3]
	s_mov_b64 s[0:1], 0
	s_mov_b64 s[6:7], -1
	global_store_byte v[4:5], v3, off
.LBB23_530:
	s_branch .LBB23_533
.LBB23_531:
	v_mov_b32_e32 v1, 29
	v_cmp_eq_u16_sdwa s[2:3], v28, v1 src0_sel:BYTE_0 src1_sel:DWORD
	s_mov_b64 s[0:1], -1
	s_and_b64 vcc, exec, s[2:3]
	s_cbranch_vccz .LBB23_533
; %bb.532:
	v_trunc_f32_e32 v1, v26
	v_mul_f32_e32 v3, 0x2f800000, v1
	v_floor_f32_e32 v3, v3
	v_fmamk_f32 v1, v3, 0xcf800000, v1
	v_cvt_u32_f32_e32 v7, v3
	v_cvt_u32_f32_e32 v6, v1
	s_mov_b64 s[0:1], 0
	s_mov_b64 s[6:7], -1
	s_mov_b64 s[2:3], 0
	global_store_dwordx2 v[4:5], v[6:7], off
	s_branch .LBB23_534
.LBB23_533:
	s_mov_b64 s[2:3], 0
.LBB23_534:
	s_and_b64 vcc, exec, s[2:3]
	s_cbranch_vccz .LBB23_550
; %bb.535:
	v_mov_b32_e32 v1, 27
	v_cmp_lt_i16_sdwa s[6:7], v28, v1 src0_sel:BYTE_0 src1_sel:DWORD
	s_mov_b64 s[2:3], -1
	s_and_b64 vcc, exec, s[6:7]
	s_cbranch_vccnz .LBB23_541
; %bb.536:
	v_cmp_gt_i16_sdwa s[6:7], v28, v1 src0_sel:BYTE_0 src1_sel:DWORD
	v_cvt_u32_f32_e32 v1, v26
	s_and_b64 vcc, exec, s[6:7]
	s_cbranch_vccz .LBB23_538
; %bb.537:
	s_mov_b64 s[2:3], 0
	global_store_dword v[4:5], v1, off
.LBB23_538:
	s_andn2_b64 vcc, exec, s[2:3]
	s_cbranch_vccnz .LBB23_540
; %bb.539:
	global_store_short v[4:5], v1, off
.LBB23_540:
	s_mov_b64 s[2:3], 0
.LBB23_541:
	s_andn2_b64 vcc, exec, s[2:3]
	s_cbranch_vccnz .LBB23_549
; %bb.542:
	v_and_b32_e32 v1, 0x7fffffff, v26
	s_mov_b32 s2, 0x43800000
	v_cmp_gt_u32_e32 vcc, s2, v1
	v_mov_b32_e32 v3, 0x80
	s_and_saveexec_b64 s[2:3], vcc
	s_cbranch_execz .LBB23_548
; %bb.543:
	s_mov_b32 s6, 0x3bffffff
	v_cmp_lt_u32_e32 vcc, s6, v1
	s_mov_b64 s[6:7], 0
                                        ; implicit-def: $vgpr1
	s_and_saveexec_b64 s[8:9], vcc
	s_xor_b64 s[8:9], exec, s[8:9]
	s_cbranch_execz .LBB23_643
; %bb.544:
	v_bfe_u32 v1, v26, 20, 1
	s_mov_b32 s10, 0x487ffff
	v_add3_u32 v1, v26, v1, s10
	s_mov_b64 s[6:7], exec
	v_lshrrev_b32_e32 v1, 20, v1
	s_or_saveexec_b64 s[8:9], s[8:9]
                                        ; implicit-def: $sgpr10
	s_xor_b64 exec, exec, s[8:9]
	s_cbranch_execnz .LBB23_644
.LBB23_545:
	s_or_b64 exec, exec, s[8:9]
	v_mov_b32_e32 v3, s10
	s_and_saveexec_b64 s[8:9], s[6:7]
.LBB23_546:
	v_lshrrev_b32_e32 v3, 24, v26
	s_movk_i32 s6, 0x80
	v_and_or_b32 v3, v3, s6, v1
.LBB23_547:
	s_or_b64 exec, exec, s[8:9]
.LBB23_548:
	s_or_b64 exec, exec, s[2:3]
	global_store_byte v[4:5], v3, off
.LBB23_549:
	s_mov_b64 s[6:7], -1
.LBB23_550:
	s_mov_b64 s[2:3], 0
.LBB23_551:
	s_and_b64 vcc, exec, s[2:3]
	s_cbranch_vccz .LBB23_591
; %bb.552:
	v_mov_b32_e32 v1, 22
	v_cmp_gt_i16_sdwa s[4:5], v28, v1 src0_sel:BYTE_0 src1_sel:DWORD
	s_mov_b64 s[2:3], -1
	s_and_b64 vcc, exec, s[4:5]
	s_cbranch_vccz .LBB23_584
; %bb.553:
	v_mov_b32_e32 v1, 24
	v_cmp_lt_i16_sdwa s[4:5], v28, v1 src0_sel:BYTE_0 src1_sel:DWORD
	s_and_b64 vcc, exec, s[4:5]
	s_cbranch_vccnz .LBB23_573
; %bb.554:
	v_cmp_gt_i16_sdwa s[4:5], v28, v1 src0_sel:BYTE_0 src1_sel:DWORD
	s_and_b64 vcc, exec, s[4:5]
	s_cbranch_vccz .LBB23_562
; %bb.555:
	v_and_b32_e32 v1, 0x7fffffff, v26
	s_mov_b32 s2, 0x47800000
	v_cmp_gt_u32_e32 vcc, s2, v1
	v_mov_b32_e32 v3, 0x80
	s_and_saveexec_b64 s[2:3], vcc
	s_cbranch_execz .LBB23_561
; %bb.556:
	s_mov_b32 s4, 0x37ffffff
	v_cmp_lt_u32_e32 vcc, s4, v1
	s_mov_b64 s[4:5], 0
                                        ; implicit-def: $vgpr1
	s_and_saveexec_b64 s[6:7], vcc
	s_xor_b64 s[6:7], exec, s[6:7]
	s_cbranch_execz .LBB23_647
; %bb.557:
	v_bfe_u32 v1, v26, 21, 1
	s_mov_b32 s8, 0x88fffff
	v_add3_u32 v1, v26, v1, s8
	s_mov_b64 s[4:5], exec
	v_lshrrev_b32_e32 v1, 21, v1
	s_or_saveexec_b64 s[6:7], s[6:7]
                                        ; implicit-def: $sgpr8
	s_xor_b64 exec, exec, s[6:7]
	s_cbranch_execnz .LBB23_648
.LBB23_558:
	s_or_b64 exec, exec, s[6:7]
	v_mov_b32_e32 v3, s8
	s_and_saveexec_b64 s[6:7], s[4:5]
.LBB23_559:
	v_lshrrev_b32_e32 v3, 24, v26
	s_movk_i32 s4, 0x80
	v_and_or_b32 v3, v3, s4, v1
.LBB23_560:
	s_or_b64 exec, exec, s[6:7]
.LBB23_561:
	s_or_b64 exec, exec, s[2:3]
	s_mov_b64 s[2:3], 0
	global_store_byte v[4:5], v3, off
.LBB23_562:
	s_and_b64 vcc, exec, s[2:3]
	s_cbranch_vccz .LBB23_572
; %bb.563:
	v_and_b32_e32 v3, 0x7fffffff, v26
	s_mov_b32 s2, 0x43f00000
	v_cmp_gt_u32_e32 vcc, s2, v3
                                        ; implicit-def: $vgpr1
	s_and_saveexec_b64 s[2:3], vcc
	s_xor_b64 s[2:3], exec, s[2:3]
	s_cbranch_execz .LBB23_569
; %bb.564:
	s_mov_b32 s4, 0x3c7fffff
	v_cmp_lt_u32_e32 vcc, s4, v3
                                        ; implicit-def: $vgpr1
	s_and_saveexec_b64 s[4:5], vcc
	s_xor_b64 s[4:5], exec, s[4:5]
; %bb.565:
	v_bfe_u32 v1, v26, 20, 1
	s_mov_b32 s6, 0x407ffff
	v_add3_u32 v1, v26, v1, s6
	v_lshrrev_b32_e32 v3, 20, v1
	v_and_b32_e32 v1, 0xff00000, v1
	s_mov_b32 s6, 0x7f00000
	v_mov_b32_e32 v6, 0x7e
	v_cmp_ne_u32_e32 vcc, s6, v1
	s_nop 1
	v_cndmask_b32_e32 v1, v6, v3, vcc
; %bb.566:
	s_andn2_saveexec_b64 s[4:5], s[4:5]
; %bb.567:
	s_mov_b32 s6, 0x46800000
	v_add_f32_e64 v1, |v26|, s6
; %bb.568:
	s_or_b64 exec, exec, s[4:5]
                                        ; implicit-def: $vgpr3
.LBB23_569:
	s_andn2_saveexec_b64 s[2:3], s[2:3]
; %bb.570:
	s_mov_b32 s4, 0x7f800000
	v_mov_b32_e32 v1, 0x7e
	v_mov_b32_e32 v6, 0x7f
	v_cmp_lt_u32_e32 vcc, s4, v3
	s_nop 1
	v_cndmask_b32_e32 v1, v1, v6, vcc
; %bb.571:
	s_or_b64 exec, exec, s[2:3]
	v_lshrrev_b32_e32 v3, 24, v26
	s_movk_i32 s2, 0x80
	v_and_or_b32 v1, v3, s2, v1
	global_store_byte v[4:5], v1, off
.LBB23_572:
	s_mov_b64 s[2:3], 0
.LBB23_573:
	s_andn2_b64 vcc, exec, s[2:3]
	s_cbranch_vccnz .LBB23_583
; %bb.574:
	v_and_b32_e32 v3, 0x7fffffff, v26
	s_mov_b32 s2, 0x47800000
	v_cmp_gt_u32_e32 vcc, s2, v3
                                        ; implicit-def: $vgpr1
	s_and_saveexec_b64 s[2:3], vcc
	s_xor_b64 s[2:3], exec, s[2:3]
	s_cbranch_execz .LBB23_580
; %bb.575:
	s_mov_b32 s4, 0x387fffff
	v_cmp_lt_u32_e32 vcc, s4, v3
                                        ; implicit-def: $vgpr1
	s_and_saveexec_b64 s[4:5], vcc
	s_xor_b64 s[4:5], exec, s[4:5]
; %bb.576:
	v_bfe_u32 v1, v26, 21, 1
	s_mov_b32 s6, 0x80fffff
	v_add3_u32 v1, v26, v1, s6
	v_lshrrev_b32_e32 v1, 21, v1
; %bb.577:
	s_andn2_saveexec_b64 s[4:5], s[4:5]
; %bb.578:
	s_mov_b32 s6, 0x43000000
	v_add_f32_e64 v1, |v26|, s6
; %bb.579:
	s_or_b64 exec, exec, s[4:5]
                                        ; implicit-def: $vgpr3
.LBB23_580:
	s_andn2_saveexec_b64 s[2:3], s[2:3]
; %bb.581:
	s_mov_b32 s4, 0x7f800000
	v_mov_b32_e32 v1, 0x7c
	v_mov_b32_e32 v6, 0x7f
	v_cmp_lt_u32_e32 vcc, s4, v3
	s_nop 1
	v_cndmask_b32_e32 v1, v1, v6, vcc
; %bb.582:
	s_or_b64 exec, exec, s[2:3]
	v_lshrrev_b32_e32 v3, 24, v26
	s_movk_i32 s2, 0x80
	v_and_or_b32 v1, v3, s2, v1
	global_store_byte v[4:5], v1, off
.LBB23_583:
	s_mov_b64 s[2:3], 0
	s_mov_b64 s[6:7], -1
.LBB23_584:
	s_andn2_b64 vcc, exec, s[2:3]
	s_mov_b64 s[4:5], 0
	s_cbranch_vccnz .LBB23_591
; %bb.585:
	v_mov_b32_e32 v1, 14
	v_cmp_gt_i16_sdwa s[4:5], v28, v1 src0_sel:BYTE_0 src1_sel:DWORD
	s_mov_b64 s[2:3], -1
	s_and_b64 vcc, exec, s[4:5]
	s_cbranch_vccz .LBB23_589
; %bb.586:
	v_mov_b32_e32 v1, 15
	v_cmp_eq_u16_sdwa s[2:3], v28, v1 src0_sel:BYTE_0 src1_sel:DWORD
	s_mov_b64 s[0:1], -1
	s_and_b64 vcc, exec, s[2:3]
	s_cbranch_vccz .LBB23_588
; %bb.587:
	v_bfe_u32 v1, v26, 16, 1
	s_movk_i32 s0, 0x7fff
	v_add3_u32 v1, v26, v1, s0
	v_lshrrev_b32_e32 v1, 16, v1
	v_mov_b32_e32 v3, 0x7fc0
	v_cmp_o_f32_e32 vcc, v26, v26
	s_mov_b64 s[0:1], 0
	s_mov_b64 s[6:7], -1
	v_cndmask_b32_e32 v1, v3, v1, vcc
	global_store_short v[4:5], v1, off
.LBB23_588:
	s_mov_b64 s[2:3], 0
.LBB23_589:
	s_mov_b64 s[4:5], 0
	s_and_b64 vcc, exec, s[2:3]
	s_cbranch_vccz .LBB23_591
; %bb.590:
	v_mov_b32_e32 v1, 11
	v_cmp_ne_u16_sdwa s[0:1], v28, v1 src0_sel:BYTE_0 src1_sel:DWORD
	s_mov_b64 s[4:5], -1
.LBB23_591:
	s_and_b64 vcc, exec, s[0:1]
	s_mov_b64 s[2:3], s[38:39]
	s_cbranch_vccnz .LBB23_646
; %bb.592:
	s_andn2_b64 vcc, exec, s[4:5]
	s_cbranch_vccnz .LBB23_594
.LBB23_593:
	v_cmp_neq_f32_e32 vcc, 0, v26
	s_mov_b64 s[6:7], -1
	s_nop 0
	v_cndmask_b32_e64 v1, 0, 1, vcc
	global_store_byte v[4:5], v1, off
.LBB23_594:
	s_branch .LBB23_521
.LBB23_595:
	v_mov_b32_e32 v1, 5
	v_cmp_lt_i16_sdwa s[4:5], v28, v1 src0_sel:BYTE_0 src1_sel:DWORD
	s_mov_b64 s[0:1], -1
	s_and_b64 vcc, exec, s[4:5]
	s_cbranch_vccnz .LBB23_616
; %bb.596:
	v_mov_b32_e32 v1, 8
	v_cmp_lt_i16_sdwa s[4:5], v28, v1 src0_sel:BYTE_0 src1_sel:DWORD
	s_and_b64 vcc, exec, s[4:5]
	s_cbranch_vccnz .LBB23_606
; %bb.597:
	v_mov_b32_e32 v1, 9
	v_cmp_lt_i16_sdwa s[4:5], v28, v1 src0_sel:BYTE_0 src1_sel:DWORD
	s_and_b64 vcc, exec, s[4:5]
	s_cbranch_vccnz .LBB23_603
; %bb.598:
	v_cmp_gt_i16_sdwa s[4:5], v28, v1 src0_sel:BYTE_0 src1_sel:DWORD
	s_and_b64 vcc, exec, s[4:5]
	s_cbranch_vccz .LBB23_600
; %bb.599:
	v_mov_b32_e32 v8, 0
	v_cvt_f64_f32_e32 v[6:7], v26
	v_mov_b32_e32 v9, v8
	global_store_dwordx4 v[4:5], v[6:9], off
	s_mov_b64 s[0:1], 0
.LBB23_600:
	s_andn2_b64 vcc, exec, s[0:1]
	s_cbranch_vccnz .LBB23_602
; %bb.601:
	v_mov_b32_e32 v27, 0
	global_store_dwordx2 v[4:5], v[26:27], off
.LBB23_602:
	s_mov_b64 s[0:1], 0
.LBB23_603:
	s_andn2_b64 vcc, exec, s[0:1]
	s_cbranch_vccnz .LBB23_605
; %bb.604:
	v_cvt_f16_f32_e32 v1, v26
	global_store_dword v[4:5], v1, off
.LBB23_605:
	s_mov_b64 s[0:1], 0
.LBB23_606:
	s_andn2_b64 vcc, exec, s[0:1]
	s_cbranch_vccnz .LBB23_615
; %bb.607:
	v_mov_b32_e32 v1, 6
	v_cmp_lt_i16_sdwa s[4:5], v28, v1 src0_sel:BYTE_0 src1_sel:DWORD
	s_mov_b64 s[0:1], -1
	s_and_b64 vcc, exec, s[4:5]
	s_cbranch_vccnz .LBB23_613
; %bb.608:
	v_cmp_gt_i16_sdwa s[4:5], v28, v1 src0_sel:BYTE_0 src1_sel:DWORD
	s_and_b64 vcc, exec, s[4:5]
	s_cbranch_vccz .LBB23_610
; %bb.609:
	v_cvt_f64_f32_e32 v[6:7], v26
	global_store_dwordx2 v[4:5], v[6:7], off
	s_mov_b64 s[0:1], 0
.LBB23_610:
	s_andn2_b64 vcc, exec, s[0:1]
	s_cbranch_vccnz .LBB23_612
; %bb.611:
	global_store_dword v[4:5], v26, off
.LBB23_612:
	s_mov_b64 s[0:1], 0
.LBB23_613:
	s_andn2_b64 vcc, exec, s[0:1]
	s_cbranch_vccnz .LBB23_615
; %bb.614:
	v_cvt_f16_f32_e32 v1, v26
	global_store_short v[4:5], v1, off
.LBB23_615:
	s_mov_b64 s[0:1], 0
.LBB23_616:
	s_andn2_b64 vcc, exec, s[0:1]
	s_cbranch_vccnz .LBB23_632
; %bb.617:
	v_mov_b32_e32 v1, 2
	v_cmp_lt_i16_sdwa s[4:5], v28, v1 src0_sel:BYTE_0 src1_sel:DWORD
	s_mov_b64 s[0:1], -1
	s_and_b64 vcc, exec, s[4:5]
	s_cbranch_vccnz .LBB23_627
; %bb.618:
	v_mov_b32_e32 v1, 3
	v_cmp_lt_i16_sdwa s[4:5], v28, v1 src0_sel:BYTE_0 src1_sel:DWORD
	s_and_b64 vcc, exec, s[4:5]
	s_cbranch_vccnz .LBB23_624
; %bb.619:
	v_cmp_gt_i16_sdwa s[4:5], v28, v1 src0_sel:BYTE_0 src1_sel:DWORD
	s_and_b64 vcc, exec, s[4:5]
	s_cbranch_vccz .LBB23_621
; %bb.620:
	v_trunc_f32_e32 v1, v26
	s_mov_b32 s0, 0x2f800000
	v_mul_f32_e64 v3, |v1|, s0
	v_floor_f32_e32 v3, v3
	s_mov_b32 s0, 0xcf800000
	v_cvt_u32_f32_e32 v6, v3
	v_fma_f32 v3, v3, s0, |v1|
	v_cvt_u32_f32_e32 v3, v3
	v_ashrrev_i32_e32 v1, 31, v1
	v_xor_b32_e32 v7, v6, v1
	s_mov_b64 s[0:1], 0
	v_xor_b32_e32 v3, v3, v1
	v_sub_co_u32_e32 v6, vcc, v3, v1
	s_nop 1
	v_subb_co_u32_e32 v7, vcc, v7, v1, vcc
	global_store_dwordx2 v[4:5], v[6:7], off
.LBB23_621:
	s_andn2_b64 vcc, exec, s[0:1]
	s_cbranch_vccnz .LBB23_623
; %bb.622:
	v_cvt_i32_f32_e32 v1, v26
	global_store_dword v[4:5], v1, off
.LBB23_623:
	s_mov_b64 s[0:1], 0
.LBB23_624:
	s_andn2_b64 vcc, exec, s[0:1]
	s_cbranch_vccnz .LBB23_626
; %bb.625:
	v_cvt_i32_f32_e32 v1, v26
	global_store_short v[4:5], v1, off
.LBB23_626:
	s_mov_b64 s[0:1], 0
.LBB23_627:
	s_andn2_b64 vcc, exec, s[0:1]
	s_cbranch_vccnz .LBB23_632
; %bb.628:
	v_mov_b32_e32 v1, 0
	v_cmp_gt_i16_sdwa s[4:5], v28, v1 src0_sel:BYTE_0 src1_sel:DWORD
	s_mov_b64 s[0:1], -1
	s_and_b64 vcc, exec, s[4:5]
	s_cbranch_vccz .LBB23_630
; %bb.629:
	v_cvt_i32_f32_e32 v1, v26
	s_mov_b64 s[0:1], 0
	global_store_byte v[4:5], v1, off
.LBB23_630:
	s_andn2_b64 vcc, exec, s[0:1]
	s_cbranch_vccnz .LBB23_632
; %bb.631:
	v_trunc_f32_e32 v1, v26
	s_mov_b32 s0, 0x2f800000
	v_mul_f32_e64 v3, |v1|, s0
	v_floor_f32_e32 v3, v3
	s_mov_b32 s0, 0xcf800000
	v_fma_f32 v3, v3, s0, |v1|
	v_cvt_u32_f32_e32 v3, v3
	v_ashrrev_i32_e32 v1, 31, v1
	v_xor_b32_e32 v3, v3, v1
	v_sub_u32_e32 v1, v3, v1
	global_store_byte v[4:5], v1, off
.LBB23_632:
.LBB23_633:
	s_lshl_b32 s12, s28, 7
	v_add_u32_e32 v2, s12, v2
	v_mov_b32_e32 v1, 11
	v_ashrrev_i32_e32 v3, 31, v2
	v_cmp_lt_i16_sdwa s[0:1], v28, v1 src0_sel:BYTE_0 src1_sel:DWORD
	v_lshl_add_u64 v[4:5], s[24:25], 0, v[2:3]
	s_and_b64 vcc, exec, s[0:1]
	s_cbranch_vccnz .LBB23_640
; %bb.634:
	v_mov_b32_e32 v1, 25
	v_cmp_gt_i16_sdwa s[0:1], v28, v1 src0_sel:BYTE_0 src1_sel:DWORD
	s_mov_b64 s[8:9], -1
	s_mov_b64 s[4:5], 0
	s_and_b64 vcc, exec, s[0:1]
	s_mov_b64 s[6:7], 0
	s_mov_b64 s[0:1], 0
	s_cbranch_vccz .LBB23_677
; %bb.635:
	v_mov_b32_e32 v1, 28
	v_cmp_gt_i16_sdwa s[0:1], v28, v1 src0_sel:BYTE_0 src1_sel:DWORD
	s_and_b64 vcc, exec, s[0:1]
	s_cbranch_vccz .LBB23_642
; %bb.636:
	v_mov_b32_e32 v1, 43
	v_cmp_gt_i16_sdwa s[0:1], v28, v1 src0_sel:BYTE_0 src1_sel:DWORD
	s_and_b64 vcc, exec, s[0:1]
	;; [unrolled: 5-line block ×3, first 2 shown]
	s_cbranch_vccz .LBB23_649
; %bb.638:
	v_mov_b32_e32 v1, 46
	v_cmp_eq_u16_sdwa s[6:7], v28, v1 src0_sel:BYTE_0 src1_sel:DWORD
	s_mov_b64 s[0:1], -1
	s_mov_b64 s[8:9], 0
	s_and_b64 vcc, exec, s[6:7]
	s_mov_b64 s[6:7], 0
	s_cbranch_vccz .LBB23_650
; %bb.639:
	v_bfe_u32 v1, v24, 16, 1
	s_movk_i32 s0, 0x7fff
	v_add3_u32 v1, v24, v1, s0
	v_lshrrev_b32_e32 v1, 16, v1
	v_mov_b32_e32 v3, 0x7fc0
	v_cmp_o_f32_e32 vcc, v24, v24
	s_mov_b64 s[0:1], 0
	s_mov_b64 s[6:7], -1
	v_cndmask_b32_e32 v1, v3, v1, vcc
	global_store_dword v[4:5], v1, off
	s_branch .LBB23_650
.LBB23_640:
	s_mov_b64 s[6:7], 0
	s_cbranch_execnz .LBB23_721
.LBB23_641:
	s_andn2_b64 vcc, exec, s[6:7]
	s_cbranch_vccz .LBB23_759
	s_branch .LBB23_962
.LBB23_642:
	s_mov_b64 s[0:1], 0
	s_branch .LBB23_660
.LBB23_643:
	s_or_saveexec_b64 s[8:9], s[8:9]
                                        ; implicit-def: $sgpr10
	s_xor_b64 exec, exec, s[8:9]
	s_cbranch_execz .LBB23_545
.LBB23_644:
	s_mov_b32 s10, 0x46000000
	v_add_f32_e64 v1, |v26|, s10
	v_and_b32_e32 v1, 0xff, v1
	v_cmp_ne_u32_e32 vcc, 0, v1
	s_andn2_b64 s[6:7], s[6:7], exec
	s_and_b64 s[12:13], vcc, exec
	s_mov_b32 s10, 0
	s_or_b64 s[6:7], s[6:7], s[12:13]
	s_or_b64 exec, exec, s[8:9]
	v_mov_b32_e32 v3, s10
	s_and_saveexec_b64 s[8:9], s[6:7]
	s_cbranch_execnz .LBB23_546
	s_branch .LBB23_547
.LBB23_645:
	s_mov_b64 s[0:1], 0
	s_branch .LBB23_656
.LBB23_646:
	s_or_b64 s[2:3], s[38:39], exec
	s_trap 2
	s_cbranch_execz .LBB23_593
	s_branch .LBB23_594
.LBB23_647:
	s_or_saveexec_b64 s[6:7], s[6:7]
                                        ; implicit-def: $sgpr8
	s_xor_b64 exec, exec, s[6:7]
	s_cbranch_execz .LBB23_558
.LBB23_648:
	s_mov_b32 s8, 0x42800000
	v_add_f32_e64 v1, |v26|, s8
	v_and_b32_e32 v1, 0xff, v1
	v_cmp_ne_u32_e32 vcc, 0, v1
	s_andn2_b64 s[4:5], s[4:5], exec
	s_and_b64 s[10:11], vcc, exec
	s_mov_b32 s8, 0
	s_or_b64 s[4:5], s[4:5], s[10:11]
	s_or_b64 exec, exec, s[6:7]
	v_mov_b32_e32 v3, s8
	s_and_saveexec_b64 s[6:7], s[4:5]
	s_cbranch_execnz .LBB23_559
	s_branch .LBB23_560
.LBB23_649:
	s_mov_b64 s[0:1], 0
.LBB23_650:
	s_and_b64 vcc, exec, s[8:9]
	s_cbranch_vccz .LBB23_655
; %bb.651:
	v_mov_b32_e32 v1, 44
	v_cmp_eq_u16_sdwa s[8:9], v28, v1 src0_sel:BYTE_0 src1_sel:DWORD
	s_mov_b64 s[0:1], -1
	s_and_b64 vcc, exec, s[8:9]
	s_cbranch_vccz .LBB23_655
; %bb.652:
	v_bfe_u32 v1, v24, 23, 8
	s_movk_i32 s0, 0xff
	v_cmp_ne_u32_e32 vcc, s0, v1
	v_mov_b32_e32 v3, 0xff
	s_and_saveexec_b64 s[6:7], vcc
; %bb.653:
	s_mov_b32 s0, 0x3fffff
	v_and_b32_e32 v6, 0x400000, v24
	v_and_or_b32 v1, v24, s0, v1
	v_cmp_ne_u32_e32 vcc, 0, v6
	v_cmp_ne_u32_e64 s[0:1], 0, v1
	s_and_b64 s[0:1], vcc, s[0:1]
	v_lshrrev_b32_e32 v3, 23, v24
	v_cndmask_b32_e64 v1, 0, 1, s[0:1]
	v_add_u32_e32 v3, v3, v1
; %bb.654:
	s_or_b64 exec, exec, s[6:7]
	s_mov_b64 s[0:1], 0
	s_mov_b64 s[6:7], -1
	global_store_byte v[4:5], v3, off
.LBB23_655:
	s_mov_b64 s[8:9], 0
.LBB23_656:
	s_and_b64 vcc, exec, s[8:9]
	s_cbranch_vccz .LBB23_659
; %bb.657:
	v_mov_b32_e32 v1, 29
	v_cmp_eq_u16_sdwa s[8:9], v28, v1 src0_sel:BYTE_0 src1_sel:DWORD
	s_mov_b64 s[0:1], -1
	s_and_b64 vcc, exec, s[8:9]
	s_cbranch_vccz .LBB23_659
; %bb.658:
	v_trunc_f32_e32 v1, v24
	v_mul_f32_e32 v3, 0x2f800000, v1
	v_floor_f32_e32 v3, v3
	v_fmamk_f32 v1, v3, 0xcf800000, v1
	v_cvt_u32_f32_e32 v7, v3
	v_cvt_u32_f32_e32 v6, v1
	s_mov_b64 s[0:1], 0
	s_mov_b64 s[6:7], -1
	s_mov_b64 s[8:9], 0
	global_store_dwordx2 v[4:5], v[6:7], off
	s_branch .LBB23_660
.LBB23_659:
	s_mov_b64 s[8:9], 0
.LBB23_660:
	s_and_b64 vcc, exec, s[8:9]
	s_cbranch_vccz .LBB23_676
; %bb.661:
	v_mov_b32_e32 v1, 27
	v_cmp_lt_i16_sdwa s[8:9], v28, v1 src0_sel:BYTE_0 src1_sel:DWORD
	s_mov_b64 s[6:7], -1
	s_and_b64 vcc, exec, s[8:9]
	s_cbranch_vccnz .LBB23_667
; %bb.662:
	v_cmp_gt_i16_sdwa s[8:9], v28, v1 src0_sel:BYTE_0 src1_sel:DWORD
	v_cvt_u32_f32_e32 v1, v24
	s_and_b64 vcc, exec, s[8:9]
	s_cbranch_vccz .LBB23_664
; %bb.663:
	s_mov_b64 s[6:7], 0
	global_store_dword v[4:5], v1, off
.LBB23_664:
	s_andn2_b64 vcc, exec, s[6:7]
	s_cbranch_vccnz .LBB23_666
; %bb.665:
	global_store_short v[4:5], v1, off
.LBB23_666:
	s_mov_b64 s[6:7], 0
.LBB23_667:
	s_andn2_b64 vcc, exec, s[6:7]
	s_cbranch_vccnz .LBB23_675
; %bb.668:
	v_and_b32_e32 v1, 0x7fffffff, v24
	s_mov_b32 s6, 0x43800000
	v_cmp_gt_u32_e32 vcc, s6, v1
	v_mov_b32_e32 v3, 0x80
	s_and_saveexec_b64 s[6:7], vcc
	s_cbranch_execz .LBB23_674
; %bb.669:
	s_mov_b32 s8, 0x3bffffff
	v_cmp_lt_u32_e32 vcc, s8, v1
	s_mov_b64 s[8:9], 0
                                        ; implicit-def: $vgpr1
	s_and_saveexec_b64 s[10:11], vcc
	s_xor_b64 s[10:11], exec, s[10:11]
	s_cbranch_execz .LBB23_846
; %bb.670:
	v_bfe_u32 v1, v24, 20, 1
	s_mov_b32 s13, 0x487ffff
	v_add3_u32 v1, v24, v1, s13
	s_mov_b64 s[8:9], exec
	v_lshrrev_b32_e32 v1, 20, v1
	s_or_saveexec_b64 s[10:11], s[10:11]
                                        ; implicit-def: $sgpr13
	s_xor_b64 exec, exec, s[10:11]
	s_cbranch_execnz .LBB23_847
.LBB23_671:
	s_or_b64 exec, exec, s[10:11]
	v_mov_b32_e32 v3, s13
	s_and_saveexec_b64 s[10:11], s[8:9]
.LBB23_672:
	v_lshrrev_b32_e32 v3, 24, v24
	s_movk_i32 s8, 0x80
	v_and_or_b32 v3, v3, s8, v1
.LBB23_673:
	s_or_b64 exec, exec, s[10:11]
.LBB23_674:
	s_or_b64 exec, exec, s[6:7]
	global_store_byte v[4:5], v3, off
.LBB23_675:
	s_mov_b64 s[6:7], -1
.LBB23_676:
	s_mov_b64 s[8:9], 0
.LBB23_677:
	s_and_b64 vcc, exec, s[8:9]
	s_cbranch_vccz .LBB23_717
; %bb.678:
	v_mov_b32_e32 v1, 22
	v_cmp_gt_i16_sdwa s[8:9], v28, v1 src0_sel:BYTE_0 src1_sel:DWORD
	s_mov_b64 s[4:5], -1
	s_and_b64 vcc, exec, s[8:9]
	s_cbranch_vccz .LBB23_710
; %bb.679:
	v_mov_b32_e32 v1, 24
	v_cmp_lt_i16_sdwa s[6:7], v28, v1 src0_sel:BYTE_0 src1_sel:DWORD
	s_and_b64 vcc, exec, s[6:7]
	s_cbranch_vccnz .LBB23_699
; %bb.680:
	v_cmp_gt_i16_sdwa s[6:7], v28, v1 src0_sel:BYTE_0 src1_sel:DWORD
	s_and_b64 vcc, exec, s[6:7]
	s_cbranch_vccz .LBB23_688
; %bb.681:
	v_and_b32_e32 v1, 0x7fffffff, v24
	s_mov_b32 s4, 0x47800000
	v_cmp_gt_u32_e32 vcc, s4, v1
	v_mov_b32_e32 v3, 0x80
	s_and_saveexec_b64 s[4:5], vcc
	s_cbranch_execz .LBB23_687
; %bb.682:
	s_mov_b32 s6, 0x37ffffff
	v_cmp_lt_u32_e32 vcc, s6, v1
	s_mov_b64 s[6:7], 0
                                        ; implicit-def: $vgpr1
	s_and_saveexec_b64 s[8:9], vcc
	s_xor_b64 s[8:9], exec, s[8:9]
	s_cbranch_execz .LBB23_850
; %bb.683:
	v_bfe_u32 v1, v24, 21, 1
	s_mov_b32 s10, 0x88fffff
	v_add3_u32 v1, v24, v1, s10
	s_mov_b64 s[6:7], exec
	v_lshrrev_b32_e32 v1, 21, v1
	s_or_saveexec_b64 s[8:9], s[8:9]
                                        ; implicit-def: $sgpr10
	s_xor_b64 exec, exec, s[8:9]
	s_cbranch_execnz .LBB23_851
.LBB23_684:
	s_or_b64 exec, exec, s[8:9]
	v_mov_b32_e32 v3, s10
	s_and_saveexec_b64 s[8:9], s[6:7]
.LBB23_685:
	v_lshrrev_b32_e32 v3, 24, v24
	s_movk_i32 s6, 0x80
	v_and_or_b32 v3, v3, s6, v1
.LBB23_686:
	s_or_b64 exec, exec, s[8:9]
.LBB23_687:
	s_or_b64 exec, exec, s[4:5]
	s_mov_b64 s[4:5], 0
	global_store_byte v[4:5], v3, off
.LBB23_688:
	s_and_b64 vcc, exec, s[4:5]
	s_cbranch_vccz .LBB23_698
; %bb.689:
	v_and_b32_e32 v3, 0x7fffffff, v24
	s_mov_b32 s4, 0x43f00000
	v_cmp_gt_u32_e32 vcc, s4, v3
                                        ; implicit-def: $vgpr1
	s_and_saveexec_b64 s[4:5], vcc
	s_xor_b64 s[4:5], exec, s[4:5]
	s_cbranch_execz .LBB23_695
; %bb.690:
	s_mov_b32 s6, 0x3c7fffff
	v_cmp_lt_u32_e32 vcc, s6, v3
                                        ; implicit-def: $vgpr1
	s_and_saveexec_b64 s[6:7], vcc
	s_xor_b64 s[6:7], exec, s[6:7]
; %bb.691:
	v_bfe_u32 v1, v24, 20, 1
	s_mov_b32 s8, 0x407ffff
	v_add3_u32 v1, v24, v1, s8
	v_lshrrev_b32_e32 v3, 20, v1
	v_and_b32_e32 v1, 0xff00000, v1
	s_mov_b32 s8, 0x7f00000
	v_mov_b32_e32 v6, 0x7e
	v_cmp_ne_u32_e32 vcc, s8, v1
	s_nop 1
	v_cndmask_b32_e32 v1, v6, v3, vcc
; %bb.692:
	s_andn2_saveexec_b64 s[6:7], s[6:7]
; %bb.693:
	s_mov_b32 s8, 0x46800000
	v_add_f32_e64 v1, |v24|, s8
; %bb.694:
	s_or_b64 exec, exec, s[6:7]
                                        ; implicit-def: $vgpr3
.LBB23_695:
	s_andn2_saveexec_b64 s[4:5], s[4:5]
; %bb.696:
	s_mov_b32 s6, 0x7f800000
	v_mov_b32_e32 v1, 0x7e
	v_mov_b32_e32 v6, 0x7f
	v_cmp_lt_u32_e32 vcc, s6, v3
	s_nop 1
	v_cndmask_b32_e32 v1, v1, v6, vcc
; %bb.697:
	s_or_b64 exec, exec, s[4:5]
	v_lshrrev_b32_e32 v3, 24, v24
	s_movk_i32 s4, 0x80
	v_and_or_b32 v1, v3, s4, v1
	global_store_byte v[4:5], v1, off
.LBB23_698:
	s_mov_b64 s[4:5], 0
.LBB23_699:
	s_andn2_b64 vcc, exec, s[4:5]
	s_cbranch_vccnz .LBB23_709
; %bb.700:
	v_and_b32_e32 v3, 0x7fffffff, v24
	s_mov_b32 s4, 0x47800000
	v_cmp_gt_u32_e32 vcc, s4, v3
                                        ; implicit-def: $vgpr1
	s_and_saveexec_b64 s[4:5], vcc
	s_xor_b64 s[4:5], exec, s[4:5]
	s_cbranch_execz .LBB23_706
; %bb.701:
	s_mov_b32 s6, 0x387fffff
	v_cmp_lt_u32_e32 vcc, s6, v3
                                        ; implicit-def: $vgpr1
	s_and_saveexec_b64 s[6:7], vcc
	s_xor_b64 s[6:7], exec, s[6:7]
; %bb.702:
	v_bfe_u32 v1, v24, 21, 1
	s_mov_b32 s8, 0x80fffff
	v_add3_u32 v1, v24, v1, s8
	v_lshrrev_b32_e32 v1, 21, v1
; %bb.703:
	s_andn2_saveexec_b64 s[6:7], s[6:7]
; %bb.704:
	s_mov_b32 s8, 0x43000000
	v_add_f32_e64 v1, |v24|, s8
; %bb.705:
	s_or_b64 exec, exec, s[6:7]
                                        ; implicit-def: $vgpr3
.LBB23_706:
	s_andn2_saveexec_b64 s[4:5], s[4:5]
; %bb.707:
	s_mov_b32 s6, 0x7f800000
	v_mov_b32_e32 v1, 0x7c
	v_mov_b32_e32 v6, 0x7f
	v_cmp_lt_u32_e32 vcc, s6, v3
	s_nop 1
	v_cndmask_b32_e32 v1, v1, v6, vcc
; %bb.708:
	s_or_b64 exec, exec, s[4:5]
	v_lshrrev_b32_e32 v3, 24, v24
	s_movk_i32 s4, 0x80
	v_and_or_b32 v1, v3, s4, v1
	global_store_byte v[4:5], v1, off
.LBB23_709:
	s_mov_b64 s[4:5], 0
	s_mov_b64 s[6:7], -1
.LBB23_710:
	s_andn2_b64 vcc, exec, s[4:5]
	s_mov_b64 s[4:5], 0
	s_cbranch_vccnz .LBB23_717
; %bb.711:
	v_mov_b32_e32 v1, 14
	v_cmp_gt_i16_sdwa s[4:5], v28, v1 src0_sel:BYTE_0 src1_sel:DWORD
	s_mov_b64 s[8:9], -1
	s_and_b64 vcc, exec, s[4:5]
	s_cbranch_vccz .LBB23_715
; %bb.712:
	v_mov_b32_e32 v1, 15
	v_cmp_eq_u16_sdwa s[4:5], v28, v1 src0_sel:BYTE_0 src1_sel:DWORD
	s_mov_b64 s[0:1], -1
	s_and_b64 vcc, exec, s[4:5]
	s_cbranch_vccz .LBB23_714
; %bb.713:
	v_bfe_u32 v1, v24, 16, 1
	s_movk_i32 s0, 0x7fff
	v_add3_u32 v1, v24, v1, s0
	v_lshrrev_b32_e32 v1, 16, v1
	v_mov_b32_e32 v3, 0x7fc0
	v_cmp_o_f32_e32 vcc, v24, v24
	s_mov_b64 s[0:1], 0
	s_mov_b64 s[6:7], -1
	v_cndmask_b32_e32 v1, v3, v1, vcc
	global_store_short v[4:5], v1, off
.LBB23_714:
	s_mov_b64 s[8:9], 0
.LBB23_715:
	s_mov_b64 s[4:5], 0
	s_and_b64 vcc, exec, s[8:9]
	s_cbranch_vccz .LBB23_717
; %bb.716:
	v_mov_b32_e32 v1, 11
	v_cmp_ne_u16_sdwa s[0:1], v28, v1 src0_sel:BYTE_0 src1_sel:DWORD
	s_mov_b64 s[4:5], -1
.LBB23_717:
	s_and_b64 vcc, exec, s[0:1]
	s_cbranch_vccnz .LBB23_849
; %bb.718:
	s_andn2_b64 vcc, exec, s[4:5]
	s_cbranch_vccnz .LBB23_720
.LBB23_719:
	v_cmp_neq_f32_e32 vcc, 0, v24
	s_mov_b64 s[6:7], -1
	s_nop 0
	v_cndmask_b32_e64 v1, 0, 1, vcc
	global_store_byte v[4:5], v1, off
.LBB23_720:
	s_branch .LBB23_641
.LBB23_721:
	v_mov_b32_e32 v1, 5
	v_cmp_lt_i16_sdwa s[4:5], v28, v1 src0_sel:BYTE_0 src1_sel:DWORD
	s_mov_b64 s[0:1], -1
	s_and_b64 vcc, exec, s[4:5]
	s_cbranch_vccnz .LBB23_742
; %bb.722:
	v_mov_b32_e32 v1, 8
	v_cmp_lt_i16_sdwa s[4:5], v28, v1 src0_sel:BYTE_0 src1_sel:DWORD
	s_and_b64 vcc, exec, s[4:5]
	s_cbranch_vccnz .LBB23_732
; %bb.723:
	v_mov_b32_e32 v1, 9
	v_cmp_lt_i16_sdwa s[4:5], v28, v1 src0_sel:BYTE_0 src1_sel:DWORD
	s_and_b64 vcc, exec, s[4:5]
	s_cbranch_vccnz .LBB23_729
; %bb.724:
	v_cmp_gt_i16_sdwa s[4:5], v28, v1 src0_sel:BYTE_0 src1_sel:DWORD
	s_and_b64 vcc, exec, s[4:5]
	s_cbranch_vccz .LBB23_726
; %bb.725:
	v_mov_b32_e32 v8, 0
	v_cvt_f64_f32_e32 v[6:7], v24
	v_mov_b32_e32 v9, v8
	global_store_dwordx4 v[4:5], v[6:9], off
	s_mov_b64 s[0:1], 0
.LBB23_726:
	s_andn2_b64 vcc, exec, s[0:1]
	s_cbranch_vccnz .LBB23_728
; %bb.727:
	v_mov_b32_e32 v25, 0
	global_store_dwordx2 v[4:5], v[24:25], off
.LBB23_728:
	s_mov_b64 s[0:1], 0
.LBB23_729:
	s_andn2_b64 vcc, exec, s[0:1]
	s_cbranch_vccnz .LBB23_731
; %bb.730:
	v_cvt_f16_f32_e32 v1, v24
	global_store_dword v[4:5], v1, off
.LBB23_731:
	s_mov_b64 s[0:1], 0
.LBB23_732:
	s_andn2_b64 vcc, exec, s[0:1]
	s_cbranch_vccnz .LBB23_741
; %bb.733:
	v_mov_b32_e32 v1, 6
	v_cmp_lt_i16_sdwa s[4:5], v28, v1 src0_sel:BYTE_0 src1_sel:DWORD
	s_mov_b64 s[0:1], -1
	s_and_b64 vcc, exec, s[4:5]
	s_cbranch_vccnz .LBB23_739
; %bb.734:
	v_cmp_gt_i16_sdwa s[4:5], v28, v1 src0_sel:BYTE_0 src1_sel:DWORD
	s_and_b64 vcc, exec, s[4:5]
	s_cbranch_vccz .LBB23_736
; %bb.735:
	v_cvt_f64_f32_e32 v[6:7], v24
	global_store_dwordx2 v[4:5], v[6:7], off
	s_mov_b64 s[0:1], 0
.LBB23_736:
	s_andn2_b64 vcc, exec, s[0:1]
	s_cbranch_vccnz .LBB23_738
; %bb.737:
	global_store_dword v[4:5], v24, off
.LBB23_738:
	s_mov_b64 s[0:1], 0
.LBB23_739:
	s_andn2_b64 vcc, exec, s[0:1]
	s_cbranch_vccnz .LBB23_741
; %bb.740:
	v_cvt_f16_f32_e32 v1, v24
	global_store_short v[4:5], v1, off
.LBB23_741:
	s_mov_b64 s[0:1], 0
.LBB23_742:
	s_andn2_b64 vcc, exec, s[0:1]
	s_cbranch_vccnz .LBB23_758
; %bb.743:
	v_mov_b32_e32 v1, 2
	v_cmp_lt_i16_sdwa s[4:5], v28, v1 src0_sel:BYTE_0 src1_sel:DWORD
	s_mov_b64 s[0:1], -1
	s_and_b64 vcc, exec, s[4:5]
	s_cbranch_vccnz .LBB23_753
; %bb.744:
	v_mov_b32_e32 v1, 3
	v_cmp_lt_i16_sdwa s[4:5], v28, v1 src0_sel:BYTE_0 src1_sel:DWORD
	s_and_b64 vcc, exec, s[4:5]
	s_cbranch_vccnz .LBB23_750
; %bb.745:
	v_cmp_gt_i16_sdwa s[4:5], v28, v1 src0_sel:BYTE_0 src1_sel:DWORD
	s_and_b64 vcc, exec, s[4:5]
	s_cbranch_vccz .LBB23_747
; %bb.746:
	v_trunc_f32_e32 v1, v24
	s_mov_b32 s0, 0x2f800000
	v_mul_f32_e64 v3, |v1|, s0
	v_floor_f32_e32 v3, v3
	s_mov_b32 s0, 0xcf800000
	v_cvt_u32_f32_e32 v6, v3
	v_fma_f32 v3, v3, s0, |v1|
	v_cvt_u32_f32_e32 v3, v3
	v_ashrrev_i32_e32 v1, 31, v1
	v_xor_b32_e32 v7, v6, v1
	s_mov_b64 s[0:1], 0
	v_xor_b32_e32 v3, v3, v1
	v_sub_co_u32_e32 v6, vcc, v3, v1
	s_nop 1
	v_subb_co_u32_e32 v7, vcc, v7, v1, vcc
	global_store_dwordx2 v[4:5], v[6:7], off
.LBB23_747:
	s_andn2_b64 vcc, exec, s[0:1]
	s_cbranch_vccnz .LBB23_749
; %bb.748:
	v_cvt_i32_f32_e32 v1, v24
	global_store_dword v[4:5], v1, off
.LBB23_749:
	s_mov_b64 s[0:1], 0
.LBB23_750:
	s_andn2_b64 vcc, exec, s[0:1]
	s_cbranch_vccnz .LBB23_752
; %bb.751:
	v_cvt_i32_f32_e32 v1, v24
	global_store_short v[4:5], v1, off
.LBB23_752:
	s_mov_b64 s[0:1], 0
.LBB23_753:
	s_andn2_b64 vcc, exec, s[0:1]
	s_cbranch_vccnz .LBB23_758
; %bb.754:
	v_mov_b32_e32 v1, 0
	v_cmp_gt_i16_sdwa s[4:5], v28, v1 src0_sel:BYTE_0 src1_sel:DWORD
	s_mov_b64 s[0:1], -1
	s_and_b64 vcc, exec, s[4:5]
	s_cbranch_vccz .LBB23_756
; %bb.755:
	v_cvt_i32_f32_e32 v1, v24
	s_mov_b64 s[0:1], 0
	global_store_byte v[4:5], v1, off
.LBB23_756:
	s_andn2_b64 vcc, exec, s[0:1]
	s_cbranch_vccnz .LBB23_758
; %bb.757:
	v_trunc_f32_e32 v1, v24
	s_mov_b32 s0, 0x2f800000
	v_mul_f32_e64 v3, |v1|, s0
	v_floor_f32_e32 v3, v3
	s_mov_b32 s0, 0xcf800000
	v_fma_f32 v3, v3, s0, |v1|
	v_cvt_u32_f32_e32 v3, v3
	v_ashrrev_i32_e32 v1, 31, v1
	v_xor_b32_e32 v3, v3, v1
	v_sub_u32_e32 v1, v3, v1
	global_store_byte v[4:5], v1, off
.LBB23_758:
.LBB23_759:
	v_add_u32_e32 v2, s12, v2
	v_mov_b32_e32 v1, 11
	v_ashrrev_i32_e32 v3, 31, v2
	v_cmp_lt_i16_sdwa s[0:1], v28, v1 src0_sel:BYTE_0 src1_sel:DWORD
	v_lshl_add_u64 v[4:5], s[24:25], 0, v[2:3]
	s_and_b64 vcc, exec, s[0:1]
	s_cbranch_vccnz .LBB23_766
; %bb.760:
	v_mov_b32_e32 v1, 25
	v_cmp_gt_i16_sdwa s[0:1], v28, v1 src0_sel:BYTE_0 src1_sel:DWORD
	s_mov_b64 s[8:9], -1
	s_mov_b64 s[4:5], 0
	s_and_b64 vcc, exec, s[0:1]
	s_mov_b64 s[6:7], 0
	s_mov_b64 s[0:1], 0
	s_cbranch_vccz .LBB23_880
; %bb.761:
	v_mov_b32_e32 v1, 28
	v_cmp_gt_i16_sdwa s[0:1], v28, v1 src0_sel:BYTE_0 src1_sel:DWORD
	s_and_b64 vcc, exec, s[0:1]
	s_cbranch_vccz .LBB23_845
; %bb.762:
	v_mov_b32_e32 v1, 43
	v_cmp_gt_i16_sdwa s[0:1], v28, v1 src0_sel:BYTE_0 src1_sel:DWORD
	s_and_b64 vcc, exec, s[0:1]
	;; [unrolled: 5-line block ×3, first 2 shown]
	s_cbranch_vccz .LBB23_852
; %bb.764:
	v_mov_b32_e32 v1, 46
	v_cmp_eq_u16_sdwa s[6:7], v28, v1 src0_sel:BYTE_0 src1_sel:DWORD
	s_mov_b64 s[0:1], -1
	s_mov_b64 s[8:9], 0
	s_and_b64 vcc, exec, s[6:7]
	s_mov_b64 s[6:7], 0
	s_cbranch_vccz .LBB23_853
; %bb.765:
	v_bfe_u32 v1, v22, 16, 1
	s_movk_i32 s0, 0x7fff
	v_add3_u32 v1, v22, v1, s0
	v_lshrrev_b32_e32 v1, 16, v1
	v_mov_b32_e32 v3, 0x7fc0
	v_cmp_o_f32_e32 vcc, v22, v22
	s_mov_b64 s[0:1], 0
	s_mov_b64 s[6:7], -1
	v_cndmask_b32_e32 v1, v3, v1, vcc
	global_store_dword v[4:5], v1, off
	s_branch .LBB23_853
.LBB23_766:
	s_mov_b64 s[6:7], 0
	s_cbranch_execnz .LBB23_924
.LBB23_767:
	s_andn2_b64 vcc, exec, s[6:7]
	s_cbranch_vccnz .LBB23_962
.LBB23_768:
	v_add_u32_e32 v2, s12, v2
	v_and_b32_e32 v4, 0xff, v28
	v_ashrrev_i32_e32 v3, 31, v2
	v_cmp_gt_i16_e32 vcc, 11, v4
	v_lshl_add_u64 v[2:3], s[24:25], 0, v[2:3]
	s_cbranch_vccnz .LBB23_844
; %bb.769:
	v_cmp_lt_i16_e32 vcc, 25, v4
	s_mov_b64 s[6:7], -1
	s_mov_b64 s[4:5], 0
	s_mov_b64 s[0:1], 0
	s_cbranch_vccz .LBB23_802
; %bb.770:
	v_cmp_lt_i16_e32 vcc, 28, v4
	s_cbranch_vccz .LBB23_786
; %bb.771:
	v_cmp_lt_i16_e32 vcc, 43, v4
	;; [unrolled: 3-line block ×3, first 2 shown]
	s_cbranch_vccz .LBB23_776
; %bb.773:
	v_cmp_eq_u16_e32 vcc, 46, v4
	s_mov_b64 s[0:1], -1
	s_cbranch_vccz .LBB23_775
; %bb.774:
	v_bfe_u32 v1, v0, 16, 1
	s_movk_i32 s0, 0x7fff
	v_add3_u32 v1, v0, v1, s0
	v_lshrrev_b32_e32 v1, 16, v1
	v_mov_b32_e32 v5, 0x7fc0
	v_cmp_o_f32_e32 vcc, v0, v0
	s_mov_b64 s[0:1], 0
	s_nop 0
	v_cndmask_b32_e32 v1, v5, v1, vcc
	global_store_dword v[2:3], v1, off
.LBB23_775:
	s_mov_b64 s[6:7], 0
.LBB23_776:
	s_and_b64 vcc, exec, s[6:7]
	s_cbranch_vccz .LBB23_781
; %bb.777:
	v_cmp_eq_u16_e32 vcc, 44, v4
	s_mov_b64 s[0:1], -1
	s_cbranch_vccz .LBB23_781
; %bb.778:
	v_bfe_u32 v1, v0, 23, 8
	s_movk_i32 s0, 0xff
	v_cmp_ne_u32_e32 vcc, s0, v1
	v_mov_b32_e32 v5, 0xff
	s_and_saveexec_b64 s[6:7], vcc
; %bb.779:
	s_mov_b32 s0, 0x3fffff
	v_and_b32_e32 v6, 0x400000, v0
	v_and_or_b32 v1, v0, s0, v1
	v_cmp_ne_u32_e32 vcc, 0, v6
	v_cmp_ne_u32_e64 s[0:1], 0, v1
	s_and_b64 s[0:1], vcc, s[0:1]
	v_lshrrev_b32_e32 v5, 23, v0
	v_cndmask_b32_e64 v1, 0, 1, s[0:1]
	v_add_u32_e32 v5, v5, v1
; %bb.780:
	s_or_b64 exec, exec, s[6:7]
	s_mov_b64 s[0:1], 0
	global_store_byte v[2:3], v5, off
.LBB23_781:
	s_mov_b64 s[6:7], 0
.LBB23_782:
	s_and_b64 vcc, exec, s[6:7]
	s_cbranch_vccz .LBB23_785
; %bb.783:
	v_cmp_eq_u16_e32 vcc, 29, v4
	s_mov_b64 s[0:1], -1
	s_cbranch_vccz .LBB23_785
; %bb.784:
	v_trunc_f32_e32 v1, v0
	v_mul_f32_e32 v5, 0x2f800000, v1
	v_floor_f32_e32 v5, v5
	v_fmamk_f32 v1, v5, 0xcf800000, v1
	v_cvt_u32_f32_e32 v7, v5
	v_cvt_u32_f32_e32 v6, v1
	s_mov_b64 s[0:1], 0
	global_store_dwordx2 v[2:3], v[6:7], off
.LBB23_785:
	s_mov_b64 s[6:7], 0
.LBB23_786:
	s_and_b64 vcc, exec, s[6:7]
	s_cbranch_vccz .LBB23_801
; %bb.787:
	v_cmp_gt_i16_e32 vcc, 27, v4
	s_mov_b64 s[6:7], -1
	s_cbranch_vccnz .LBB23_793
; %bb.788:
	v_cvt_u32_f32_e32 v1, v0
	v_cmp_lt_i16_e32 vcc, 27, v4
	s_cbranch_vccz .LBB23_790
; %bb.789:
	global_store_dword v[2:3], v1, off
	s_mov_b64 s[6:7], 0
.LBB23_790:
	s_andn2_b64 vcc, exec, s[6:7]
	s_cbranch_vccnz .LBB23_792
; %bb.791:
	global_store_short v[2:3], v1, off
.LBB23_792:
	s_mov_b64 s[6:7], 0
.LBB23_793:
	s_andn2_b64 vcc, exec, s[6:7]
	s_cbranch_vccnz .LBB23_801
; %bb.794:
	v_and_b32_e32 v1, 0x7fffffff, v0
	s_mov_b32 s6, 0x43800000
	v_cmp_gt_u32_e32 vcc, s6, v1
	v_mov_b32_e32 v5, 0x80
	s_and_saveexec_b64 s[6:7], vcc
	s_cbranch_execz .LBB23_800
; %bb.795:
	s_mov_b32 s8, 0x3bffffff
	v_cmp_lt_u32_e32 vcc, s8, v1
	s_mov_b64 s[8:9], 0
                                        ; implicit-def: $vgpr1
	s_and_saveexec_b64 s[10:11], vcc
	s_xor_b64 s[10:11], exec, s[10:11]
	s_cbranch_execz .LBB23_1010
; %bb.796:
	v_bfe_u32 v1, v0, 20, 1
	s_mov_b32 s12, 0x487ffff
	v_add3_u32 v1, v0, v1, s12
	s_mov_b64 s[8:9], exec
	v_lshrrev_b32_e32 v1, 20, v1
	s_or_saveexec_b64 s[10:11], s[10:11]
                                        ; implicit-def: $sgpr12
	s_xor_b64 exec, exec, s[10:11]
	s_cbranch_execnz .LBB23_1011
.LBB23_797:
	s_or_b64 exec, exec, s[10:11]
	v_mov_b32_e32 v5, s12
	s_and_saveexec_b64 s[10:11], s[8:9]
.LBB23_798:
	v_lshrrev_b32_e32 v5, 24, v0
	s_movk_i32 s8, 0x80
	v_and_or_b32 v5, v5, s8, v1
.LBB23_799:
	s_or_b64 exec, exec, s[10:11]
.LBB23_800:
	s_or_b64 exec, exec, s[6:7]
	global_store_byte v[2:3], v5, off
.LBB23_801:
	s_mov_b64 s[6:7], 0
.LBB23_802:
	s_and_b64 vcc, exec, s[6:7]
	s_cbranch_vccz .LBB23_842
; %bb.803:
	v_cmp_lt_i16_e32 vcc, 22, v4
	s_mov_b64 s[4:5], -1
	s_cbranch_vccz .LBB23_835
; %bb.804:
	v_cmp_gt_i16_e32 vcc, 24, v4
	s_cbranch_vccnz .LBB23_824
; %bb.805:
	v_cmp_lt_i16_e32 vcc, 24, v4
	s_cbranch_vccz .LBB23_813
; %bb.806:
	v_and_b32_e32 v1, 0x7fffffff, v0
	s_mov_b32 s4, 0x47800000
	v_cmp_gt_u32_e32 vcc, s4, v1
	v_mov_b32_e32 v5, 0x80
	s_and_saveexec_b64 s[4:5], vcc
	s_cbranch_execz .LBB23_812
; %bb.807:
	s_mov_b32 s6, 0x37ffffff
	v_cmp_lt_u32_e32 vcc, s6, v1
	s_mov_b64 s[6:7], 0
                                        ; implicit-def: $vgpr1
	s_and_saveexec_b64 s[8:9], vcc
	s_xor_b64 s[8:9], exec, s[8:9]
	s_cbranch_execz .LBB23_1017
; %bb.808:
	v_bfe_u32 v1, v0, 21, 1
	s_mov_b32 s10, 0x88fffff
	v_add3_u32 v1, v0, v1, s10
	s_mov_b64 s[6:7], exec
	v_lshrrev_b32_e32 v1, 21, v1
	s_or_saveexec_b64 s[8:9], s[8:9]
                                        ; implicit-def: $sgpr10
	s_xor_b64 exec, exec, s[8:9]
	s_cbranch_execnz .LBB23_1018
.LBB23_809:
	s_or_b64 exec, exec, s[8:9]
	v_mov_b32_e32 v5, s10
	s_and_saveexec_b64 s[8:9], s[6:7]
.LBB23_810:
	v_lshrrev_b32_e32 v5, 24, v0
	s_movk_i32 s6, 0x80
	v_and_or_b32 v5, v5, s6, v1
.LBB23_811:
	s_or_b64 exec, exec, s[8:9]
.LBB23_812:
	s_or_b64 exec, exec, s[4:5]
	s_mov_b64 s[4:5], 0
	global_store_byte v[2:3], v5, off
.LBB23_813:
	s_and_b64 vcc, exec, s[4:5]
	s_cbranch_vccz .LBB23_823
; %bb.814:
	v_and_b32_e32 v5, 0x7fffffff, v0
	s_mov_b32 s4, 0x43f00000
	v_cmp_gt_u32_e32 vcc, s4, v5
                                        ; implicit-def: $vgpr1
	s_and_saveexec_b64 s[4:5], vcc
	s_xor_b64 s[4:5], exec, s[4:5]
	s_cbranch_execz .LBB23_820
; %bb.815:
	s_mov_b32 s6, 0x3c7fffff
	v_cmp_lt_u32_e32 vcc, s6, v5
                                        ; implicit-def: $vgpr1
	s_and_saveexec_b64 s[6:7], vcc
	s_xor_b64 s[6:7], exec, s[6:7]
; %bb.816:
	v_bfe_u32 v1, v0, 20, 1
	s_mov_b32 s8, 0x407ffff
	v_add3_u32 v1, v0, v1, s8
	v_lshrrev_b32_e32 v5, 20, v1
	v_and_b32_e32 v1, 0xff00000, v1
	s_mov_b32 s8, 0x7f00000
	v_mov_b32_e32 v6, 0x7e
	v_cmp_ne_u32_e32 vcc, s8, v1
	s_nop 1
	v_cndmask_b32_e32 v1, v6, v5, vcc
; %bb.817:
	s_andn2_saveexec_b64 s[6:7], s[6:7]
; %bb.818:
	s_mov_b32 s8, 0x46800000
	v_add_f32_e64 v1, |v0|, s8
; %bb.819:
	s_or_b64 exec, exec, s[6:7]
                                        ; implicit-def: $vgpr5
.LBB23_820:
	s_andn2_saveexec_b64 s[4:5], s[4:5]
; %bb.821:
	s_mov_b32 s6, 0x7f800000
	v_mov_b32_e32 v1, 0x7e
	v_mov_b32_e32 v6, 0x7f
	v_cmp_lt_u32_e32 vcc, s6, v5
	s_nop 1
	v_cndmask_b32_e32 v1, v1, v6, vcc
; %bb.822:
	s_or_b64 exec, exec, s[4:5]
	v_lshrrev_b32_e32 v5, 24, v0
	s_movk_i32 s4, 0x80
	v_and_or_b32 v1, v5, s4, v1
	global_store_byte v[2:3], v1, off
.LBB23_823:
	s_mov_b64 s[4:5], 0
.LBB23_824:
	s_andn2_b64 vcc, exec, s[4:5]
	s_cbranch_vccnz .LBB23_834
; %bb.825:
	v_and_b32_e32 v5, 0x7fffffff, v0
	s_mov_b32 s4, 0x47800000
	v_cmp_gt_u32_e32 vcc, s4, v5
                                        ; implicit-def: $vgpr1
	s_and_saveexec_b64 s[4:5], vcc
	s_xor_b64 s[4:5], exec, s[4:5]
	s_cbranch_execz .LBB23_831
; %bb.826:
	s_mov_b32 s6, 0x387fffff
	v_cmp_lt_u32_e32 vcc, s6, v5
                                        ; implicit-def: $vgpr1
	s_and_saveexec_b64 s[6:7], vcc
	s_xor_b64 s[6:7], exec, s[6:7]
; %bb.827:
	v_bfe_u32 v1, v0, 21, 1
	s_mov_b32 s8, 0x80fffff
	v_add3_u32 v1, v0, v1, s8
	v_lshrrev_b32_e32 v1, 21, v1
; %bb.828:
	s_andn2_saveexec_b64 s[6:7], s[6:7]
; %bb.829:
	s_mov_b32 s8, 0x43000000
	v_add_f32_e64 v1, |v0|, s8
; %bb.830:
	s_or_b64 exec, exec, s[6:7]
                                        ; implicit-def: $vgpr5
.LBB23_831:
	s_andn2_saveexec_b64 s[4:5], s[4:5]
; %bb.832:
	s_mov_b32 s6, 0x7f800000
	v_mov_b32_e32 v1, 0x7c
	v_mov_b32_e32 v6, 0x7f
	v_cmp_lt_u32_e32 vcc, s6, v5
	s_nop 1
	v_cndmask_b32_e32 v1, v1, v6, vcc
; %bb.833:
	s_or_b64 exec, exec, s[4:5]
	v_lshrrev_b32_e32 v5, 24, v0
	s_movk_i32 s4, 0x80
	v_and_or_b32 v1, v5, s4, v1
	global_store_byte v[2:3], v1, off
.LBB23_834:
	s_mov_b64 s[4:5], 0
.LBB23_835:
	s_andn2_b64 vcc, exec, s[4:5]
	s_mov_b64 s[4:5], 0
	s_cbranch_vccnz .LBB23_842
; %bb.836:
	v_cmp_lt_i16_e32 vcc, 14, v4
	s_mov_b64 s[6:7], -1
	s_cbranch_vccz .LBB23_840
; %bb.837:
	v_cmp_eq_u16_e32 vcc, 15, v4
	s_mov_b64 s[0:1], -1
	s_cbranch_vccz .LBB23_839
; %bb.838:
	v_bfe_u32 v1, v0, 16, 1
	s_movk_i32 s0, 0x7fff
	v_add3_u32 v1, v0, v1, s0
	v_lshrrev_b32_e32 v1, 16, v1
	v_mov_b32_e32 v5, 0x7fc0
	v_cmp_o_f32_e32 vcc, v0, v0
	s_mov_b64 s[0:1], 0
	s_nop 0
	v_cndmask_b32_e32 v1, v5, v1, vcc
	global_store_short v[2:3], v1, off
.LBB23_839:
	s_mov_b64 s[6:7], 0
.LBB23_840:
	s_and_b64 vcc, exec, s[6:7]
	s_cbranch_vccz .LBB23_842
; %bb.841:
	v_cmp_ne_u16_e64 s[0:1], 11, v4
	s_mov_b64 s[4:5], -1
.LBB23_842:
	s_and_b64 vcc, exec, s[0:1]
	s_cbranch_vccnz .LBB23_1014
.LBB23_843:
	s_mov_b64 s[0:1], 0
	s_branch .LBB23_963
.LBB23_844:
	s_mov_b64 s[4:5], 0
	s_mov_b64 s[0:1], -1
	s_branch .LBB23_963
.LBB23_845:
	s_mov_b64 s[0:1], 0
	s_branch .LBB23_863
.LBB23_846:
	s_or_saveexec_b64 s[10:11], s[10:11]
                                        ; implicit-def: $sgpr13
	s_xor_b64 exec, exec, s[10:11]
	s_cbranch_execz .LBB23_671
.LBB23_847:
	s_mov_b32 s13, 0x46000000
	v_add_f32_e64 v1, |v24|, s13
	v_and_b32_e32 v1, 0xff, v1
	v_cmp_ne_u32_e32 vcc, 0, v1
	s_andn2_b64 s[8:9], s[8:9], exec
	s_and_b64 s[14:15], vcc, exec
	s_mov_b32 s13, 0
	s_or_b64 s[8:9], s[8:9], s[14:15]
	s_or_b64 exec, exec, s[10:11]
	v_mov_b32_e32 v3, s13
	s_and_saveexec_b64 s[10:11], s[8:9]
	s_cbranch_execnz .LBB23_672
	s_branch .LBB23_673
.LBB23_848:
	s_mov_b64 s[0:1], 0
	s_branch .LBB23_859
.LBB23_849:
	s_trap 2
	s_or_b64 s[2:3], s[2:3], exec
	s_cbranch_execz .LBB23_719
	s_branch .LBB23_720
.LBB23_850:
	s_or_saveexec_b64 s[8:9], s[8:9]
                                        ; implicit-def: $sgpr10
	s_xor_b64 exec, exec, s[8:9]
	s_cbranch_execz .LBB23_684
.LBB23_851:
	s_mov_b32 s10, 0x42800000
	v_add_f32_e64 v1, |v24|, s10
	v_and_b32_e32 v1, 0xff, v1
	v_cmp_ne_u32_e32 vcc, 0, v1
	s_andn2_b64 s[6:7], s[6:7], exec
	s_and_b64 s[14:15], vcc, exec
	s_mov_b32 s10, 0
	s_or_b64 s[6:7], s[6:7], s[14:15]
	s_or_b64 exec, exec, s[8:9]
	v_mov_b32_e32 v3, s10
	s_and_saveexec_b64 s[8:9], s[6:7]
	s_cbranch_execnz .LBB23_685
	s_branch .LBB23_686
.LBB23_852:
	s_mov_b64 s[0:1], 0
.LBB23_853:
	s_and_b64 vcc, exec, s[8:9]
	s_cbranch_vccz .LBB23_858
; %bb.854:
	v_mov_b32_e32 v1, 44
	v_cmp_eq_u16_sdwa s[8:9], v28, v1 src0_sel:BYTE_0 src1_sel:DWORD
	s_mov_b64 s[0:1], -1
	s_and_b64 vcc, exec, s[8:9]
	s_cbranch_vccz .LBB23_858
; %bb.855:
	v_bfe_u32 v1, v22, 23, 8
	s_movk_i32 s0, 0xff
	v_cmp_ne_u32_e32 vcc, s0, v1
	v_mov_b32_e32 v3, 0xff
	s_and_saveexec_b64 s[6:7], vcc
; %bb.856:
	s_mov_b32 s0, 0x3fffff
	v_and_b32_e32 v6, 0x400000, v22
	v_and_or_b32 v1, v22, s0, v1
	v_cmp_ne_u32_e32 vcc, 0, v6
	v_cmp_ne_u32_e64 s[0:1], 0, v1
	s_and_b64 s[0:1], vcc, s[0:1]
	v_lshrrev_b32_e32 v3, 23, v22
	v_cndmask_b32_e64 v1, 0, 1, s[0:1]
	v_add_u32_e32 v3, v3, v1
; %bb.857:
	s_or_b64 exec, exec, s[6:7]
	s_mov_b64 s[0:1], 0
	s_mov_b64 s[6:7], -1
	global_store_byte v[4:5], v3, off
.LBB23_858:
	s_mov_b64 s[8:9], 0
.LBB23_859:
	s_and_b64 vcc, exec, s[8:9]
	s_cbranch_vccz .LBB23_862
; %bb.860:
	v_mov_b32_e32 v1, 29
	v_cmp_eq_u16_sdwa s[8:9], v28, v1 src0_sel:BYTE_0 src1_sel:DWORD
	s_mov_b64 s[0:1], -1
	s_and_b64 vcc, exec, s[8:9]
	s_cbranch_vccz .LBB23_862
; %bb.861:
	v_trunc_f32_e32 v1, v22
	v_mul_f32_e32 v3, 0x2f800000, v1
	v_floor_f32_e32 v3, v3
	v_fmamk_f32 v1, v3, 0xcf800000, v1
	v_cvt_u32_f32_e32 v7, v3
	v_cvt_u32_f32_e32 v6, v1
	s_mov_b64 s[0:1], 0
	s_mov_b64 s[6:7], -1
	s_mov_b64 s[8:9], 0
	global_store_dwordx2 v[4:5], v[6:7], off
	s_branch .LBB23_863
.LBB23_862:
	s_mov_b64 s[8:9], 0
.LBB23_863:
	s_and_b64 vcc, exec, s[8:9]
	s_cbranch_vccz .LBB23_879
; %bb.864:
	v_mov_b32_e32 v1, 27
	v_cmp_lt_i16_sdwa s[8:9], v28, v1 src0_sel:BYTE_0 src1_sel:DWORD
	s_mov_b64 s[6:7], -1
	s_and_b64 vcc, exec, s[8:9]
	s_cbranch_vccnz .LBB23_870
; %bb.865:
	v_cmp_gt_i16_sdwa s[8:9], v28, v1 src0_sel:BYTE_0 src1_sel:DWORD
	v_cvt_u32_f32_e32 v1, v22
	s_and_b64 vcc, exec, s[8:9]
	s_cbranch_vccz .LBB23_867
; %bb.866:
	s_mov_b64 s[6:7], 0
	global_store_dword v[4:5], v1, off
.LBB23_867:
	s_andn2_b64 vcc, exec, s[6:7]
	s_cbranch_vccnz .LBB23_869
; %bb.868:
	global_store_short v[4:5], v1, off
.LBB23_869:
	s_mov_b64 s[6:7], 0
.LBB23_870:
	s_andn2_b64 vcc, exec, s[6:7]
	s_cbranch_vccnz .LBB23_878
; %bb.871:
	v_and_b32_e32 v1, 0x7fffffff, v22
	s_mov_b32 s6, 0x43800000
	v_cmp_gt_u32_e32 vcc, s6, v1
	v_mov_b32_e32 v3, 0x80
	s_and_saveexec_b64 s[6:7], vcc
	s_cbranch_execz .LBB23_877
; %bb.872:
	s_mov_b32 s8, 0x3bffffff
	v_cmp_lt_u32_e32 vcc, s8, v1
	s_mov_b64 s[8:9], 0
                                        ; implicit-def: $vgpr1
	s_and_saveexec_b64 s[10:11], vcc
	s_xor_b64 s[10:11], exec, s[10:11]
	s_cbranch_execz .LBB23_1007
; %bb.873:
	v_bfe_u32 v1, v22, 20, 1
	s_mov_b32 s13, 0x487ffff
	v_add3_u32 v1, v22, v1, s13
	s_mov_b64 s[8:9], exec
	v_lshrrev_b32_e32 v1, 20, v1
	s_or_saveexec_b64 s[10:11], s[10:11]
                                        ; implicit-def: $sgpr13
	s_xor_b64 exec, exec, s[10:11]
	s_cbranch_execnz .LBB23_1008
.LBB23_874:
	s_or_b64 exec, exec, s[10:11]
	v_mov_b32_e32 v3, s13
	s_and_saveexec_b64 s[10:11], s[8:9]
.LBB23_875:
	v_lshrrev_b32_e32 v3, 24, v22
	s_movk_i32 s8, 0x80
	v_and_or_b32 v3, v3, s8, v1
.LBB23_876:
	s_or_b64 exec, exec, s[10:11]
.LBB23_877:
	s_or_b64 exec, exec, s[6:7]
	global_store_byte v[4:5], v3, off
.LBB23_878:
	s_mov_b64 s[6:7], -1
.LBB23_879:
	s_mov_b64 s[8:9], 0
.LBB23_880:
	s_and_b64 vcc, exec, s[8:9]
	s_cbranch_vccz .LBB23_920
; %bb.881:
	v_mov_b32_e32 v1, 22
	v_cmp_gt_i16_sdwa s[8:9], v28, v1 src0_sel:BYTE_0 src1_sel:DWORD
	s_mov_b64 s[4:5], -1
	s_and_b64 vcc, exec, s[8:9]
	s_cbranch_vccz .LBB23_913
; %bb.882:
	v_mov_b32_e32 v1, 24
	v_cmp_lt_i16_sdwa s[6:7], v28, v1 src0_sel:BYTE_0 src1_sel:DWORD
	s_and_b64 vcc, exec, s[6:7]
	s_cbranch_vccnz .LBB23_902
; %bb.883:
	v_cmp_gt_i16_sdwa s[6:7], v28, v1 src0_sel:BYTE_0 src1_sel:DWORD
	s_and_b64 vcc, exec, s[6:7]
	s_cbranch_vccz .LBB23_891
; %bb.884:
	v_and_b32_e32 v1, 0x7fffffff, v22
	s_mov_b32 s4, 0x47800000
	v_cmp_gt_u32_e32 vcc, s4, v1
	v_mov_b32_e32 v3, 0x80
	s_and_saveexec_b64 s[4:5], vcc
	s_cbranch_execz .LBB23_890
; %bb.885:
	s_mov_b32 s6, 0x37ffffff
	v_cmp_lt_u32_e32 vcc, s6, v1
	s_mov_b64 s[6:7], 0
                                        ; implicit-def: $vgpr1
	s_and_saveexec_b64 s[8:9], vcc
	s_xor_b64 s[8:9], exec, s[8:9]
	s_cbranch_execz .LBB23_1012
; %bb.886:
	v_bfe_u32 v1, v22, 21, 1
	s_mov_b32 s10, 0x88fffff
	v_add3_u32 v1, v22, v1, s10
	s_mov_b64 s[6:7], exec
	v_lshrrev_b32_e32 v1, 21, v1
	s_or_saveexec_b64 s[8:9], s[8:9]
                                        ; implicit-def: $sgpr10
	s_xor_b64 exec, exec, s[8:9]
	s_cbranch_execnz .LBB23_1013
.LBB23_887:
	s_or_b64 exec, exec, s[8:9]
	v_mov_b32_e32 v3, s10
	s_and_saveexec_b64 s[8:9], s[6:7]
.LBB23_888:
	v_lshrrev_b32_e32 v3, 24, v22
	s_movk_i32 s6, 0x80
	v_and_or_b32 v3, v3, s6, v1
.LBB23_889:
	s_or_b64 exec, exec, s[8:9]
.LBB23_890:
	s_or_b64 exec, exec, s[4:5]
	s_mov_b64 s[4:5], 0
	global_store_byte v[4:5], v3, off
.LBB23_891:
	s_and_b64 vcc, exec, s[4:5]
	s_cbranch_vccz .LBB23_901
; %bb.892:
	v_and_b32_e32 v3, 0x7fffffff, v22
	s_mov_b32 s4, 0x43f00000
	v_cmp_gt_u32_e32 vcc, s4, v3
                                        ; implicit-def: $vgpr1
	s_and_saveexec_b64 s[4:5], vcc
	s_xor_b64 s[4:5], exec, s[4:5]
	s_cbranch_execz .LBB23_898
; %bb.893:
	s_mov_b32 s6, 0x3c7fffff
	v_cmp_lt_u32_e32 vcc, s6, v3
                                        ; implicit-def: $vgpr1
	s_and_saveexec_b64 s[6:7], vcc
	s_xor_b64 s[6:7], exec, s[6:7]
; %bb.894:
	v_bfe_u32 v1, v22, 20, 1
	s_mov_b32 s8, 0x407ffff
	v_add3_u32 v1, v22, v1, s8
	v_lshrrev_b32_e32 v3, 20, v1
	v_and_b32_e32 v1, 0xff00000, v1
	s_mov_b32 s8, 0x7f00000
	v_mov_b32_e32 v6, 0x7e
	v_cmp_ne_u32_e32 vcc, s8, v1
	s_nop 1
	v_cndmask_b32_e32 v1, v6, v3, vcc
; %bb.895:
	s_andn2_saveexec_b64 s[6:7], s[6:7]
; %bb.896:
	s_mov_b32 s8, 0x46800000
	v_add_f32_e64 v1, |v22|, s8
; %bb.897:
	s_or_b64 exec, exec, s[6:7]
                                        ; implicit-def: $vgpr3
.LBB23_898:
	s_andn2_saveexec_b64 s[4:5], s[4:5]
; %bb.899:
	s_mov_b32 s6, 0x7f800000
	v_mov_b32_e32 v1, 0x7e
	v_mov_b32_e32 v6, 0x7f
	v_cmp_lt_u32_e32 vcc, s6, v3
	s_nop 1
	v_cndmask_b32_e32 v1, v1, v6, vcc
; %bb.900:
	s_or_b64 exec, exec, s[4:5]
	v_lshrrev_b32_e32 v3, 24, v22
	s_movk_i32 s4, 0x80
	v_and_or_b32 v1, v3, s4, v1
	global_store_byte v[4:5], v1, off
.LBB23_901:
	s_mov_b64 s[4:5], 0
.LBB23_902:
	s_andn2_b64 vcc, exec, s[4:5]
	s_cbranch_vccnz .LBB23_912
; %bb.903:
	v_and_b32_e32 v3, 0x7fffffff, v22
	s_mov_b32 s4, 0x47800000
	v_cmp_gt_u32_e32 vcc, s4, v3
                                        ; implicit-def: $vgpr1
	s_and_saveexec_b64 s[4:5], vcc
	s_xor_b64 s[4:5], exec, s[4:5]
	s_cbranch_execz .LBB23_909
; %bb.904:
	s_mov_b32 s6, 0x387fffff
	v_cmp_lt_u32_e32 vcc, s6, v3
                                        ; implicit-def: $vgpr1
	s_and_saveexec_b64 s[6:7], vcc
	s_xor_b64 s[6:7], exec, s[6:7]
; %bb.905:
	v_bfe_u32 v1, v22, 21, 1
	s_mov_b32 s8, 0x80fffff
	v_add3_u32 v1, v22, v1, s8
	v_lshrrev_b32_e32 v1, 21, v1
; %bb.906:
	s_andn2_saveexec_b64 s[6:7], s[6:7]
; %bb.907:
	s_mov_b32 s8, 0x43000000
	v_add_f32_e64 v1, |v22|, s8
; %bb.908:
	s_or_b64 exec, exec, s[6:7]
                                        ; implicit-def: $vgpr3
.LBB23_909:
	s_andn2_saveexec_b64 s[4:5], s[4:5]
; %bb.910:
	s_mov_b32 s6, 0x7f800000
	v_mov_b32_e32 v1, 0x7c
	v_mov_b32_e32 v6, 0x7f
	v_cmp_lt_u32_e32 vcc, s6, v3
	s_nop 1
	v_cndmask_b32_e32 v1, v1, v6, vcc
; %bb.911:
	s_or_b64 exec, exec, s[4:5]
	v_lshrrev_b32_e32 v3, 24, v22
	s_movk_i32 s4, 0x80
	v_and_or_b32 v1, v3, s4, v1
	global_store_byte v[4:5], v1, off
.LBB23_912:
	s_mov_b64 s[4:5], 0
	s_mov_b64 s[6:7], -1
.LBB23_913:
	s_andn2_b64 vcc, exec, s[4:5]
	s_mov_b64 s[4:5], 0
	s_cbranch_vccnz .LBB23_920
; %bb.914:
	v_mov_b32_e32 v1, 14
	v_cmp_gt_i16_sdwa s[4:5], v28, v1 src0_sel:BYTE_0 src1_sel:DWORD
	s_mov_b64 s[8:9], -1
	s_and_b64 vcc, exec, s[4:5]
	s_cbranch_vccz .LBB23_918
; %bb.915:
	v_mov_b32_e32 v1, 15
	v_cmp_eq_u16_sdwa s[4:5], v28, v1 src0_sel:BYTE_0 src1_sel:DWORD
	s_mov_b64 s[0:1], -1
	s_and_b64 vcc, exec, s[4:5]
	s_cbranch_vccz .LBB23_917
; %bb.916:
	v_bfe_u32 v1, v22, 16, 1
	s_movk_i32 s0, 0x7fff
	v_add3_u32 v1, v22, v1, s0
	v_lshrrev_b32_e32 v1, 16, v1
	v_mov_b32_e32 v3, 0x7fc0
	v_cmp_o_f32_e32 vcc, v22, v22
	s_mov_b64 s[0:1], 0
	s_mov_b64 s[6:7], -1
	v_cndmask_b32_e32 v1, v3, v1, vcc
	global_store_short v[4:5], v1, off
.LBB23_917:
	s_mov_b64 s[8:9], 0
.LBB23_918:
	s_mov_b64 s[4:5], 0
	s_and_b64 vcc, exec, s[8:9]
	s_cbranch_vccz .LBB23_920
; %bb.919:
	v_mov_b32_e32 v1, 11
	v_cmp_ne_u16_sdwa s[0:1], v28, v1 src0_sel:BYTE_0 src1_sel:DWORD
	s_mov_b64 s[4:5], -1
.LBB23_920:
	s_and_b64 vcc, exec, s[0:1]
	s_cbranch_vccnz .LBB23_1009
; %bb.921:
	s_andn2_b64 vcc, exec, s[4:5]
	s_cbranch_vccnz .LBB23_923
.LBB23_922:
	v_cmp_neq_f32_e32 vcc, 0, v22
	s_mov_b64 s[6:7], -1
	s_nop 0
	v_cndmask_b32_e64 v1, 0, 1, vcc
	global_store_byte v[4:5], v1, off
.LBB23_923:
	s_branch .LBB23_767
.LBB23_924:
	v_mov_b32_e32 v1, 5
	v_cmp_lt_i16_sdwa s[4:5], v28, v1 src0_sel:BYTE_0 src1_sel:DWORD
	s_mov_b64 s[0:1], -1
	s_and_b64 vcc, exec, s[4:5]
	s_cbranch_vccnz .LBB23_945
; %bb.925:
	v_mov_b32_e32 v1, 8
	v_cmp_lt_i16_sdwa s[4:5], v28, v1 src0_sel:BYTE_0 src1_sel:DWORD
	s_and_b64 vcc, exec, s[4:5]
	s_cbranch_vccnz .LBB23_935
; %bb.926:
	v_mov_b32_e32 v1, 9
	v_cmp_lt_i16_sdwa s[4:5], v28, v1 src0_sel:BYTE_0 src1_sel:DWORD
	s_and_b64 vcc, exec, s[4:5]
	s_cbranch_vccnz .LBB23_932
; %bb.927:
	v_cmp_gt_i16_sdwa s[4:5], v28, v1 src0_sel:BYTE_0 src1_sel:DWORD
	s_and_b64 vcc, exec, s[4:5]
	s_cbranch_vccz .LBB23_929
; %bb.928:
	v_mov_b32_e32 v8, 0
	v_cvt_f64_f32_e32 v[6:7], v22
	v_mov_b32_e32 v9, v8
	global_store_dwordx4 v[4:5], v[6:9], off
	s_mov_b64 s[0:1], 0
.LBB23_929:
	s_andn2_b64 vcc, exec, s[0:1]
	s_cbranch_vccnz .LBB23_931
; %bb.930:
	v_mov_b32_e32 v23, 0
	global_store_dwordx2 v[4:5], v[22:23], off
.LBB23_931:
	s_mov_b64 s[0:1], 0
.LBB23_932:
	s_andn2_b64 vcc, exec, s[0:1]
	s_cbranch_vccnz .LBB23_934
; %bb.933:
	v_cvt_f16_f32_e32 v1, v22
	global_store_dword v[4:5], v1, off
.LBB23_934:
	s_mov_b64 s[0:1], 0
.LBB23_935:
	s_andn2_b64 vcc, exec, s[0:1]
	s_cbranch_vccnz .LBB23_944
; %bb.936:
	v_mov_b32_e32 v1, 6
	v_cmp_lt_i16_sdwa s[4:5], v28, v1 src0_sel:BYTE_0 src1_sel:DWORD
	s_mov_b64 s[0:1], -1
	s_and_b64 vcc, exec, s[4:5]
	s_cbranch_vccnz .LBB23_942
; %bb.937:
	v_cmp_gt_i16_sdwa s[4:5], v28, v1 src0_sel:BYTE_0 src1_sel:DWORD
	s_and_b64 vcc, exec, s[4:5]
	s_cbranch_vccz .LBB23_939
; %bb.938:
	v_cvt_f64_f32_e32 v[6:7], v22
	global_store_dwordx2 v[4:5], v[6:7], off
	s_mov_b64 s[0:1], 0
.LBB23_939:
	s_andn2_b64 vcc, exec, s[0:1]
	s_cbranch_vccnz .LBB23_941
; %bb.940:
	global_store_dword v[4:5], v22, off
.LBB23_941:
	s_mov_b64 s[0:1], 0
.LBB23_942:
	s_andn2_b64 vcc, exec, s[0:1]
	s_cbranch_vccnz .LBB23_944
; %bb.943:
	v_cvt_f16_f32_e32 v1, v22
	global_store_short v[4:5], v1, off
.LBB23_944:
	s_mov_b64 s[0:1], 0
.LBB23_945:
	s_andn2_b64 vcc, exec, s[0:1]
	s_cbranch_vccnz .LBB23_961
; %bb.946:
	v_mov_b32_e32 v1, 2
	v_cmp_lt_i16_sdwa s[4:5], v28, v1 src0_sel:BYTE_0 src1_sel:DWORD
	s_mov_b64 s[0:1], -1
	s_and_b64 vcc, exec, s[4:5]
	s_cbranch_vccnz .LBB23_956
; %bb.947:
	v_mov_b32_e32 v1, 3
	v_cmp_lt_i16_sdwa s[4:5], v28, v1 src0_sel:BYTE_0 src1_sel:DWORD
	s_and_b64 vcc, exec, s[4:5]
	s_cbranch_vccnz .LBB23_953
; %bb.948:
	v_cmp_gt_i16_sdwa s[4:5], v28, v1 src0_sel:BYTE_0 src1_sel:DWORD
	s_and_b64 vcc, exec, s[4:5]
	s_cbranch_vccz .LBB23_950
; %bb.949:
	v_trunc_f32_e32 v1, v22
	s_mov_b32 s0, 0x2f800000
	v_mul_f32_e64 v3, |v1|, s0
	v_floor_f32_e32 v3, v3
	s_mov_b32 s0, 0xcf800000
	v_cvt_u32_f32_e32 v6, v3
	v_fma_f32 v3, v3, s0, |v1|
	v_cvt_u32_f32_e32 v3, v3
	v_ashrrev_i32_e32 v1, 31, v1
	v_xor_b32_e32 v7, v6, v1
	s_mov_b64 s[0:1], 0
	v_xor_b32_e32 v3, v3, v1
	v_sub_co_u32_e32 v6, vcc, v3, v1
	s_nop 1
	v_subb_co_u32_e32 v7, vcc, v7, v1, vcc
	global_store_dwordx2 v[4:5], v[6:7], off
.LBB23_950:
	s_andn2_b64 vcc, exec, s[0:1]
	s_cbranch_vccnz .LBB23_952
; %bb.951:
	v_cvt_i32_f32_e32 v1, v22
	global_store_dword v[4:5], v1, off
.LBB23_952:
	s_mov_b64 s[0:1], 0
.LBB23_953:
	s_andn2_b64 vcc, exec, s[0:1]
	s_cbranch_vccnz .LBB23_955
; %bb.954:
	v_cvt_i32_f32_e32 v1, v22
	global_store_short v[4:5], v1, off
.LBB23_955:
	s_mov_b64 s[0:1], 0
.LBB23_956:
	s_andn2_b64 vcc, exec, s[0:1]
	s_cbranch_vccnz .LBB23_961
; %bb.957:
	v_mov_b32_e32 v1, 0
	v_cmp_gt_i16_sdwa s[4:5], v28, v1 src0_sel:BYTE_0 src1_sel:DWORD
	s_mov_b64 s[0:1], -1
	s_and_b64 vcc, exec, s[4:5]
	s_cbranch_vccz .LBB23_959
; %bb.958:
	v_cvt_i32_f32_e32 v1, v22
	s_mov_b64 s[0:1], 0
	global_store_byte v[4:5], v1, off
.LBB23_959:
	s_andn2_b64 vcc, exec, s[0:1]
	s_cbranch_vccnz .LBB23_961
; %bb.960:
	v_trunc_f32_e32 v1, v22
	s_mov_b32 s0, 0x2f800000
	v_mul_f32_e64 v3, |v1|, s0
	v_floor_f32_e32 v3, v3
	s_mov_b32 s0, 0xcf800000
	v_fma_f32 v3, v3, s0, |v1|
	v_cvt_u32_f32_e32 v3, v3
	v_ashrrev_i32_e32 v1, 31, v1
	v_xor_b32_e32 v3, v3, v1
	v_sub_u32_e32 v1, v3, v1
	global_store_byte v[4:5], v1, off
.LBB23_961:
	s_branch .LBB23_768
.LBB23_962:
	s_mov_b64 s[0:1], 0
	s_mov_b64 s[4:5], 0
                                        ; implicit-def: $vgpr4
                                        ; implicit-def: $vgpr2_vgpr3
.LBB23_963:
	s_and_b64 s[34:35], s[4:5], exec
	s_andn2_b64 s[4:5], s[38:39], exec
	s_and_b64 s[2:3], s[2:3], exec
	s_and_b64 s[0:1], s[0:1], exec
	s_or_b64 s[38:39], s[4:5], s[2:3]
.LBB23_964:
	s_or_b64 exec, exec, s[36:37]
	s_and_saveexec_b64 s[2:3], s[38:39]
	s_cbranch_execz .LBB23_967
; %bb.965:
	; divergent unreachable
	s_or_b64 exec, exec, s[2:3]
	s_and_saveexec_b64 s[2:3], s[34:35]
	s_xor_b64 s[2:3], exec, s[2:3]
	s_cbranch_execnz .LBB23_968
.LBB23_966:
	s_or_b64 exec, exec, s[2:3]
	s_and_saveexec_b64 s[2:3], s[0:1]
	s_cbranch_execnz .LBB23_969
	s_branch .LBB23_1006
.LBB23_967:
	s_or_b64 exec, exec, s[2:3]
	s_and_saveexec_b64 s[2:3], s[34:35]
	s_xor_b64 s[2:3], exec, s[2:3]
	s_cbranch_execz .LBB23_966
.LBB23_968:
	v_cmp_neq_f32_e32 vcc, 0, v0
	s_nop 1
	v_cndmask_b32_e64 v1, 0, 1, vcc
	global_store_byte v[2:3], v1, off
	s_or_b64 exec, exec, s[2:3]
	s_and_saveexec_b64 s[2:3], s[0:1]
	s_cbranch_execz .LBB23_1006
.LBB23_969:
	v_cmp_gt_i16_e32 vcc, 5, v4
	s_mov_b64 s[0:1], -1
	s_cbranch_vccnz .LBB23_990
; %bb.970:
	v_cmp_gt_i16_e32 vcc, 8, v4
	s_cbranch_vccnz .LBB23_980
; %bb.971:
	v_cmp_gt_i16_e32 vcc, 9, v4
	s_cbranch_vccnz .LBB23_977
; %bb.972:
	v_cmp_lt_i16_e32 vcc, 9, v4
	s_cbranch_vccz .LBB23_974
; %bb.973:
	v_mov_b32_e32 v8, 0
	v_cvt_f64_f32_e32 v[6:7], v0
	v_mov_b32_e32 v9, v8
	global_store_dwordx4 v[2:3], v[6:9], off
	s_mov_b64 s[0:1], 0
.LBB23_974:
	s_andn2_b64 vcc, exec, s[0:1]
	s_cbranch_vccnz .LBB23_976
; %bb.975:
	v_mov_b32_e32 v1, 0
	global_store_dwordx2 v[2:3], v[0:1], off
.LBB23_976:
	s_mov_b64 s[0:1], 0
.LBB23_977:
	s_andn2_b64 vcc, exec, s[0:1]
	s_cbranch_vccnz .LBB23_979
; %bb.978:
	v_cvt_f16_f32_e32 v1, v0
	global_store_dword v[2:3], v1, off
.LBB23_979:
	s_mov_b64 s[0:1], 0
.LBB23_980:
	s_andn2_b64 vcc, exec, s[0:1]
	s_cbranch_vccnz .LBB23_989
; %bb.981:
	v_cmp_gt_i16_e32 vcc, 6, v4
	s_mov_b64 s[0:1], -1
	s_cbranch_vccnz .LBB23_987
; %bb.982:
	v_cmp_lt_i16_e32 vcc, 6, v4
	s_cbranch_vccz .LBB23_984
; %bb.983:
	v_cvt_f64_f32_e32 v[6:7], v0
	global_store_dwordx2 v[2:3], v[6:7], off
	s_mov_b64 s[0:1], 0
.LBB23_984:
	s_andn2_b64 vcc, exec, s[0:1]
	s_cbranch_vccnz .LBB23_986
; %bb.985:
	global_store_dword v[2:3], v0, off
.LBB23_986:
	s_mov_b64 s[0:1], 0
.LBB23_987:
	s_andn2_b64 vcc, exec, s[0:1]
	s_cbranch_vccnz .LBB23_989
; %bb.988:
	v_cvt_f16_f32_e32 v1, v0
	global_store_short v[2:3], v1, off
.LBB23_989:
	s_mov_b64 s[0:1], 0
.LBB23_990:
	s_andn2_b64 vcc, exec, s[0:1]
	s_cbranch_vccnz .LBB23_1006
; %bb.991:
	v_cmp_gt_i16_e32 vcc, 2, v4
	s_mov_b64 s[0:1], -1
	s_cbranch_vccnz .LBB23_1001
; %bb.992:
	v_cmp_gt_i16_e32 vcc, 3, v4
	s_cbranch_vccnz .LBB23_998
; %bb.993:
	v_cmp_lt_i16_e32 vcc, 3, v4
	s_cbranch_vccz .LBB23_995
; %bb.994:
	v_trunc_f32_e32 v1, v0
	s_mov_b32 s0, 0x2f800000
	v_mul_f32_e64 v5, |v1|, s0
	v_floor_f32_e32 v5, v5
	s_mov_b32 s0, 0xcf800000
	v_cvt_u32_f32_e32 v6, v5
	v_fma_f32 v5, v5, s0, |v1|
	v_cvt_u32_f32_e32 v5, v5
	v_ashrrev_i32_e32 v1, 31, v1
	v_xor_b32_e32 v7, v6, v1
	s_mov_b64 s[0:1], 0
	v_xor_b32_e32 v5, v5, v1
	v_sub_co_u32_e32 v6, vcc, v5, v1
	s_nop 1
	v_subb_co_u32_e32 v7, vcc, v7, v1, vcc
	global_store_dwordx2 v[2:3], v[6:7], off
.LBB23_995:
	s_andn2_b64 vcc, exec, s[0:1]
	s_cbranch_vccnz .LBB23_997
; %bb.996:
	v_cvt_i32_f32_e32 v1, v0
	global_store_dword v[2:3], v1, off
.LBB23_997:
	s_mov_b64 s[0:1], 0
.LBB23_998:
	s_andn2_b64 vcc, exec, s[0:1]
	s_cbranch_vccnz .LBB23_1000
; %bb.999:
	v_cvt_i32_f32_e32 v1, v0
	global_store_short v[2:3], v1, off
.LBB23_1000:
	s_mov_b64 s[0:1], 0
.LBB23_1001:
	s_andn2_b64 vcc, exec, s[0:1]
	s_cbranch_vccnz .LBB23_1006
; %bb.1002:
	v_cmp_lt_i16_e32 vcc, 0, v4
	s_mov_b64 s[0:1], -1
	s_cbranch_vccz .LBB23_1004
; %bb.1003:
	v_cvt_i32_f32_e32 v1, v0
	s_mov_b64 s[0:1], 0
	global_store_byte v[2:3], v1, off
.LBB23_1004:
	s_andn2_b64 vcc, exec, s[0:1]
	s_cbranch_vccnz .LBB23_1006
; %bb.1005:
	v_trunc_f32_e32 v0, v0
	s_mov_b32 s0, 0x2f800000
	v_mul_f32_e64 v1, |v0|, s0
	v_floor_f32_e32 v1, v1
	s_mov_b32 s0, 0xcf800000
	v_fma_f32 v1, v1, s0, |v0|
	v_cvt_u32_f32_e32 v1, v1
	v_ashrrev_i32_e32 v0, 31, v0
	v_xor_b32_e32 v1, v1, v0
	v_sub_u32_e32 v0, v1, v0
	global_store_byte v[2:3], v0, off
	s_endpgm
.LBB23_1006:
	s_endpgm
.LBB23_1007:
	s_or_saveexec_b64 s[10:11], s[10:11]
                                        ; implicit-def: $sgpr13
	s_xor_b64 exec, exec, s[10:11]
	s_cbranch_execz .LBB23_874
.LBB23_1008:
	s_mov_b32 s13, 0x46000000
	v_add_f32_e64 v1, |v22|, s13
	v_and_b32_e32 v1, 0xff, v1
	v_cmp_ne_u32_e32 vcc, 0, v1
	s_andn2_b64 s[8:9], s[8:9], exec
	s_and_b64 s[14:15], vcc, exec
	s_mov_b32 s13, 0
	s_or_b64 s[8:9], s[8:9], s[14:15]
	s_or_b64 exec, exec, s[10:11]
	v_mov_b32_e32 v3, s13
	s_and_saveexec_b64 s[10:11], s[8:9]
	s_cbranch_execnz .LBB23_875
	s_branch .LBB23_876
.LBB23_1009:
	s_trap 2
	s_or_b64 s[2:3], s[2:3], exec
	s_cbranch_execz .LBB23_922
	s_branch .LBB23_923
.LBB23_1010:
	s_or_saveexec_b64 s[10:11], s[10:11]
                                        ; implicit-def: $sgpr12
	s_xor_b64 exec, exec, s[10:11]
	s_cbranch_execz .LBB23_797
.LBB23_1011:
	s_mov_b32 s12, 0x46000000
	v_add_f32_e64 v1, |v0|, s12
	v_and_b32_e32 v1, 0xff, v1
	v_cmp_ne_u32_e32 vcc, 0, v1
	s_andn2_b64 s[8:9], s[8:9], exec
	s_and_b64 s[14:15], vcc, exec
	s_mov_b32 s12, 0
	s_or_b64 s[8:9], s[8:9], s[14:15]
	s_or_b64 exec, exec, s[10:11]
	v_mov_b32_e32 v5, s12
	s_and_saveexec_b64 s[10:11], s[8:9]
	s_cbranch_execnz .LBB23_798
	s_branch .LBB23_799
.LBB23_1012:
	s_or_saveexec_b64 s[8:9], s[8:9]
                                        ; implicit-def: $sgpr10
	s_xor_b64 exec, exec, s[8:9]
	s_cbranch_execz .LBB23_887
.LBB23_1013:
	s_mov_b32 s10, 0x42800000
	v_add_f32_e64 v1, |v22|, s10
	v_and_b32_e32 v1, 0xff, v1
	v_cmp_ne_u32_e32 vcc, 0, v1
	s_andn2_b64 s[6:7], s[6:7], exec
	s_and_b64 s[14:15], vcc, exec
	s_mov_b32 s10, 0
	s_or_b64 s[6:7], s[6:7], s[14:15]
	s_or_b64 exec, exec, s[8:9]
	v_mov_b32_e32 v3, s10
	s_and_saveexec_b64 s[8:9], s[6:7]
	s_cbranch_execnz .LBB23_888
	s_branch .LBB23_889
.LBB23_1014:
	s_mov_b64 s[4:5], 0
	s_or_b64 s[2:3], s[2:3], exec
	s_trap 2
	s_branch .LBB23_843
.LBB23_1015:
	s_or_saveexec_b64 s[6:7], s[6:7]
                                        ; implicit-def: $sgpr8
	s_xor_b64 exec, exec, s[6:7]
	s_cbranch_execz .LBB23_422
.LBB23_1016:
	s_mov_b32 s8, 0x46000000
	v_add_f32_e64 v1, |v0|, s8
	v_and_b32_e32 v1, 0xff, v1
	v_cmp_ne_u32_e32 vcc, 0, v1
	s_andn2_b64 s[4:5], s[4:5], exec
	s_and_b64 s[10:11], vcc, exec
	s_mov_b32 s8, 0
	s_or_b64 s[4:5], s[4:5], s[10:11]
	s_or_b64 exec, exec, s[6:7]
	v_mov_b32_e32 v5, s8
	s_and_saveexec_b64 s[6:7], s[4:5]
	s_cbranch_execnz .LBB23_423
	s_branch .LBB23_424
.LBB23_1017:
	s_or_saveexec_b64 s[8:9], s[8:9]
                                        ; implicit-def: $sgpr10
	s_xor_b64 exec, exec, s[8:9]
	s_cbranch_execz .LBB23_809
.LBB23_1018:
	s_mov_b32 s10, 0x42800000
	v_add_f32_e64 v1, |v0|, s10
	v_and_b32_e32 v1, 0xff, v1
	v_cmp_ne_u32_e32 vcc, 0, v1
	s_andn2_b64 s[6:7], s[6:7], exec
	s_and_b64 s[12:13], vcc, exec
	s_mov_b32 s10, 0
	s_or_b64 s[6:7], s[6:7], s[12:13]
	s_or_b64 exec, exec, s[8:9]
	v_mov_b32_e32 v5, s10
	s_and_saveexec_b64 s[8:9], s[6:7]
	s_cbranch_execnz .LBB23_810
	s_branch .LBB23_811
.LBB23_1019:
	s_or_saveexec_b64 s[8:9], s[8:9]
                                        ; implicit-def: $sgpr10
	s_xor_b64 exec, exec, s[8:9]
	s_cbranch_execz .LBB23_434
.LBB23_1020:
	s_mov_b32 s10, 0x42800000
	v_add_f32_e64 v1, |v0|, s10
	v_and_b32_e32 v1, 0xff, v1
	v_cmp_ne_u32_e32 vcc, 0, v1
	s_andn2_b64 s[6:7], s[6:7], exec
	s_and_b64 s[12:13], vcc, exec
	s_mov_b32 s10, 0
	s_or_b64 s[6:7], s[6:7], s[12:13]
	s_or_b64 exec, exec, s[8:9]
	v_mov_b32_e32 v5, s10
	s_and_saveexec_b64 s[8:9], s[6:7]
	s_cbranch_execnz .LBB23_435
	s_branch .LBB23_436
	.section	.rodata,"a",@progbits
	.p2align	6, 0x0
	.amdhsa_kernel _ZN2at6native32elementwise_kernel_manual_unrollILi128ELi4EZNS0_15gpu_kernel_implIZZZNS0_12_GLOBAL__N_121bessel_y0_kernel_cudaERNS_18TensorIteratorBaseEENKUlvE_clEvENKUlvE0_clEvEUlfE_EEvS5_RKT_EUlibE_EEviT1_
		.amdhsa_group_segment_fixed_size 0
		.amdhsa_private_segment_fixed_size 0
		.amdhsa_kernarg_size 40
		.amdhsa_user_sgpr_count 2
		.amdhsa_user_sgpr_dispatch_ptr 0
		.amdhsa_user_sgpr_queue_ptr 0
		.amdhsa_user_sgpr_kernarg_segment_ptr 1
		.amdhsa_user_sgpr_dispatch_id 0
		.amdhsa_user_sgpr_kernarg_preload_length 0
		.amdhsa_user_sgpr_kernarg_preload_offset 0
		.amdhsa_user_sgpr_private_segment_size 0
		.amdhsa_uses_dynamic_stack 0
		.amdhsa_enable_private_segment 0
		.amdhsa_system_sgpr_workgroup_id_x 1
		.amdhsa_system_sgpr_workgroup_id_y 0
		.amdhsa_system_sgpr_workgroup_id_z 0
		.amdhsa_system_sgpr_workgroup_info 0
		.amdhsa_system_vgpr_workitem_id 0
		.amdhsa_next_free_vgpr 29
		.amdhsa_next_free_sgpr 52
		.amdhsa_accum_offset 32
		.amdhsa_reserve_vcc 1
		.amdhsa_float_round_mode_32 0
		.amdhsa_float_round_mode_16_64 0
		.amdhsa_float_denorm_mode_32 3
		.amdhsa_float_denorm_mode_16_64 3
		.amdhsa_dx10_clamp 1
		.amdhsa_ieee_mode 1
		.amdhsa_fp16_overflow 0
		.amdhsa_tg_split 0
		.amdhsa_exception_fp_ieee_invalid_op 0
		.amdhsa_exception_fp_denorm_src 0
		.amdhsa_exception_fp_ieee_div_zero 0
		.amdhsa_exception_fp_ieee_overflow 0
		.amdhsa_exception_fp_ieee_underflow 0
		.amdhsa_exception_fp_ieee_inexact 0
		.amdhsa_exception_int_div_zero 0
	.end_amdhsa_kernel
	.section	.text._ZN2at6native32elementwise_kernel_manual_unrollILi128ELi4EZNS0_15gpu_kernel_implIZZZNS0_12_GLOBAL__N_121bessel_y0_kernel_cudaERNS_18TensorIteratorBaseEENKUlvE_clEvENKUlvE0_clEvEUlfE_EEvS5_RKT_EUlibE_EEviT1_,"axG",@progbits,_ZN2at6native32elementwise_kernel_manual_unrollILi128ELi4EZNS0_15gpu_kernel_implIZZZNS0_12_GLOBAL__N_121bessel_y0_kernel_cudaERNS_18TensorIteratorBaseEENKUlvE_clEvENKUlvE0_clEvEUlfE_EEvS5_RKT_EUlibE_EEviT1_,comdat
.Lfunc_end23:
	.size	_ZN2at6native32elementwise_kernel_manual_unrollILi128ELi4EZNS0_15gpu_kernel_implIZZZNS0_12_GLOBAL__N_121bessel_y0_kernel_cudaERNS_18TensorIteratorBaseEENKUlvE_clEvENKUlvE0_clEvEUlfE_EEvS5_RKT_EUlibE_EEviT1_, .Lfunc_end23-_ZN2at6native32elementwise_kernel_manual_unrollILi128ELi4EZNS0_15gpu_kernel_implIZZZNS0_12_GLOBAL__N_121bessel_y0_kernel_cudaERNS_18TensorIteratorBaseEENKUlvE_clEvENKUlvE0_clEvEUlfE_EEvS5_RKT_EUlibE_EEviT1_
                                        ; -- End function
	.section	.AMDGPU.csdata,"",@progbits
; Kernel info:
; codeLenInByte = 18924
; NumSgprs: 58
; NumVgprs: 29
; NumAgprs: 0
; TotalNumVgprs: 29
; ScratchSize: 0
; MemoryBound: 0
; FloatMode: 240
; IeeeMode: 1
; LDSByteSize: 0 bytes/workgroup (compile time only)
; SGPRBlocks: 7
; VGPRBlocks: 3
; NumSGPRsForWavesPerEU: 58
; NumVGPRsForWavesPerEU: 29
; AccumOffset: 32
; Occupancy: 8
; WaveLimiterHint : 0
; COMPUTE_PGM_RSRC2:SCRATCH_EN: 0
; COMPUTE_PGM_RSRC2:USER_SGPR: 2
; COMPUTE_PGM_RSRC2:TRAP_HANDLER: 0
; COMPUTE_PGM_RSRC2:TGID_X_EN: 1
; COMPUTE_PGM_RSRC2:TGID_Y_EN: 0
; COMPUTE_PGM_RSRC2:TGID_Z_EN: 0
; COMPUTE_PGM_RSRC2:TIDIG_COMP_CNT: 0
; COMPUTE_PGM_RSRC3_GFX90A:ACCUM_OFFSET: 7
; COMPUTE_PGM_RSRC3_GFX90A:TG_SPLIT: 0
	.text
	.p2align	2                               ; -- Begin function _ZN2at6native6invokeIZZZNS0_12_GLOBAL__N_121bessel_y0_kernel_cudaERNS_18TensorIteratorBaseEENKUlvE_clEvENKUlvE0_clEvEUlfE_j15function_traitsIS7_EEENT1_11result_typeERKT_PrKPcPKT0_PKN3c1010ScalarTypeEi
	.type	_ZN2at6native6invokeIZZZNS0_12_GLOBAL__N_121bessel_y0_kernel_cudaERNS_18TensorIteratorBaseEENKUlvE_clEvENKUlvE0_clEvEUlfE_j15function_traitsIS7_EEENT1_11result_typeERKT_PrKPcPKT0_PKN3c1010ScalarTypeEi,@function
_ZN2at6native6invokeIZZZNS0_12_GLOBAL__N_121bessel_y0_kernel_cudaERNS_18TensorIteratorBaseEENKUlvE_clEvENKUlvE0_clEvEUlfE_j15function_traitsIS7_EEENT1_11result_typeERKT_PrKPcPKT0_PKN3c1010ScalarTypeEi: ; @_ZN2at6native6invokeIZZZNS0_12_GLOBAL__N_121bessel_y0_kernel_cudaERNS_18TensorIteratorBaseEENKUlvE_clEvENKUlvE0_clEvEUlfE_j15function_traitsIS7_EEENT1_11result_typeERKT_PrKPcPKT0_PKN3c1010ScalarTypeEi
; %bb.0:
	s_waitcnt vmcnt(0) expcnt(0) lgkmcnt(0)
	v_mov_b32_e32 v4, v3
	v_mov_b32_e32 v3, 0
	v_lshl_add_u64 v[0:1], v[0:1], 0, v[2:3]
	v_mov_b32_e32 v2, 10
	v_cmp_gt_i16_sdwa s[0:1], v4, v2 src0_sel:BYTE_0 src1_sel:DWORD
	s_mov_b64 s[2:3], 0
                                        ; implicit-def: $vgpr5
	s_and_saveexec_b64 s[4:5], s[0:1]
	s_xor_b64 s[0:1], exec, s[4:5]
	s_cbranch_execz .LBB24_53
; %bb.1:
	v_mov_b32_e32 v2, 25
	v_cmp_gt_i16_sdwa s[6:7], v4, v2 src0_sel:BYTE_0 src1_sel:DWORD
	s_mov_b64 s[8:9], 0
	s_mov_b64 s[4:5], 0
                                        ; implicit-def: $vgpr5
	s_and_saveexec_b64 s[10:11], s[6:7]
	s_xor_b64 s[6:7], exec, s[10:11]
	s_cbranch_execz .LBB24_96
; %bb.2:
	v_mov_b32_e32 v2, 28
	v_cmp_gt_i16_sdwa s[4:5], v4, v2 src0_sel:BYTE_0 src1_sel:DWORD
	s_mov_b64 s[10:11], 0
                                        ; implicit-def: $vgpr5
	s_and_saveexec_b64 s[12:13], s[4:5]
	s_xor_b64 s[4:5], exec, s[12:13]
	s_cbranch_execz .LBB24_18
; %bb.3:
	v_mov_b32_e32 v2, 43
	v_cmp_gt_i16_sdwa s[8:9], v4, v2 src0_sel:BYTE_0 src1_sel:DWORD
	s_mov_b64 s[12:13], 0
	s_mov_b64 s[14:15], 0
                                        ; implicit-def: $vgpr5
	s_and_saveexec_b64 s[10:11], s[8:9]
	s_xor_b64 s[8:9], exec, s[10:11]
	s_cbranch_execz .LBB24_13
; %bb.4:
	v_mov_b32_e32 v2, 45
	v_cmp_gt_i16_sdwa s[14:15], v4, v2 src0_sel:BYTE_0 src1_sel:DWORD
	s_mov_b64 s[10:11], 0
                                        ; implicit-def: $vgpr5
	s_and_saveexec_b64 s[16:17], s[14:15]
	s_xor_b64 s[14:15], exec, s[16:17]
	s_cbranch_execz .LBB24_8
; %bb.5:
	v_mov_b32_e32 v2, 46
	v_cmp_eq_u16_sdwa s[18:19], v4, v2 src0_sel:BYTE_0 src1_sel:DWORD
	s_mov_b64 s[16:17], -1
                                        ; implicit-def: $vgpr5
	s_and_saveexec_b64 s[12:13], s[18:19]
	s_cbranch_execz .LBB24_7
; %bb.6:
	flat_load_dword v2, v[0:1]
	s_mov_b64 s[10:11], exec
	s_xor_b64 s[16:17], exec, -1
	s_waitcnt vmcnt(0) lgkmcnt(0)
	v_lshlrev_b32_e32 v5, 16, v2
.LBB24_7:
	s_or_b64 exec, exec, s[12:13]
	s_and_b64 s[12:13], s[10:11], exec
	s_and_b64 s[10:11], s[16:17], exec
                                        ; implicit-def: $vgpr4
.LBB24_8:
	s_andn2_saveexec_b64 s[14:15], s[14:15]
	s_cbranch_execz .LBB24_12
; %bb.9:
	v_mov_b32_e32 v2, 44
	v_cmp_eq_u16_sdwa s[22:23], v4, v2 src0_sel:BYTE_0 src1_sel:DWORD
	s_mov_b64 s[20:21], -1
	s_mov_b64 s[18:19], s[12:13]
                                        ; implicit-def: $vgpr5
	s_and_saveexec_b64 s[16:17], s[22:23]
	s_cbranch_execz .LBB24_11
; %bb.10:
	flat_load_ubyte v2, v[0:1]
	s_movk_i32 s20, 0xff
	v_mov_b32_e32 v3, 0x7f800001
	v_mov_b32_e32 v4, 0x400000
	s_or_b64 s[18:19], s[12:13], exec
	s_waitcnt vmcnt(0) lgkmcnt(0)
	v_lshlrev_b32_e32 v5, 23, v2
	v_cmp_ne_u32_e32 vcc, s20, v2
	s_xor_b64 s[20:21], exec, -1
	s_nop 0
	v_cndmask_b32_e32 v3, v3, v5, vcc
	v_cmp_ne_u32_e32 vcc, 0, v2
	s_nop 1
	v_cndmask_b32_e32 v5, v4, v3, vcc
.LBB24_11:
	s_or_b64 exec, exec, s[16:17]
	s_andn2_b64 s[12:13], s[12:13], exec
	s_and_b64 s[16:17], s[18:19], exec
	s_or_b64 s[12:13], s[12:13], s[16:17]
	s_andn2_b64 s[10:11], s[10:11], exec
	s_and_b64 s[16:17], s[20:21], exec
	s_or_b64 s[10:11], s[10:11], s[16:17]
.LBB24_12:
	s_or_b64 exec, exec, s[14:15]
	s_and_b64 s[14:15], s[12:13], exec
	s_and_b64 s[12:13], s[10:11], exec
                                        ; implicit-def: $vgpr4
.LBB24_13:
	s_andn2_saveexec_b64 s[8:9], s[8:9]
	s_cbranch_execz .LBB24_17
; %bb.14:
	v_mov_b32_e32 v2, 29
	v_cmp_eq_u16_sdwa s[20:21], v4, v2 src0_sel:BYTE_0 src1_sel:DWORD
	s_mov_b64 s[16:17], -1
	s_mov_b64 s[18:19], s[14:15]
                                        ; implicit-def: $vgpr5
	s_and_saveexec_b64 s[10:11], s[20:21]
	s_cbranch_execz .LBB24_16
; %bb.15:
	flat_load_dwordx2 v[2:3], v[0:1]
	s_or_b64 s[18:19], s[14:15], exec
	s_xor_b64 s[16:17], exec, -1
	s_waitcnt vmcnt(0) lgkmcnt(0)
	v_ffbh_u32_e32 v4, v3
	v_min_u32_e32 v4, 32, v4
	v_lshlrev_b64 v[2:3], v4, v[2:3]
	v_min_u32_e32 v2, 1, v2
	v_or_b32_e32 v2, v3, v2
	v_cvt_f32_u32_e32 v2, v2
	v_sub_u32_e32 v3, 32, v4
	v_ldexp_f32 v5, v2, v3
.LBB24_16:
	s_or_b64 exec, exec, s[10:11]
	s_andn2_b64 s[10:11], s[14:15], exec
	s_and_b64 s[14:15], s[18:19], exec
	s_or_b64 s[14:15], s[10:11], s[14:15]
	s_andn2_b64 s[10:11], s[12:13], exec
	s_and_b64 s[12:13], s[16:17], exec
	s_or_b64 s[12:13], s[10:11], s[12:13]
.LBB24_17:
	s_or_b64 exec, exec, s[8:9]
	s_and_b64 s[10:11], s[14:15], exec
	s_and_b64 s[8:9], s[12:13], exec
                                        ; implicit-def: $vgpr4
.LBB24_18:
	s_andn2_saveexec_b64 s[4:5], s[4:5]
	s_cbranch_execz .LBB24_34
; %bb.19:
	v_mov_b32_e32 v2, 26
	v_cmp_gt_i16_sdwa s[12:13], v4, v2 src0_sel:BYTE_0 src1_sel:DWORD
                                        ; implicit-def: $vgpr5
	s_and_saveexec_b64 s[14:15], s[12:13]
	s_xor_b64 s[12:13], exec, s[14:15]
	s_cbranch_execz .LBB24_25
; %bb.20:
	v_mov_b32_e32 v2, 27
	v_cmp_gt_i16_sdwa s[14:15], v4, v2 src0_sel:BYTE_0 src1_sel:DWORD
                                        ; implicit-def: $vgpr5
	s_and_saveexec_b64 s[16:17], s[14:15]
	s_xor_b64 s[14:15], exec, s[16:17]
	s_cbranch_execz .LBB24_22
; %bb.21:
	flat_load_dword v2, v[0:1]
	s_waitcnt vmcnt(0) lgkmcnt(0)
	v_cvt_f32_u32_e32 v5, v2
.LBB24_22:
	s_andn2_saveexec_b64 s[14:15], s[14:15]
	s_cbranch_execz .LBB24_24
; %bb.23:
	flat_load_ushort v2, v[0:1]
	s_waitcnt vmcnt(0) lgkmcnt(0)
	v_cvt_f32_u32_e32 v5, v2
.LBB24_24:
	s_or_b64 exec, exec, s[14:15]
.LBB24_25:
	s_andn2_saveexec_b64 s[12:13], s[12:13]
	s_cbranch_execz .LBB24_33
; %bb.26:
	flat_load_ubyte v2, v[0:1]
	s_movk_i32 s14, 0x7f
                                        ; implicit-def: $sgpr20
	s_waitcnt vmcnt(0) lgkmcnt(0)
	v_cmp_lt_i16_e32 vcc, s14, v2
	s_mov_b64 s[14:15], 0
	s_and_saveexec_b64 s[16:17], vcc
	s_xor_b64 s[16:17], exec, s[16:17]
	s_cbranch_execz .LBB24_131
; %bb.27:
	s_movk_i32 s14, 0x80
	v_cmp_eq_u16_e32 vcc, s14, v2
	s_mov_b64 s[14:15], -1
                                        ; implicit-def: $sgpr20
	s_and_saveexec_b64 s[18:19], vcc
; %bb.28:
	s_mov_b32 s20, 0x7f800001
	s_xor_b64 s[14:15], exec, -1
; %bb.29:
	s_or_b64 exec, exec, s[18:19]
	s_and_b64 s[14:15], s[14:15], exec
	s_or_saveexec_b64 s[16:17], s[16:17]
	v_mov_b32_e32 v5, s20
	s_xor_b64 exec, exec, s[16:17]
	s_cbranch_execnz .LBB24_132
.LBB24_30:
	s_or_b64 exec, exec, s[16:17]
	s_and_saveexec_b64 s[16:17], s[14:15]
	s_cbranch_execz .LBB24_32
.LBB24_31:
	v_lshlrev_b32_e32 v3, 24, v2
	v_and_b32_e32 v2, 0xffff, v2
	v_and_b32_e32 v4, 7, v2
	v_ffbh_u32_e32 v6, v4
	v_min_u32_e32 v6, 32, v6
	v_subrev_u32_e32 v7, 28, v6
	v_bfe_u32 v5, v2, 3, 4
	v_lshlrev_b32_e32 v2, v7, v2
	v_sub_u32_e32 v6, 29, v6
	v_and_b32_e32 v2, 7, v2
	v_cmp_eq_u32_e32 vcc, 0, v5
	v_and_b32_e32 v3, 0x80000000, v3
	s_nop 0
	v_cndmask_b32_e32 v5, v5, v6, vcc
	v_cndmask_b32_e32 v2, v4, v2, vcc
	v_mov_b32_e32 v4, 0x3b800000
	v_lshlrev_b32_e32 v2, 20, v2
	v_lshl_add_u32 v4, v5, 23, v4
	v_or3_b32 v5, v3, v4, v2
.LBB24_32:
	s_or_b64 exec, exec, s[16:17]
.LBB24_33:
	s_or_b64 exec, exec, s[12:13]
	s_or_b64 s[10:11], s[10:11], exec
.LBB24_34:
	s_or_b64 exec, exec, s[4:5]
	s_and_b64 s[4:5], s[10:11], exec
	s_and_b64 s[8:9], s[8:9], exec
                                        ; implicit-def: $vgpr4
	s_andn2_saveexec_b64 s[6:7], s[6:7]
	s_cbranch_execnz .LBB24_97
.LBB24_35:
	s_or_b64 exec, exec, s[6:7]
	s_and_saveexec_b64 s[6:7], s[8:9]
	s_cbranch_execnz .LBB24_122
.LBB24_36:
	s_or_b64 exec, exec, s[6:7]
	s_and_saveexec_b64 s[6:7], s[2:3]
	s_xor_b64 s[2:3], exec, s[6:7]
	s_cbranch_execz .LBB24_38
.LBB24_37:
	flat_load_ubyte v0, v[0:1]
	s_or_b64 s[4:5], s[4:5], exec
	s_waitcnt vmcnt(0) lgkmcnt(0)
	v_cmp_ne_u16_e32 vcc, 0, v0
	s_nop 1
	v_cndmask_b32_e64 v5, 0, 1.0, vcc
.LBB24_38:
	s_or_b64 exec, exec, s[2:3]
	s_and_b64 s[2:3], s[4:5], exec
                                        ; implicit-def: $vgpr4
                                        ; implicit-def: $vgpr0_vgpr1
	s_andn2_saveexec_b64 s[0:1], s[0:1]
	s_cbranch_execnz .LBB24_54
.LBB24_39:
	s_or_b64 exec, exec, s[0:1]
                                        ; implicit-def: $vgpr0
	s_and_saveexec_b64 s[6:7], s[2:3]
	s_cbranch_execz .LBB24_95
.LBB24_40:
	s_mov_b32 s0, 0x40a00000
	s_waitcnt vmcnt(0) lgkmcnt(0)
	v_cmp_ge_f32_e32 vcc, s0, v5
                                        ; implicit-def: $vgpr0
	s_and_saveexec_b64 s[0:1], vcc
	s_xor_b64 s[2:3], exec, s[0:1]
	s_cbranch_execz .LBB24_50
; %bb.41:
	v_cmp_neq_f32_e32 vcc, 0, v5
	v_mov_b32_e32 v0, 0xff800000
	s_and_saveexec_b64 s[4:5], vcc
	s_cbranch_execz .LBB24_49
; %bb.42:
	v_cmp_ngt_f32_e32 vcc, 0, v5
	v_mov_b32_e32 v0, 0x7fc00000
	s_and_saveexec_b64 s[8:9], vcc
	s_cbranch_execz .LBB24_48
; %bb.43:
	v_mul_f32_e32 v0, v5, v5
	s_mov_b32 s0, 0x3727c5ac
	v_mul_f32_e32 v2, 0, v0
	v_cmp_ngt_f32_e32 vcc, s0, v5
                                        ; implicit-def: $vgpr1
	s_and_saveexec_b64 s[0:1], vcc
	s_xor_b64 s[0:1], exec, s[0:1]
	s_cbranch_execz .LBB24_45
; %bb.44:
	v_add_f32_e32 v1, 0x43f9c815, v2
	v_fmaak_f32 v1, v0, v1, 0x4829b65a
	v_fmaak_f32 v1, v0, v1, 0x4c38c9a1
	;; [unrolled: 1-line block ×3, first 2 shown]
	s_mov_b32 s10, 0xcf8ee29d
	v_mul_f32_e32 v3, v0, v1
	s_mov_b32 s11, 0x53f5f59c
	v_pk_add_f32 v[6:7], v[2:3], s[10:11]
	s_mov_b32 s10, 0x53e3ba8e
	s_mov_b32 s11, 0x578d3514
	v_pk_fma_f32 v[6:7], v[0:1], v[6:7], s[10:11] op_sel_hi:[0,1,1]
	s_mov_b32 s10, 0xd762b0a7
	s_mov_b32 s11, 0x5ae20a0c
	v_pk_fma_f32 v[6:7], v[0:1], v[6:7], s[10:11] op_sel_hi:[0,1,1]
	;; [unrolled: 3-line block ×3, first 2 shown]
	s_mov_b32 s10, 0xc0b90fdc
	s_mov_b32 s11, 0xc1f3c525
	v_pk_add_f32 v[8:9], v[0:1], s[10:11] op_sel_hi:[0,1]
	v_mul_f32_e32 v1, v8, v9
	v_mul_f32_e32 v1, v1, v6
	v_div_scale_f32 v3, s[10:11], v7, v7, v1
	v_rcp_f32_e32 v4, v3
	s_nop 0
	v_fma_f32 v6, -v3, v4, 1.0
	v_fmac_f32_e32 v4, v6, v4
	v_div_scale_f32 v6, vcc, v1, v7, v1
	v_mul_f32_e32 v8, v6, v4
	v_fma_f32 v9, -v3, v8, v6
	v_fmac_f32_e32 v8, v9, v4
	v_fma_f32 v3, -v3, v8, v6
	v_div_fmas_f32 v3, v3, v4, v8
	v_div_fixup_f32 v1, v3, v7, v1
.LBB24_45:
	s_andn2_saveexec_b64 s[0:1], s[0:1]
; %bb.46:
	v_mov_b32_e32 v1, 1.0
	v_fmamk_f32 v1, v0, 0xbe800000, v1
; %bb.47:
	s_or_b64 exec, exec, s[0:1]
	v_add_f32_e32 v3, 0x4673a1bf, v2
	v_fmaak_f32 v3, v0, v3, 0xcb5fc0fa
	v_add_f32_e32 v2, 0x44822913, v2
	v_fmaak_f32 v3, v0, v3, 0x4fa1fbc8
	v_fmaak_f32 v2, v0, v2, 0x4918dbb5
	;; [unrolled: 1-line block ×12, first 2 shown]
	v_div_scale_f32 v3, s[0:1], v2, v2, v0
	v_rcp_f32_e32 v4, v3
	s_mov_b32 s0, 0x800000
	v_cmp_gt_f32_e64 s[0:1], s0, v5
	s_mov_b32 s10, 0x3f317217
	v_fma_f32 v6, -v3, v4, 1.0
	v_fmac_f32_e32 v4, v6, v4
	v_div_scale_f32 v6, vcc, v0, v2, v0
	v_mul_f32_e32 v7, v6, v4
	v_fma_f32 v8, -v3, v7, v6
	v_fmac_f32_e32 v7, v8, v4
	v_fma_f32 v3, -v3, v7, v6
	v_mov_b32_e32 v6, 0x4f800000
	v_cndmask_b32_e64 v6, 1.0, v6, s[0:1]
	v_mul_f32_e32 v5, v5, v6
	v_log_f32_e32 v5, v5
	v_div_fmas_f32 v3, v3, v4, v7
	v_div_fixup_f32 v0, v3, v2, v0
	v_mul_f32_e32 v2, 0x3f317217, v5
	v_fma_f32 v3, v5, s10, -v2
	v_fmamk_f32 v3, v5, 0x3377d1cf, v3
	s_mov_b32 s10, 0x7f800000
	v_add_f32_e32 v2, v2, v3
	v_cmp_lt_f32_e64 vcc, |v5|, s10
	v_mov_b32_e32 v3, 0x41b17218
	v_cndmask_b32_e64 v3, 0, v3, s[0:1]
	v_cndmask_b32_e32 v2, v5, v2, vcc
	v_sub_f32_e32 v2, v2, v3
	v_mul_f32_e32 v2, 0x3f22f983, v2
	v_fmac_f32_e32 v0, v2, v1
.LBB24_48:
	s_or_b64 exec, exec, s[8:9]
.LBB24_49:
	s_or_b64 exec, exec, s[4:5]
                                        ; implicit-def: $vgpr5
.LBB24_50:
	s_andn2_saveexec_b64 s[8:9], s[2:3]
	s_cbranch_execz .LBB24_130
; %bb.51:
	v_add_f32_e32 v0, 0xbf490fdb, v5
	v_and_b32_e32 v1, 0x7fffffff, v0
	s_brev_b32 s0, 18
	v_cmp_nlt_f32_e64 s[10:11], |v0|, s0
	v_lshrrev_b32_e32 v7, 23, v1
                                        ; implicit-def: $vgpr2
                                        ; implicit-def: $vgpr3
	s_and_saveexec_b64 s[0:1], s[10:11]
	s_xor_b64 s[12:13], exec, s[0:1]
	s_cbranch_execz .LBB24_123
; %bb.52:
	v_add_u32_e32 v2, 0xffffff88, v7
	v_not_b32_e32 v4, 63
	v_cmp_lt_u32_e32 vcc, 63, v2
	s_mov_b32 s4, 0xfe5163ab
	v_mov_b32_e32 v3, 0
	v_cndmask_b32_e32 v4, 0, v4, vcc
	v_add_u32_e32 v2, v4, v2
	v_not_b32_e32 v4, 31
	v_cmp_lt_u32_e64 s[0:1], 31, v2
	s_nop 1
	v_cndmask_b32_e64 v6, 0, v4, s[0:1]
	v_add_u32_e32 v2, v6, v2
	v_cmp_lt_u32_e64 s[2:3], 31, v2
	s_nop 1
	v_cndmask_b32_e64 v4, 0, v4, s[2:3]
	v_add_u32_e32 v4, v4, v2
	v_and_b32_e32 v2, 0x7fffff, v1
	v_or_b32_e32 v6, 0x800000, v2
	v_mad_u64_u32 v[8:9], s[4:5], v6, s4, 0
	v_mov_b32_e32 v2, v9
	s_mov_b32 s4, 0x3c439041
	v_mad_u64_u32 v[10:11], s[4:5], v6, s4, v[2:3]
	v_mov_b32_e32 v2, v11
	s_mov_b32 s4, 0xdb629599
	;; [unrolled: 3-line block ×6, first 2 shown]
	v_mad_u64_u32 v[2:3], s[4:5], v6, s4, v[2:3]
	v_cndmask_b32_e32 v9, v18, v14, vcc
	v_cndmask_b32_e32 v2, v2, v16, vcc
	;; [unrolled: 1-line block ×3, first 2 shown]
	v_cndmask_b32_e64 v6, v2, v9, s[0:1]
	v_cndmask_b32_e64 v2, v3, v2, s[0:1]
	v_cndmask_b32_e32 v3, v16, v12, vcc
	v_cndmask_b32_e64 v9, v9, v3, s[0:1]
	v_sub_u32_e32 v11, 32, v4
	v_cmp_eq_u32_e64 s[4:5], 0, v4
	v_cndmask_b32_e32 v4, v14, v10, vcc
	v_cndmask_b32_e64 v2, v2, v6, s[2:3]
	v_cndmask_b32_e64 v6, v6, v9, s[2:3]
	;; [unrolled: 1-line block ×3, first 2 shown]
	v_alignbit_b32 v13, v2, v6, v11
	v_cndmask_b32_e64 v9, v9, v3, s[2:3]
	v_cndmask_b32_e64 v2, v13, v2, s[4:5]
	v_alignbit_b32 v10, v6, v9, v11
	v_cndmask_b32_e64 v6, v10, v6, s[4:5]
	v_bfe_u32 v14, v2, 29, 1
	v_cndmask_b32_e32 v8, v12, v8, vcc
	v_alignbit_b32 v10, v2, v6, 30
	v_sub_u32_e32 v15, 0, v14
	v_cndmask_b32_e64 v4, v4, v8, s[0:1]
	v_xor_b32_e32 v16, v10, v15
	v_cndmask_b32_e64 v3, v3, v4, s[2:3]
	v_alignbit_b32 v4, v9, v3, v11
	v_ffbh_u32_e32 v8, v16
	v_cndmask_b32_e64 v4, v4, v9, s[4:5]
	v_add_u32_e32 v8, 1, v8
	v_cmp_ne_u32_e32 vcc, v10, v15
	v_alignbit_b32 v6, v6, v4, 30
	v_alignbit_b32 v3, v4, v3, 30
	v_cndmask_b32_e32 v8, 33, v8, vcc
	v_xor_b32_e32 v6, v6, v15
	v_sub_u32_e32 v9, 32, v8
	v_xor_b32_e32 v3, v3, v15
	v_alignbit_b32 v10, v16, v6, v9
	v_alignbit_b32 v3, v6, v3, v9
	;; [unrolled: 1-line block ×3, first 2 shown]
	v_ffbh_u32_e32 v6, v4
	v_min_u32_e32 v6, 32, v6
	v_lshrrev_b32_e32 v13, 29, v2
	v_sub_u32_e32 v9, 31, v6
	v_alignbit_b32 v3, v4, v3, v9
	v_lshlrev_b32_e32 v4, 31, v13
	v_or_b32_e32 v9, 0x33800000, v4
	v_add_lshl_u32 v6, v6, v8, 23
	v_lshrrev_b32_e32 v3, 9, v3
	v_sub_u32_e32 v6, v9, v6
	v_or_b32_e32 v3, v6, v3
	v_alignbit_b32 v6, v8, v10, 9
	v_or_b32_e32 v4, v6, v4
	v_xor_b32_e32 v4, 1.0, v4
	s_mov_b32 s0, 0x3fc90fda
	v_mul_f32_e32 v6, 0x3fc90fda, v4
	v_fma_f32 v8, v4, s0, -v6
	v_fmamk_f32 v4, v4, 0x33a22168, v8
	v_fmac_f32_e32 v4, 0x3fc90fda, v3
	v_lshrrev_b32_e32 v2, 30, v2
	v_add_f32_e32 v3, v6, v4
	v_add_u32_e32 v2, v14, v2
	s_andn2_saveexec_b64 s[0:1], s[12:13]
	s_branch .LBB24_124
.LBB24_53:
	s_andn2_saveexec_b64 s[0:1], s[0:1]
	s_cbranch_execz .LBB24_39
.LBB24_54:
	v_mov_b32_e32 v2, 4
	v_cmp_gt_i16_sdwa s[4:5], v4, v2 src0_sel:BYTE_0 src1_sel:DWORD
                                        ; implicit-def: $vgpr5
	s_and_saveexec_b64 s[6:7], s[4:5]
	s_xor_b64 s[4:5], exec, s[6:7]
	s_cbranch_execz .LBB24_76
; %bb.55:
	v_mov_b32_e32 v2, 7
	v_cmp_gt_i16_sdwa s[6:7], v4, v2 src0_sel:BYTE_0 src1_sel:DWORD
                                        ; implicit-def: $vgpr5
	s_and_saveexec_b64 s[8:9], s[6:7]
	s_xor_b64 s[6:7], exec, s[8:9]
	s_cbranch_execz .LBB24_65
; %bb.56:
	;; [unrolled: 7-line block ×4, first 2 shown]
	flat_load_dwordx2 v[0:1], v[0:1]
	s_waitcnt vmcnt(0) lgkmcnt(0)
	v_cvt_f32_f64_e32 v5, v[0:1]
                                        ; implicit-def: $vgpr0_vgpr1
.LBB24_59:
	s_andn2_saveexec_b64 s[10:11], s[10:11]
	s_cbranch_execz .LBB24_61
; %bb.60:
	flat_load_dword v5, v[0:1]
.LBB24_61:
	s_or_b64 exec, exec, s[10:11]
                                        ; implicit-def: $vgpr0_vgpr1
.LBB24_62:
	s_andn2_saveexec_b64 s[8:9], s[8:9]
	s_cbranch_execz .LBB24_64
; %bb.63:
	flat_load_dword v0, v[0:1]
	s_waitcnt vmcnt(0) lgkmcnt(0)
	v_cvt_f32_f16_e32 v5, v0
.LBB24_64:
	s_or_b64 exec, exec, s[8:9]
                                        ; implicit-def: $vgpr0_vgpr1
                                        ; implicit-def: $vgpr4
.LBB24_65:
	s_andn2_saveexec_b64 s[6:7], s[6:7]
	s_cbranch_execz .LBB24_75
; %bb.66:
	v_mov_b32_e32 v2, 5
	v_cmp_gt_i16_sdwa s[8:9], v4, v2 src0_sel:BYTE_0 src1_sel:DWORD
                                        ; implicit-def: $vgpr5
	s_and_saveexec_b64 s[10:11], s[8:9]
	s_xor_b64 s[8:9], exec, s[10:11]
	s_cbranch_execz .LBB24_72
; %bb.67:
	v_mov_b32_e32 v2, 6
	v_cmp_gt_i16_sdwa s[10:11], v4, v2 src0_sel:BYTE_0 src1_sel:DWORD
                                        ; implicit-def: $vgpr5
	s_and_saveexec_b64 s[12:13], s[10:11]
	s_xor_b64 s[10:11], exec, s[12:13]
	s_cbranch_execz .LBB24_69
; %bb.68:
	flat_load_dwordx2 v[0:1], v[0:1]
	s_waitcnt vmcnt(0) lgkmcnt(0)
	v_cvt_f32_f64_e32 v5, v[0:1]
                                        ; implicit-def: $vgpr0_vgpr1
.LBB24_69:
	s_andn2_saveexec_b64 s[10:11], s[10:11]
	s_cbranch_execz .LBB24_71
; %bb.70:
	s_waitcnt vmcnt(0) lgkmcnt(0)
	flat_load_dword v5, v[0:1]
.LBB24_71:
	s_or_b64 exec, exec, s[10:11]
                                        ; implicit-def: $vgpr0_vgpr1
.LBB24_72:
	s_andn2_saveexec_b64 s[8:9], s[8:9]
	s_cbranch_execz .LBB24_74
; %bb.73:
	flat_load_ushort v0, v[0:1]
	s_waitcnt vmcnt(0) lgkmcnt(0)
	v_cvt_f32_f16_e32 v5, v0
.LBB24_74:
	s_or_b64 exec, exec, s[8:9]
.LBB24_75:
	s_or_b64 exec, exec, s[6:7]
                                        ; implicit-def: $vgpr4
                                        ; implicit-def: $vgpr0_vgpr1
.LBB24_76:
	s_andn2_saveexec_b64 s[4:5], s[4:5]
	s_cbranch_execz .LBB24_94
; %bb.77:
	v_mov_b32_e32 v2, 1
	v_cmp_gt_i16_sdwa s[6:7], v4, v2 src0_sel:BYTE_0 src1_sel:DWORD
                                        ; implicit-def: $vgpr5
	s_and_saveexec_b64 s[8:9], s[6:7]
	s_xor_b64 s[6:7], exec, s[8:9]
	s_cbranch_execz .LBB24_87
; %bb.78:
	v_mov_b32_e32 v2, 2
	v_cmp_gt_i16_sdwa s[8:9], v4, v2 src0_sel:BYTE_0 src1_sel:DWORD
                                        ; implicit-def: $vgpr5
	s_and_saveexec_b64 s[10:11], s[8:9]
	s_xor_b64 s[8:9], exec, s[10:11]
	;; [unrolled: 7-line block ×3, first 2 shown]
	s_cbranch_execz .LBB24_81
; %bb.80:
	flat_load_dwordx2 v[0:1], v[0:1]
	s_waitcnt vmcnt(0) lgkmcnt(0)
	v_xor_b32_e32 v3, v0, v1
	v_ffbh_i32_e32 v2, v1
	v_ashrrev_i32_e32 v3, 31, v3
	v_add_u32_e32 v2, -1, v2
	v_add_u32_e32 v3, 32, v3
	v_min_u32_e32 v2, v2, v3
	v_lshlrev_b64 v[0:1], v2, v[0:1]
	v_min_u32_e32 v0, 1, v0
	v_or_b32_e32 v0, v1, v0
	v_cvt_f32_i32_e32 v0, v0
	v_sub_u32_e32 v1, 32, v2
	v_ldexp_f32 v5, v0, v1
                                        ; implicit-def: $vgpr0_vgpr1
.LBB24_81:
	s_andn2_saveexec_b64 s[10:11], s[10:11]
	s_cbranch_execz .LBB24_83
; %bb.82:
	flat_load_dword v0, v[0:1]
	s_waitcnt vmcnt(0) lgkmcnt(0)
	v_cvt_f32_i32_e32 v5, v0
.LBB24_83:
	s_or_b64 exec, exec, s[10:11]
                                        ; implicit-def: $vgpr0_vgpr1
.LBB24_84:
	s_andn2_saveexec_b64 s[8:9], s[8:9]
	s_cbranch_execz .LBB24_86
; %bb.85:
	flat_load_sshort v0, v[0:1]
	s_waitcnt vmcnt(0) lgkmcnt(0)
	v_cvt_f32_i32_e32 v5, v0
.LBB24_86:
	s_or_b64 exec, exec, s[8:9]
                                        ; implicit-def: $vgpr0_vgpr1
                                        ; implicit-def: $vgpr4
.LBB24_87:
	s_andn2_saveexec_b64 s[6:7], s[6:7]
	s_cbranch_execz .LBB24_93
; %bb.88:
	v_mov_b32_e32 v2, 0
	v_cmp_gt_i16_sdwa s[8:9], v4, v2 src0_sel:BYTE_0 src1_sel:DWORD
                                        ; implicit-def: $vgpr5
	s_and_saveexec_b64 s[10:11], s[8:9]
	s_xor_b64 s[8:9], exec, s[10:11]
	s_cbranch_execz .LBB24_90
; %bb.89:
	flat_load_sbyte v0, v[0:1]
	s_waitcnt vmcnt(0) lgkmcnt(0)
	v_cvt_f32_i32_e32 v5, v0
                                        ; implicit-def: $vgpr0_vgpr1
.LBB24_90:
	s_andn2_saveexec_b64 s[8:9], s[8:9]
	s_cbranch_execz .LBB24_92
; %bb.91:
	flat_load_ubyte v0, v[0:1]
	s_waitcnt vmcnt(0) lgkmcnt(0)
	v_cvt_f32_ubyte0_e32 v5, v0
.LBB24_92:
	s_or_b64 exec, exec, s[8:9]
.LBB24_93:
	s_or_b64 exec, exec, s[6:7]
.LBB24_94:
	s_or_b64 exec, exec, s[4:5]
	s_or_b64 s[2:3], s[2:3], exec
	s_or_b64 exec, exec, s[0:1]
                                        ; implicit-def: $vgpr0
	s_and_saveexec_b64 s[6:7], s[2:3]
	s_cbranch_execnz .LBB24_40
.LBB24_95:
	s_or_b64 exec, exec, s[6:7]
	s_waitcnt vmcnt(0) lgkmcnt(0)
	s_setpc_b64 s[30:31]
.LBB24_96:
	s_andn2_saveexec_b64 s[6:7], s[6:7]
	s_cbranch_execz .LBB24_35
.LBB24_97:
	v_mov_b32_e32 v2, 22
	v_cmp_gt_i16_sdwa s[2:3], v4, v2 src0_sel:BYTE_0 src1_sel:DWORD
	s_mov_b64 s[10:11], s[4:5]
                                        ; implicit-def: $vgpr5
	s_and_saveexec_b64 s[12:13], s[2:3]
	s_xor_b64 s[2:3], exec, s[12:13]
	s_cbranch_execz .LBB24_113
; %bb.98:
	v_mov_b32_e32 v2, 23
	v_cmp_gt_i16_sdwa s[10:11], v4, v2 src0_sel:BYTE_0 src1_sel:DWORD
                                        ; implicit-def: $vgpr5
	s_and_saveexec_b64 s[12:13], s[10:11]
	s_xor_b64 s[10:11], exec, s[12:13]
	s_cbranch_execz .LBB24_110
; %bb.99:
	v_mov_b32_e32 v2, 24
	v_cmp_gt_i16_sdwa s[12:13], v4, v2 src0_sel:BYTE_0 src1_sel:DWORD
                                        ; implicit-def: $vgpr5
	s_and_saveexec_b64 s[14:15], s[12:13]
	s_xor_b64 s[12:13], exec, s[14:15]
	s_cbranch_execz .LBB24_107
; %bb.100:
	flat_load_ubyte v2, v[0:1]
	s_movk_i32 s14, 0x7f
                                        ; implicit-def: $sgpr20
	s_waitcnt vmcnt(0) lgkmcnt(0)
	v_cmp_lt_i16_e32 vcc, s14, v2
	s_mov_b64 s[14:15], 0
	s_and_saveexec_b64 s[16:17], vcc
	s_xor_b64 s[16:17], exec, s[16:17]
	s_cbranch_execz .LBB24_133
; %bb.101:
	s_movk_i32 s14, 0x80
	v_cmp_eq_u16_e32 vcc, s14, v2
	s_mov_b64 s[14:15], -1
                                        ; implicit-def: $sgpr20
	s_and_saveexec_b64 s[18:19], vcc
; %bb.102:
	s_mov_b32 s20, 0x7f800001
	s_xor_b64 s[14:15], exec, -1
; %bb.103:
	s_or_b64 exec, exec, s[18:19]
	s_and_b64 s[14:15], s[14:15], exec
	s_or_saveexec_b64 s[16:17], s[16:17]
	v_mov_b32_e32 v5, s20
	s_xor_b64 exec, exec, s[16:17]
	s_cbranch_execnz .LBB24_134
.LBB24_104:
	s_or_b64 exec, exec, s[16:17]
	s_and_saveexec_b64 s[16:17], s[14:15]
	s_cbranch_execz .LBB24_106
.LBB24_105:
	v_lshlrev_b32_e32 v3, 24, v2
	v_and_b32_e32 v2, 0xffff, v2
	v_and_b32_e32 v4, 3, v2
	v_ffbh_u32_e32 v6, v4
	v_min_u32_e32 v6, 32, v6
	v_subrev_u32_e32 v7, 29, v6
	v_bfe_u32 v5, v2, 2, 5
	v_lshlrev_b32_e32 v2, v7, v2
	v_sub_u32_e32 v6, 30, v6
	v_and_b32_e32 v2, 3, v2
	v_cmp_eq_u32_e32 vcc, 0, v5
	v_and_b32_e32 v3, 0x80000000, v3
	s_nop 0
	v_cndmask_b32_e32 v5, v5, v6, vcc
	v_cndmask_b32_e32 v2, v4, v2, vcc
	v_mov_b32_e32 v4, 0x37800000
	v_lshlrev_b32_e32 v2, 21, v2
	v_lshl_add_u32 v4, v5, 23, v4
	v_or3_b32 v5, v3, v4, v2
.LBB24_106:
	s_or_b64 exec, exec, s[16:17]
.LBB24_107:
	s_andn2_saveexec_b64 s[12:13], s[12:13]
	s_cbranch_execz .LBB24_109
; %bb.108:
	flat_load_ubyte v2, v[0:1]
	s_mov_b32 s14, 0x7f800000
	s_waitcnt vmcnt(0) lgkmcnt(0)
	v_lshlrev_b32_e32 v2, 24, v2
	v_and_b32_e32 v3, 0x7f000000, v2
	v_ffbh_u32_e32 v4, v3
	v_min_u32_e32 v4, 32, v4
	v_sub_u32_e64 v4, v4, 4 clamp
	v_lshlrev_b32_e32 v6, v4, v3
	v_lshlrev_b32_e32 v4, 23, v4
	v_lshrrev_b32_e32 v6, 4, v6
	v_add_u32_e32 v5, 0x1000000, v3
	v_sub_u32_e32 v4, v6, v4
	v_ashrrev_i32_e32 v5, 8, v5
	v_add_u32_e32 v4, 0x3c000000, v4
	v_and_or_b32 v4, v5, s14, v4
	v_cmp_ne_u32_e32 vcc, 0, v3
	s_brev_b32 s14, 1
	s_nop 0
	v_cndmask_b32_e32 v3, 0, v4, vcc
	v_and_or_b32 v5, v2, s14, v3
.LBB24_109:
	s_or_b64 exec, exec, s[12:13]
.LBB24_110:
	s_andn2_saveexec_b64 s[10:11], s[10:11]
	s_cbranch_execz .LBB24_112
; %bb.111:
	flat_load_ubyte v2, v[0:1]
	s_movk_i32 s12, 0x7f00
	s_brev_b32 s13, 16
	s_waitcnt vmcnt(0) lgkmcnt(0)
	v_lshlrev_b16_e32 v3, 8, v2
	v_lshlrev_b32_e32 v2, 25, v2
	v_lshrrev_b32_e32 v4, 4, v2
	v_and_or_b32 v5, v3, s12, 0.5
	v_or_b32_e32 v4, 0x70000000, v4
	v_add_f32_e32 v5, -0.5, v5
	v_mul_f32_e32 v4, 0x7800000, v4
	v_cmp_gt_u32_e32 vcc, s13, v2
	v_bfe_i32 v3, v3, 0, 16
	s_brev_b32 s12, 1
	v_cndmask_b32_e32 v2, v4, v5, vcc
	v_and_or_b32 v5, v3, s12, v2
.LBB24_112:
	s_or_b64 exec, exec, s[10:11]
	s_or_b64 s[10:11], s[4:5], exec
                                        ; implicit-def: $vgpr4
.LBB24_113:
	s_or_saveexec_b64 s[2:3], s[2:3]
	s_mov_b64 s[14:15], 0
	s_mov_b64 s[12:13], s[8:9]
	s_xor_b64 exec, exec, s[2:3]
	s_cbranch_execz .LBB24_121
; %bb.114:
	v_mov_b32_e32 v2, 14
	v_cmp_gt_i16_sdwa s[16:17], v4, v2 src0_sel:BYTE_0 src1_sel:DWORD
	s_mov_b64 s[12:13], s[8:9]
	s_mov_b64 s[14:15], s[10:11]
                                        ; implicit-def: $vgpr5
	s_and_saveexec_b64 s[18:19], s[16:17]
	s_xor_b64 s[16:17], exec, s[18:19]
	s_cbranch_execz .LBB24_118
; %bb.115:
	v_mov_b32_e32 v2, 15
	v_cmp_eq_u16_sdwa s[20:21], v4, v2 src0_sel:BYTE_0 src1_sel:DWORD
	s_mov_b64 s[12:13], -1
	s_mov_b64 s[14:15], s[10:11]
                                        ; implicit-def: $vgpr5
	s_and_saveexec_b64 s[18:19], s[20:21]
	s_cbranch_execz .LBB24_117
; %bb.116:
	flat_load_ushort v2, v[0:1]
	s_or_b64 s[14:15], s[10:11], exec
	s_xor_b64 s[12:13], exec, -1
	s_waitcnt vmcnt(0) lgkmcnt(0)
	v_lshlrev_b32_e32 v5, 16, v2
.LBB24_117:
	s_or_b64 exec, exec, s[18:19]
	s_andn2_b64 s[18:19], s[10:11], exec
	s_and_b64 s[14:15], s[14:15], exec
	s_or_b64 s[14:15], s[18:19], s[14:15]
	s_andn2_b64 s[18:19], s[8:9], exec
	s_and_b64 s[12:13], s[12:13], exec
	s_or_b64 s[12:13], s[18:19], s[12:13]
                                        ; implicit-def: $vgpr4
.LBB24_118:
	s_or_saveexec_b64 s[16:17], s[16:17]
	s_mov_b64 s[18:19], 0
	s_xor_b64 exec, exec, s[16:17]
; %bb.119:
	v_mov_b32_e32 v2, 11
	v_cmp_ne_u16_sdwa s[20:21], v4, v2 src0_sel:BYTE_0 src1_sel:DWORD
	s_andn2_b64 s[12:13], s[12:13], exec
	s_and_b64 s[20:21], s[20:21], exec
	s_mov_b64 s[18:19], exec
	s_or_b64 s[12:13], s[12:13], s[20:21]
                                        ; implicit-def: $vgpr5
; %bb.120:
	s_or_b64 exec, exec, s[16:17]
	s_andn2_b64 s[10:11], s[10:11], exec
	s_and_b64 s[14:15], s[14:15], exec
	s_andn2_b64 s[16:17], s[8:9], exec
	s_and_b64 s[12:13], s[12:13], exec
	s_or_b64 s[10:11], s[10:11], s[14:15]
	s_and_b64 s[14:15], s[18:19], exec
	s_or_b64 s[12:13], s[16:17], s[12:13]
.LBB24_121:
	s_or_b64 exec, exec, s[2:3]
	s_andn2_b64 s[2:3], s[4:5], exec
	s_and_b64 s[4:5], s[10:11], exec
	s_andn2_b64 s[8:9], s[8:9], exec
	s_and_b64 s[10:11], s[12:13], exec
	s_or_b64 s[4:5], s[2:3], s[4:5]
	s_and_b64 s[2:3], s[14:15], exec
	s_or_b64 s[8:9], s[8:9], s[10:11]
	s_or_b64 exec, exec, s[6:7]
	s_and_saveexec_b64 s[6:7], s[8:9]
	s_cbranch_execz .LBB24_36
.LBB24_122:
	s_trap 2
	; divergent unreachable
	s_andn2_b64 s[2:3], s[2:3], exec
                                        ; implicit-def: $vgpr5
	s_or_b64 exec, exec, s[6:7]
	s_and_saveexec_b64 s[6:7], s[2:3]
	s_xor_b64 s[2:3], exec, s[6:7]
	s_cbranch_execnz .LBB24_37
	s_branch .LBB24_38
.LBB24_123:
	s_andn2_saveexec_b64 s[0:1], s[12:13]
.LBB24_124:
	s_mov_b32 s2, 0x3f22f983
	v_mul_f32_e64 v2, |v0|, s2
	v_rndne_f32_e32 v3, v2
	s_mov_b32 s2, 0xbfc90fda
	v_cvt_i32_f32_e32 v2, v3
	v_fma_f32 v4, v3, s2, |v0|
	v_fmamk_f32 v4, v3, 0xb3a22168, v4
	v_fmamk_f32 v3, v3, 0xa7c234c4, v4
; %bb.125:
	s_or_b64 exec, exec, s[0:1]
                                        ; implicit-def: $vgpr4
                                        ; implicit-def: $vgpr6
	s_and_saveexec_b64 s[0:1], s[10:11]
	s_xor_b64 s[10:11], exec, s[0:1]
	s_cbranch_execz .LBB24_127
; %bb.126:
	v_add_u32_e32 v4, 0xffffff88, v7
	v_not_b32_e32 v6, 63
	v_cmp_lt_u32_e32 vcc, 63, v4
	s_mov_b32 s4, 0xfe5163ab
	v_mov_b32_e32 v7, 0
	v_cndmask_b32_e32 v6, 0, v6, vcc
	v_add_u32_e32 v4, v6, v4
	v_not_b32_e32 v6, 31
	v_cmp_lt_u32_e64 s[0:1], 31, v4
	s_nop 1
	v_cndmask_b32_e64 v8, 0, v6, s[0:1]
	v_add_u32_e32 v4, v8, v4
	v_cmp_lt_u32_e64 s[2:3], 31, v4
	s_nop 1
	v_cndmask_b32_e64 v6, 0, v6, s[2:3]
	v_add_u32_e32 v4, v6, v4
	v_and_b32_e32 v6, 0x7fffff, v1
	v_or_b32_e32 v20, 0x800000, v6
	v_mad_u64_u32 v[8:9], s[4:5], v20, s4, 0
	v_mov_b32_e32 v6, v9
	s_mov_b32 s4, 0x3c439041
	v_mad_u64_u32 v[10:11], s[4:5], v20, s4, v[6:7]
	v_mov_b32_e32 v6, v11
	s_mov_b32 s4, 0xdb629599
	;; [unrolled: 3-line block ×6, first 2 shown]
	v_mad_u64_u32 v[6:7], s[4:5], v20, s4, v[6:7]
	v_cndmask_b32_e32 v9, v18, v14, vcc
	v_cndmask_b32_e32 v6, v6, v16, vcc
	;; [unrolled: 1-line block ×3, first 2 shown]
	v_cndmask_b32_e64 v11, v6, v9, s[0:1]
	v_cndmask_b32_e64 v6, v7, v6, s[0:1]
	v_cndmask_b32_e32 v7, v16, v12, vcc
	v_cndmask_b32_e64 v9, v9, v7, s[0:1]
	v_cndmask_b32_e64 v6, v6, v11, s[2:3]
	;; [unrolled: 1-line block ×3, first 2 shown]
	v_sub_u32_e32 v13, 32, v4
	v_alignbit_b32 v15, v6, v11, v13
	v_cmp_eq_u32_e64 s[4:5], 0, v4
	v_cndmask_b32_e32 v8, v12, v8, vcc
	s_nop 0
	v_cndmask_b32_e64 v4, v15, v6, s[4:5]
	v_cndmask_b32_e32 v6, v14, v10, vcc
	v_cndmask_b32_e64 v7, v7, v6, s[0:1]
	v_cndmask_b32_e64 v9, v9, v7, s[2:3]
	v_alignbit_b32 v10, v11, v9, v13
	v_cndmask_b32_e64 v10, v10, v11, s[4:5]
	v_bfe_u32 v15, v4, 29, 1
	v_cndmask_b32_e64 v6, v6, v8, s[0:1]
	v_alignbit_b32 v11, v4, v10, 30
	v_sub_u32_e32 v16, 0, v15
	v_cndmask_b32_e64 v6, v7, v6, s[2:3]
	v_xor_b32_e32 v17, v11, v16
	v_alignbit_b32 v7, v9, v6, v13
	v_cndmask_b32_e64 v7, v7, v9, s[4:5]
	v_ffbh_u32_e32 v9, v17
	v_add_u32_e32 v9, 1, v9
	v_cmp_ne_u32_e32 vcc, v11, v16
	v_alignbit_b32 v8, v10, v7, 30
	v_alignbit_b32 v6, v7, v6, 30
	v_cndmask_b32_e32 v9, 33, v9, vcc
	v_xor_b32_e32 v8, v8, v16
	v_sub_u32_e32 v10, 32, v9
	v_xor_b32_e32 v6, v6, v16
	v_alignbit_b32 v11, v17, v8, v10
	v_alignbit_b32 v6, v8, v6, v10
	;; [unrolled: 1-line block ×3, first 2 shown]
	v_ffbh_u32_e32 v8, v7
	v_min_u32_e32 v8, 32, v8
	v_lshrrev_b32_e32 v14, 29, v4
	v_sub_u32_e32 v10, 31, v8
	v_alignbit_b32 v6, v7, v6, v10
	v_lshlrev_b32_e32 v7, 31, v14
	v_or_b32_e32 v10, 0x33800000, v7
	v_add_lshl_u32 v8, v8, v9, 23
	v_lshrrev_b32_e32 v6, 9, v6
	v_sub_u32_e32 v8, v10, v8
	v_or_b32_e32 v6, v8, v6
	v_alignbit_b32 v8, v9, v11, 9
	v_or_b32_e32 v7, v8, v7
	v_xor_b32_e32 v7, 1.0, v7
	s_mov_b32 s0, 0x3fc90fda
	v_mul_f32_e32 v8, 0x3fc90fda, v7
	v_fma_f32 v9, v7, s0, -v8
	v_fmamk_f32 v7, v7, 0x33a22168, v9
	v_fmac_f32_e32 v7, 0x3fc90fda, v6
	v_lshrrev_b32_e32 v4, 30, v4
	v_add_f32_e32 v6, v8, v7
	v_add_u32_e32 v4, v15, v4
	s_andn2_saveexec_b64 s[0:1], s[10:11]
	s_cbranch_execnz .LBB24_128
	s_branch .LBB24_129
.LBB24_127:
	s_andn2_saveexec_b64 s[0:1], s[10:11]
.LBB24_128:
	s_mov_b32 s2, 0x3f22f983
	v_mul_f32_e64 v4, |v0|, s2
	v_rndne_f32_e32 v6, v4
	s_mov_b32 s2, 0xbfc90fda
	v_cvt_i32_f32_e32 v4, v6
	v_fma_f32 v7, v6, s2, |v0|
	v_fmamk_f32 v7, v6, 0xb3a22168, v7
	v_fmamk_f32 v6, v6, 0xa7c234c4, v7
.LBB24_129:
	s_or_b64 exec, exec, s[0:1]
	v_mul_f32_e32 v7, v5, v5
	s_mov_b32 s2, 0x41c80000
	v_div_scale_f32 v8, s[0:1], v7, v7, s2
	v_rcp_f32_e32 v9, v8
	v_xor_b32_e32 v1, v1, v0
	s_mov_b32 s4, 0x40a00000
	v_mov_b32_e32 v16, 0xbf000004
	v_fma_f32 v10, -v8, v9, 1.0
	v_fmac_f32_e32 v9, v10, v9
	v_div_scale_f32 v10, vcc, s2, v7, s2
	v_mul_f32_e32 v11, v10, v9
	v_fma_f32 v12, -v8, v11, v10
	v_fmac_f32_e32 v11, v12, v9
	v_fma_f32 v8, -v8, v11, v10
	v_div_fmas_f32 v8, v8, v9, v11
	v_div_fixup_f32 v7, v8, v7, s2
	v_mov_b32_e32 v8, 0x3a50e985
	v_mov_b32_e32 v9, 0x3a725406
	v_fmac_f32_e32 v8, 0, v7
	v_fmac_f32_e32 v9, 0, v7
	v_fmaak_f32 v8, v7, v8, 0x3da9a586
	v_fmaak_f32 v9, v7, v9, 0x3daf5e2d
	;; [unrolled: 1-line block ×8, first 2 shown]
	v_mov_b32_e32 v10, 0xbc3a3a12
	v_fmaak_f32 v8, v7, v8, 0x40a9b425
	v_fmaak_f32 v9, v7, v9, 0x40a9cb2f
	v_fmac_f32_e32 v10, 0, v7
	v_mov_b32_e32 v11, 0x4280a2ba
	v_fma_f32 v9, v7, v9, 1.0
	v_fmaak_f32 v10, v7, v10, 0xbfa429da
	v_fmac_f32_e32 v11, 0, v7
	v_fma_f32 v8, v7, v8, 1.0
	v_fmaak_f32 v10, v7, v10, 0xc19c6e80
	v_fmaak_f32 v11, v7, v11, 0x44561b86
	v_div_scale_f32 v12, s[0:1], v9, v9, v8
	v_fmaak_f32 v10, v7, v10, 0xc2ba697b
	v_fmaak_f32 v11, v7, v11, 0x4572a66e
	v_rcp_f32_e32 v13, v12
	v_fmaak_f32 v10, v7, v10, 0xc331ae61
	v_fmaak_f32 v11, v7, v11, 0x45e243be
	;; [unrolled: 1-line block ×8, first 2 shown]
	v_fma_f32 v11, -v12, v13, 1.0
	v_fmac_f32_e32 v13, v11, v13
	v_div_scale_f32 v11, vcc, v8, v9, v8
	v_mul_f32_e32 v14, v11, v13
	v_fma_f32 v15, -v12, v14, v11
	v_fmac_f32_e32 v14, v15, v13
	v_fma_f32 v11, -v12, v14, v11
	v_div_fmas_f32 v11, v11, v13, v14
	v_div_fixup_f32 v8, v11, v9, v8
	v_mul_f32_e32 v9, v3, v3
	v_mov_b32_e32 v11, 0x3c0881c4
	v_fmamk_f32 v12, v9, 0xb94c1982, v11
	v_fmaak_f32 v12, v9, v12, 0xbe2aaa9d
	v_mul_f32_e32 v12, v9, v12
	v_fmac_f32_e32 v3, v3, v12
	v_mov_b32_e32 v12, 0xbab64f3b
	v_fmamk_f32 v14, v9, 0x37d75334, v12
	v_fmaak_f32 v14, v9, v14, 0x3d2aabf7
	v_fmaak_f32 v14, v9, v14, 0xbf000004
	v_fma_f32 v9, v9, v14, 1.0
	v_and_b32_e32 v14, 1, v2
	v_lshlrev_b32_e32 v2, 30, v2
	v_cmp_eq_u32_e32 vcc, 0, v14
	v_and_b32_e32 v2, 0x80000000, v2
	v_xor_b32_e32 v1, v1, v2
	v_cndmask_b32_e32 v3, v9, v3, vcc
	v_div_scale_f32 v2, s[0:1], v5, v5, s4
	v_xor_b32_e32 v1, v1, v3
	v_rcp_f32_e32 v3, v2
	s_movk_i32 s2, 0x1f8
	v_mov_b32_e32 v9, 0x7fc00000
	v_cmp_class_f32_e64 s[0:1], v0, s2
	v_mov_b32_e32 v13, 0xbe2aaa9d
	v_mov_b32_e32 v15, 0x3d2aabf7
	v_cndmask_b32_e64 v0, v9, v1, s[0:1]
	v_fma_f32 v1, -v2, v3, 1.0
	v_fmac_f32_e32 v3, v1, v3
	v_div_scale_f32 v1, vcc, s4, v5, s4
	v_mul_f32_e32 v14, v1, v3
	v_fma_f32 v17, -v2, v14, v1
	v_fmac_f32_e32 v14, v17, v3
	v_fma_f32 v1, -v2, v14, v1
	v_div_scale_f32 v2, s[2:3], v7, v7, v10
	v_rcp_f32_e32 v17, v2
	v_div_fmas_f32 v1, v1, v3, v14
	v_div_fixup_f32 v1, v1, v5, s4
	v_fma_f32 v3, -v2, v17, 1.0
	v_fmac_f32_e32 v17, v3, v17
	v_div_scale_f32 v3, vcc, v10, v7, v10
	v_mul_f32_e32 v14, v3, v17
	v_fma_f32 v18, -v2, v14, v3
	v_fmac_f32_e32 v14, v18, v17
	v_fma_f32 v2, -v2, v14, v3
	v_div_fmas_f32 v2, v2, v17, v14
	v_div_fixup_f32 v2, v2, v7, v10
	v_mul_f32_e32 v1, v1, v2
	v_mul_f32_e32 v2, v6, v6
	v_fmac_f32_e32 v11, 0xb94c1982, v2
	v_fmac_f32_e32 v13, v2, v11
	;; [unrolled: 1-line block ×3, first 2 shown]
	v_mul_f32_e32 v3, v2, v13
	v_fmac_f32_e32 v15, v2, v12
	v_fmac_f32_e32 v6, v6, v3
	;; [unrolled: 1-line block ×3, first 2 shown]
	v_and_b32_e32 v3, 1, v4
	v_fma_f32 v2, v2, v16, 1.0
	v_cmp_eq_u32_e32 vcc, 0, v3
	v_lshlrev_b32_e32 v3, 30, v4
	v_and_b32_e32 v3, 0x80000000, v3
	v_cndmask_b32_e64 v2, -v6, v2, vcc
	v_xor_b32_e32 v2, v3, v2
	v_cndmask_b32_e64 v2, v9, v2, s[0:1]
	s_mov_b32 s0, 0xf800000
	v_mul_f32_e32 v3, 0x4f800000, v5
	v_cmp_gt_f32_e32 vcc, s0, v5
	v_mul_f32_e32 v1, v1, v2
	v_fmac_f32_e32 v1, v8, v0
	v_cndmask_b32_e32 v3, v5, v3, vcc
	v_sqrt_f32_e32 v4, v3
	v_mul_f32_e32 v0, 0x3f4c422a, v1
	v_add_u32_e32 v1, -1, v4
	v_fma_f32 v2, -v1, v4, v3
	v_cmp_ge_f32_e64 s[0:1], 0, v2
	v_add_u32_e32 v2, 1, v4
	s_nop 0
	v_cndmask_b32_e64 v1, v4, v1, s[0:1]
	v_fma_f32 v4, -v2, v4, v3
	v_cmp_lt_f32_e64 s[0:1], 0, v4
	s_nop 1
	v_cndmask_b32_e64 v1, v1, v2, s[0:1]
	v_mul_f32_e32 v2, 0x37800000, v1
	v_cndmask_b32_e32 v1, v1, v2, vcc
	v_mov_b32_e32 v2, 0x260
	v_cmp_class_f32_e32 vcc, v3, v2
	s_nop 1
	v_cndmask_b32_e32 v1, v1, v3, vcc
	v_div_scale_f32 v2, s[0:1], v1, v1, v0
	v_rcp_f32_e32 v3, v2
	s_nop 0
	v_fma_f32 v4, -v2, v3, 1.0
	v_fmac_f32_e32 v3, v4, v3
	v_div_scale_f32 v4, vcc, v0, v1, v0
	v_mul_f32_e32 v5, v4, v3
	v_fma_f32 v6, -v2, v5, v4
	v_fmac_f32_e32 v5, v6, v3
	v_fma_f32 v2, -v2, v5, v4
	v_div_fmas_f32 v2, v2, v3, v5
	v_div_fixup_f32 v0, v2, v1, v0
.LBB24_130:
	s_or_b64 exec, exec, s[8:9]
	s_or_b64 exec, exec, s[6:7]
	s_setpc_b64 s[30:31]
.LBB24_131:
	s_or_saveexec_b64 s[16:17], s[16:17]
	v_mov_b32_e32 v5, s20
	s_xor_b64 exec, exec, s[16:17]
	s_cbranch_execz .LBB24_30
.LBB24_132:
	v_cmp_ne_u16_e32 vcc, 0, v2
	s_andn2_b64 s[14:15], s[14:15], exec
	s_and_b64 s[18:19], vcc, exec
	v_mov_b32_e32 v5, 0
	s_or_b64 s[14:15], s[14:15], s[18:19]
	s_or_b64 exec, exec, s[16:17]
	s_and_saveexec_b64 s[16:17], s[14:15]
	s_cbranch_execnz .LBB24_31
	s_branch .LBB24_32
.LBB24_133:
	s_or_saveexec_b64 s[16:17], s[16:17]
	v_mov_b32_e32 v5, s20
	s_xor_b64 exec, exec, s[16:17]
	s_cbranch_execz .LBB24_104
.LBB24_134:
	v_cmp_ne_u16_e32 vcc, 0, v2
	s_andn2_b64 s[14:15], s[14:15], exec
	s_and_b64 s[18:19], vcc, exec
	v_mov_b32_e32 v5, 0
	s_or_b64 s[14:15], s[14:15], s[18:19]
	s_or_b64 exec, exec, s[16:17]
	s_and_saveexec_b64 s[16:17], s[14:15]
	s_cbranch_execnz .LBB24_105
	s_branch .LBB24_106
.Lfunc_end24:
	.size	_ZN2at6native6invokeIZZZNS0_12_GLOBAL__N_121bessel_y0_kernel_cudaERNS_18TensorIteratorBaseEENKUlvE_clEvENKUlvE0_clEvEUlfE_j15function_traitsIS7_EEENT1_11result_typeERKT_PrKPcPKT0_PKN3c1010ScalarTypeEi, .Lfunc_end24-_ZN2at6native6invokeIZZZNS0_12_GLOBAL__N_121bessel_y0_kernel_cudaERNS_18TensorIteratorBaseEENKUlvE_clEvENKUlvE0_clEvEUlfE_j15function_traitsIS7_EEENT1_11result_typeERKT_PrKPcPKT0_PKN3c1010ScalarTypeEi
                                        ; -- End function
	.section	.AMDGPU.csdata,"",@progbits
; Function info:
; codeLenInByte = 5600
; NumSgprs: 38
; NumVgprs: 21
; NumAgprs: 0
; TotalNumVgprs: 21
; ScratchSize: 0
; MemoryBound: 1
	.section	.text._ZN2at6native32elementwise_kernel_manual_unrollILi128ELi4EZNS0_15gpu_kernel_implIZZZNS0_12_GLOBAL__N_121bessel_y0_kernel_cudaERNS_18TensorIteratorBaseEENKUlvE_clEvENKUlvE0_clEvEUlfE_EEvS5_RKT_EUlibE0_EEviT1_,"axG",@progbits,_ZN2at6native32elementwise_kernel_manual_unrollILi128ELi4EZNS0_15gpu_kernel_implIZZZNS0_12_GLOBAL__N_121bessel_y0_kernel_cudaERNS_18TensorIteratorBaseEENKUlvE_clEvENKUlvE0_clEvEUlfE_EEvS5_RKT_EUlibE0_EEviT1_,comdat
	.globl	_ZN2at6native32elementwise_kernel_manual_unrollILi128ELi4EZNS0_15gpu_kernel_implIZZZNS0_12_GLOBAL__N_121bessel_y0_kernel_cudaERNS_18TensorIteratorBaseEENKUlvE_clEvENKUlvE0_clEvEUlfE_EEvS5_RKT_EUlibE0_EEviT1_ ; -- Begin function _ZN2at6native32elementwise_kernel_manual_unrollILi128ELi4EZNS0_15gpu_kernel_implIZZZNS0_12_GLOBAL__N_121bessel_y0_kernel_cudaERNS_18TensorIteratorBaseEENKUlvE_clEvENKUlvE0_clEvEUlfE_EEvS5_RKT_EUlibE0_EEviT1_
	.p2align	8
	.type	_ZN2at6native32elementwise_kernel_manual_unrollILi128ELi4EZNS0_15gpu_kernel_implIZZZNS0_12_GLOBAL__N_121bessel_y0_kernel_cudaERNS_18TensorIteratorBaseEENKUlvE_clEvENKUlvE0_clEvEUlfE_EEvS5_RKT_EUlibE0_EEviT1_,@function
_ZN2at6native32elementwise_kernel_manual_unrollILi128ELi4EZNS0_15gpu_kernel_implIZZZNS0_12_GLOBAL__N_121bessel_y0_kernel_cudaERNS_18TensorIteratorBaseEENKUlvE_clEvENKUlvE0_clEvEUlfE_EEvS5_RKT_EUlibE0_EEviT1_: ; @_ZN2at6native32elementwise_kernel_manual_unrollILi128ELi4EZNS0_15gpu_kernel_implIZZZNS0_12_GLOBAL__N_121bessel_y0_kernel_cudaERNS_18TensorIteratorBaseEENKUlvE_clEvENKUlvE0_clEvEUlfE_EEvS5_RKT_EUlibE0_EEviT1_
; %bb.0:
	s_load_dword s70, s[0:1], 0x0
	s_load_dword s33, s[0:1], 0x8
	s_mov_b64 s[24:25], s[0:1]
	s_or_b32 s26, s24, 8
	v_lshl_or_b32 v24, s2, 9, v0
	v_or_b32_e32 v1, 0x180, v24
	s_waitcnt lgkmcnt(0)
	s_add_i32 s72, s33, -1
	s_cmp_gt_u32 s72, 1
	s_mov_b32 s27, s1
	v_cmp_le_i32_e32 vcc, s70, v1
	s_cselect_b64 s[34:35], -1, 0
	s_mov_b64 s[28:29], 0
	s_mov_b64 s[40:41], 0
	s_mov_b32 s32, 0
	s_and_saveexec_b64 s[0:1], vcc
	s_xor_b64 s[48:49], exec, s[0:1]
	s_cbranch_execz .LBB25_574
; %bb.1:
	v_mov_b32_e32 v0, 0
	global_load_ushort v25, v0, s[26:27] offset:345
	s_load_dwordx4 s[44:47], s[26:27], 0x4
	s_load_dwordx2 s[50:51], s[26:27], 0x14
	s_load_dwordx4 s[40:43], s[26:27], 0xc4
	s_load_dwordx4 s[36:39], s[26:27], 0x148
	s_cmp_lg_u32 s33, 0
	s_cselect_b64 s[56:57], -1, 0
	s_add_u32 s54, s26, 0xc4
	s_addc_u32 s55, s27, 0
	s_min_u32 s73, s72, 15
	s_cmp_gt_u32 s33, 1
	v_cmp_gt_i32_e32 vcc, s70, v24
	s_mov_b64 s[0:1], -1
	s_mov_b64 s[64:65], 0
	s_cselect_b64 s[52:53], -1, 0
	s_mov_b64 s[58:59], 0
	s_waitcnt vmcnt(0)
	v_lshrrev_b16_e32 v21, 8, v25
	s_and_saveexec_b64 s[60:61], vcc
	s_cbranch_execz .LBB25_139
; %bb.2:
	s_andn2_b64 vcc, exec, s[34:35]
	s_cbranch_vccnz .LBB25_8
; %bb.3:
	s_mov_b32 s20, 0
	s_andn2_b64 vcc, exec, s[56:57]
	v_mov_b32_e32 v2, 0
	v_mov_b32_e32 v22, 0
	s_cbranch_vccnz .LBB25_14
; %bb.4:
	s_add_i32 s58, s73, 1
	s_cmp_eq_u32 s72, 2
	s_cbranch_scc1 .LBB25_9
; %bb.5:
	s_and_b32 s20, s58, 28
	s_mov_b32 s21, 0
	v_mov_b32_e32 v22, 0
	s_mov_b64 s[22:23], s[26:27]
	s_mov_b64 s[30:31], s[54:55]
	v_mov_b32_e32 v0, v24
	v_mov_b32_e32 v2, 0
.LBB25_6:                               ; =>This Inner Loop Header: Depth=1
	s_load_dwordx8 s[8:15], s[22:23], 0x4
	s_load_dwordx4 s[16:19], s[22:23], 0x24
	s_load_dwordx8 s[0:7], s[30:31], 0x0
	s_add_u32 s22, s22, 48
	s_addc_u32 s23, s23, 0
	s_waitcnt lgkmcnt(0)
	v_mul_hi_u32 v1, s9, v0
	v_add_u32_e32 v1, v0, v1
	v_lshrrev_b32_e32 v1, s10, v1
	v_mul_lo_u32 v3, v1, s8
	v_mul_hi_u32 v4, s12, v1
	v_sub_u32_e32 v0, v0, v3
	v_add_u32_e32 v3, v1, v4
	v_lshrrev_b32_e32 v3, s13, v3
	v_mul_lo_u32 v5, v3, s11
	v_mul_hi_u32 v6, s15, v3
	v_sub_u32_e32 v1, v1, v5
	v_add_u32_e32 v5, v3, v6
	v_mul_lo_u32 v4, v0, s1
	v_mul_lo_u32 v0, v0, s0
	;; [unrolled: 1-line block ×4, first 2 shown]
	v_lshrrev_b32_e32 v5, s16, v5
	v_add3_u32 v1, v0, v22, v1
	v_add3_u32 v2, v4, v2, v6
	v_mul_lo_u32 v0, v5, s14
	v_mul_hi_u32 v4, s18, v5
	v_sub_u32_e32 v0, v3, v0
	v_add_u32_e32 v3, v5, v4
	v_mul_lo_u32 v4, v0, s4
	v_mul_lo_u32 v6, v0, s5
	v_lshrrev_b32_e32 v0, s19, v3
	s_add_i32 s21, s21, 4
	v_mul_lo_u32 v3, v0, s17
	s_add_u32 s30, s30, 32
	v_sub_u32_e32 v3, v5, v3
	s_addc_u32 s31, s31, 0
	v_mul_lo_u32 v5, v3, s6
	v_mul_lo_u32 v3, v3, s7
	s_cmp_lg_u32 s20, s21
	v_add3_u32 v2, v6, v2, v3
	v_add3_u32 v22, v4, v1, v5
	s_cbranch_scc1 .LBB25_6
; %bb.7:
	v_mov_b32_e32 v23, v2
	s_branch .LBB25_10
.LBB25_8:
                                        ; implicit-def: $vgpr2
                                        ; implicit-def: $vgpr22
	s_andn2_b64 vcc, exec, s[0:1]
	s_cbranch_vccz .LBB25_15
	s_branch .LBB25_17
.LBB25_9:
	s_mov_b32 s21, s20
	v_mov_b64_e32 v[22:23], s[20:21]
                                        ; implicit-def: $vgpr2
	v_mov_b32_e32 v0, v24
.LBB25_10:
	s_and_b32 s4, s58, 3
	s_cmp_eq_u32 s4, 0
	s_cbranch_scc1 .LBB25_14
; %bb.11:
	s_lshl_b32 s0, s20, 3
	s_add_u32 s0, s0, s26
	s_addc_u32 s1, s27, 0
	s_add_u32 s0, s0, 0xc4
	s_addc_u32 s1, s1, 0
	s_mul_i32 s2, s20, 12
	s_add_u32 s2, s26, s2
	s_addc_u32 s3, s27, 0
.LBB25_12:                              ; =>This Inner Loop Header: Depth=1
	s_load_dwordx2 s[6:7], s[2:3], 0x4
	s_load_dword s5, s[2:3], 0xc
	s_load_dwordx2 s[8:9], s[0:1], 0x0
	s_add_u32 s2, s2, 12
	s_addc_u32 s3, s3, 0
	s_waitcnt lgkmcnt(0)
	v_mul_hi_u32 v1, s7, v0
	v_add_u32_e32 v1, v0, v1
	v_lshrrev_b32_e32 v1, s5, v1
	v_mul_lo_u32 v3, v1, s6
	v_mov_b32_e32 v2, v23
	s_add_u32 s0, s0, 8
	v_sub_u32_e32 v4, v0, v3
	s_addc_u32 s1, s1, 0
	s_add_i32 s4, s4, -1
	v_mad_u64_u32 v[2:3], s[6:7], v4, s9, v[2:3]
	v_mad_u64_u32 v[22:23], s[6:7], v4, s8, v[22:23]
	s_cmp_lg_u32 s4, 0
	v_mov_b32_e32 v0, v1
	v_mov_b32_e32 v23, v2
	s_cbranch_scc1 .LBB25_12
; %bb.13:
	v_mov_b32_e32 v2, v23
.LBB25_14:
	s_cbranch_execnz .LBB25_17
.LBB25_15:
	s_waitcnt lgkmcnt(0)
	v_mul_hi_u32 v0, s45, v24
	v_add_u32_e32 v0, v24, v0
	v_lshrrev_b32_e32 v0, s46, v0
	v_mul_lo_u32 v1, v0, s44
	v_sub_u32_e32 v1, v24, v1
	v_mul_lo_u32 v2, v1, s41
	s_andn2_b64 vcc, exec, s[52:53]
	v_mul_lo_u32 v22, v1, s40
	s_cbranch_vccnz .LBB25_17
; %bb.16:
	v_mul_hi_u32 v1, s50, v0
	v_add_u32_e32 v1, v0, v1
	v_lshrrev_b32_e32 v1, s51, v1
	v_mul_lo_u32 v1, v1, s47
	v_sub_u32_e32 v0, v0, v1
	v_mad_u64_u32 v[22:23], s[0:1], v0, s42, v[22:23]
	v_mad_u64_u32 v[2:3], s[0:1], v0, s43, v[2:3]
.LBB25_17:
	s_waitcnt lgkmcnt(0)
	v_mov_b32_e32 v0, s38
	v_mov_b32_e32 v1, s39
	;; [unrolled: 1-line block ×3, first 2 shown]
	s_getpc_b64 s[0:1]
	s_add_u32 s0, s0, _ZN2at6native6invokeIZZZNS0_12_GLOBAL__N_121bessel_y0_kernel_cudaERNS_18TensorIteratorBaseEENKUlvE_clEvENKUlvE0_clEvEUlfE_j15function_traitsIS7_EEENT1_11result_typeERKT_PrKPcPKT0_PKN3c1010ScalarTypeEi@rel32@lo+4
	s_addc_u32 s1, s1, _ZN2at6native6invokeIZZZNS0_12_GLOBAL__N_121bessel_y0_kernel_cudaERNS_18TensorIteratorBaseEENKUlvE_clEvENKUlvE0_clEvEUlfE_j15function_traitsIS7_EEENT1_11result_typeERKT_PrKPcPKT0_PKN3c1010ScalarTypeEi@rel32@hi+12
	s_swappc_b64 s[30:31], s[0:1]
	v_mov_b32_e32 v1, 11
	v_mov_b32_e32 v23, 0
	v_cmp_lt_i16_sdwa s[0:1], v25, v1 src0_sel:BYTE_0 src1_sel:DWORD
	v_lshl_add_u64 v[2:3], s[36:37], 0, v[22:23]
	s_and_b64 vcc, exec, s[0:1]
	s_cbranch_vccnz .LBB25_24
; %bb.18:
	v_mov_b32_e32 v1, 25
	v_cmp_gt_i16_sdwa s[0:1], v25, v1 src0_sel:BYTE_0 src1_sel:DWORD
	s_and_b64 vcc, exec, s[0:1]
	s_cbranch_vccz .LBB25_27
; %bb.19:
	v_mov_b32_e32 v1, 28
	v_cmp_gt_i16_sdwa s[0:1], v25, v1 src0_sel:BYTE_0 src1_sel:DWORD
	s_and_b64 vcc, exec, s[0:1]
	s_cbranch_vccz .LBB25_28
	;; [unrolled: 5-line block ×4, first 2 shown]
; %bb.22:
	v_mov_b32_e32 v1, 46
	v_cmp_eq_u16_sdwa s[2:3], v25, v1 src0_sel:BYTE_0 src1_sel:DWORD
	s_mov_b64 s[4:5], 0
	s_mov_b64 s[0:1], -1
	s_and_b64 vcc, exec, s[2:3]
	s_mov_b64 s[2:3], 0
	s_cbranch_vccz .LBB25_31
; %bb.23:
	v_bfe_u32 v1, v0, 16, 1
	s_movk_i32 s0, 0x7fff
	v_add3_u32 v1, v0, v1, s0
	v_lshrrev_b32_e32 v1, 16, v1
	v_mov_b32_e32 v4, 0x7fc0
	v_cmp_o_f32_e32 vcc, v0, v0
	s_mov_b64 s[2:3], -1
	s_mov_b64 s[0:1], 0
	v_cndmask_b32_e32 v1, v4, v1, vcc
	global_store_dword v[2:3], v1, off
	s_branch .LBB25_31
.LBB25_24:
	s_mov_b64 s[0:1], 0
	s_mov_b64 s[2:3], 0
	s_cbranch_execnz .LBB25_99
.LBB25_25:
	s_andn2_b64 vcc, exec, s[2:3]
	s_cbranch_vccnz .LBB25_137
.LBB25_26:
	v_add_u32_e32 v24, 0x80, v24
	s_mov_b64 s[2:3], -1
	s_branch .LBB25_138
.LBB25_27:
	s_mov_b64 s[0:1], 0
	s_mov_b64 s[2:3], 0
	s_cbranch_execnz .LBB25_58
	s_branch .LBB25_98
.LBB25_28:
	s_mov_b64 s[4:5], -1
	s_mov_b64 s[0:1], 0
	s_mov_b64 s[2:3], 0
	s_branch .LBB25_41
.LBB25_29:
	s_mov_b64 s[4:5], -1
	s_mov_b64 s[0:1], 0
	s_mov_b64 s[2:3], 0
	s_branch .LBB25_37
.LBB25_30:
	s_mov_b64 s[4:5], -1
	s_mov_b64 s[0:1], 0
	s_mov_b64 s[2:3], 0
.LBB25_31:
	s_and_b64 vcc, exec, s[4:5]
	s_cbranch_vccz .LBB25_36
; %bb.32:
	v_mov_b32_e32 v1, 44
	v_cmp_eq_u16_sdwa s[4:5], v25, v1 src0_sel:BYTE_0 src1_sel:DWORD
	s_mov_b64 s[0:1], -1
	s_and_b64 vcc, exec, s[4:5]
	s_cbranch_vccz .LBB25_36
; %bb.33:
	v_bfe_u32 v1, v0, 23, 8
	s_movk_i32 s0, 0xff
	v_cmp_ne_u32_e32 vcc, s0, v1
	v_mov_b32_e32 v4, 0xff
	s_and_saveexec_b64 s[2:3], vcc
; %bb.34:
	s_mov_b32 s0, 0x3fffff
	v_and_b32_e32 v5, 0x400000, v0
	v_and_or_b32 v1, v0, s0, v1
	v_cmp_ne_u32_e32 vcc, 0, v5
	v_cmp_ne_u32_e64 s[0:1], 0, v1
	s_and_b64 s[0:1], vcc, s[0:1]
	v_lshrrev_b32_e32 v4, 23, v0
	v_cndmask_b32_e64 v1, 0, 1, s[0:1]
	v_add_u32_e32 v4, v4, v1
; %bb.35:
	s_or_b64 exec, exec, s[2:3]
	s_mov_b64 s[2:3], -1
	s_mov_b64 s[0:1], 0
	global_store_byte v[2:3], v4, off
.LBB25_36:
	s_mov_b64 s[4:5], 0
.LBB25_37:
	s_and_b64 vcc, exec, s[4:5]
	s_cbranch_vccz .LBB25_40
; %bb.38:
	v_mov_b32_e32 v1, 29
	v_cmp_eq_u16_sdwa s[4:5], v25, v1 src0_sel:BYTE_0 src1_sel:DWORD
	s_mov_b64 s[0:1], -1
	s_and_b64 vcc, exec, s[4:5]
	s_cbranch_vccz .LBB25_40
; %bb.39:
	v_trunc_f32_e32 v1, v0
	v_mul_f32_e32 v4, 0x2f800000, v1
	v_floor_f32_e32 v4, v4
	v_fmamk_f32 v1, v4, 0xcf800000, v1
	v_cvt_u32_f32_e32 v5, v4
	v_cvt_u32_f32_e32 v4, v1
	s_mov_b64 s[2:3], -1
	s_mov_b64 s[0:1], 0
	s_mov_b64 s[4:5], 0
	global_store_dwordx2 v[2:3], v[4:5], off
	s_branch .LBB25_41
.LBB25_40:
	s_mov_b64 s[4:5], 0
.LBB25_41:
	s_and_b64 vcc, exec, s[4:5]
	s_cbranch_vccz .LBB25_57
; %bb.42:
	v_mov_b32_e32 v1, 27
	v_cmp_lt_i16_sdwa s[4:5], v25, v1 src0_sel:BYTE_0 src1_sel:DWORD
	s_mov_b64 s[2:3], -1
	s_and_b64 vcc, exec, s[4:5]
	s_cbranch_vccnz .LBB25_48
; %bb.43:
	v_cmp_gt_i16_sdwa s[4:5], v25, v1 src0_sel:BYTE_0 src1_sel:DWORD
	s_and_b64 vcc, exec, s[4:5]
	s_cbranch_vccz .LBB25_45
; %bb.44:
	v_cvt_u32_f32_e32 v1, v0
	s_mov_b64 s[2:3], 0
	global_store_dword v[2:3], v1, off
.LBB25_45:
	s_andn2_b64 vcc, exec, s[2:3]
	s_cbranch_vccnz .LBB25_47
; %bb.46:
	v_cvt_u32_f32_e32 v1, v0
	global_store_short v[2:3], v1, off
.LBB25_47:
	s_mov_b64 s[2:3], 0
.LBB25_48:
	s_andn2_b64 vcc, exec, s[2:3]
	s_cbranch_vccnz .LBB25_56
; %bb.49:
	v_and_b32_e32 v1, 0x7fffffff, v0
	s_mov_b32 s2, 0x43800000
	v_cmp_gt_u32_e32 vcc, s2, v1
	v_mov_b32_e32 v4, 0x80
	s_and_saveexec_b64 s[2:3], vcc
	s_cbranch_execz .LBB25_55
; %bb.50:
	s_mov_b32 s4, 0x3bffffff
	v_cmp_lt_u32_e32 vcc, s4, v1
	s_mov_b64 s[4:5], 0
                                        ; implicit-def: $vgpr1
	s_and_saveexec_b64 s[6:7], vcc
	s_xor_b64 s[6:7], exec, s[6:7]
	s_cbranch_execz .LBB25_171
; %bb.51:
	v_bfe_u32 v1, v0, 20, 1
	s_mov_b32 s8, 0x487ffff
	v_add3_u32 v1, v0, v1, s8
	s_mov_b64 s[4:5], exec
	v_lshrrev_b32_e32 v1, 20, v1
	s_or_saveexec_b64 s[6:7], s[6:7]
                                        ; implicit-def: $sgpr8
	s_xor_b64 exec, exec, s[6:7]
	s_cbranch_execnz .LBB25_172
.LBB25_52:
	s_or_b64 exec, exec, s[6:7]
	v_mov_b32_e32 v4, s8
	s_and_saveexec_b64 s[6:7], s[4:5]
.LBB25_53:
	v_lshrrev_b32_e32 v4, 24, v0
	s_movk_i32 s4, 0x80
	v_and_or_b32 v4, v4, s4, v1
.LBB25_54:
	s_or_b64 exec, exec, s[6:7]
.LBB25_55:
	s_or_b64 exec, exec, s[2:3]
	global_store_byte v[2:3], v4, off
.LBB25_56:
	s_mov_b64 s[2:3], -1
.LBB25_57:
	s_branch .LBB25_98
.LBB25_58:
	v_mov_b32_e32 v1, 22
	v_cmp_gt_i16_sdwa s[6:7], v25, v1 src0_sel:BYTE_0 src1_sel:DWORD
	s_mov_b64 s[4:5], -1
	s_and_b64 vcc, exec, s[6:7]
	s_cbranch_vccz .LBB25_90
; %bb.59:
	v_mov_b32_e32 v1, 24
	v_cmp_lt_i16_sdwa s[4:5], v25, v1 src0_sel:BYTE_0 src1_sel:DWORD
	s_mov_b64 s[2:3], -1
	s_and_b64 vcc, exec, s[4:5]
	s_cbranch_vccnz .LBB25_79
; %bb.60:
	v_cmp_gt_i16_sdwa s[4:5], v25, v1 src0_sel:BYTE_0 src1_sel:DWORD
	s_and_b64 vcc, exec, s[4:5]
	s_cbranch_vccz .LBB25_68
; %bb.61:
	v_and_b32_e32 v1, 0x7fffffff, v0
	s_mov_b32 s2, 0x47800000
	v_cmp_gt_u32_e32 vcc, s2, v1
	v_mov_b32_e32 v4, 0x80
	s_and_saveexec_b64 s[2:3], vcc
	s_cbranch_execz .LBB25_67
; %bb.62:
	s_mov_b32 s4, 0x37ffffff
	v_cmp_lt_u32_e32 vcc, s4, v1
	s_mov_b64 s[4:5], 0
                                        ; implicit-def: $vgpr1
	s_and_saveexec_b64 s[6:7], vcc
	s_xor_b64 s[6:7], exec, s[6:7]
	s_cbranch_execz .LBB25_174
; %bb.63:
	v_bfe_u32 v1, v0, 21, 1
	s_mov_b32 s8, 0x88fffff
	v_add3_u32 v1, v0, v1, s8
	s_mov_b64 s[4:5], exec
	v_lshrrev_b32_e32 v1, 21, v1
	s_or_saveexec_b64 s[6:7], s[6:7]
                                        ; implicit-def: $sgpr8
	s_xor_b64 exec, exec, s[6:7]
	s_cbranch_execnz .LBB25_175
.LBB25_64:
	s_or_b64 exec, exec, s[6:7]
	v_mov_b32_e32 v4, s8
	s_and_saveexec_b64 s[6:7], s[4:5]
.LBB25_65:
	v_lshrrev_b32_e32 v4, 24, v0
	s_movk_i32 s4, 0x80
	v_and_or_b32 v4, v4, s4, v1
.LBB25_66:
	s_or_b64 exec, exec, s[6:7]
.LBB25_67:
	s_or_b64 exec, exec, s[2:3]
	s_mov_b64 s[2:3], 0
	global_store_byte v[2:3], v4, off
.LBB25_68:
	s_and_b64 vcc, exec, s[2:3]
	s_cbranch_vccz .LBB25_78
; %bb.69:
	v_and_b32_e32 v4, 0x7fffffff, v0
	s_mov_b32 s2, 0x43f00000
	v_cmp_gt_u32_e32 vcc, s2, v4
                                        ; implicit-def: $vgpr1
	s_and_saveexec_b64 s[2:3], vcc
	s_xor_b64 s[2:3], exec, s[2:3]
	s_cbranch_execz .LBB25_75
; %bb.70:
	s_mov_b32 s4, 0x3c7fffff
	v_cmp_lt_u32_e32 vcc, s4, v4
                                        ; implicit-def: $vgpr1
	s_and_saveexec_b64 s[4:5], vcc
	s_xor_b64 s[4:5], exec, s[4:5]
; %bb.71:
	v_bfe_u32 v1, v0, 20, 1
	s_mov_b32 s6, 0x407ffff
	v_add3_u32 v1, v0, v1, s6
	v_lshrrev_b32_e32 v4, 20, v1
	v_and_b32_e32 v1, 0xff00000, v1
	s_mov_b32 s6, 0x7f00000
	v_mov_b32_e32 v5, 0x7e
	v_cmp_ne_u32_e32 vcc, s6, v1
	s_nop 1
	v_cndmask_b32_e32 v1, v5, v4, vcc
; %bb.72:
	s_andn2_saveexec_b64 s[4:5], s[4:5]
; %bb.73:
	s_mov_b32 s6, 0x46800000
	v_add_f32_e64 v1, |v0|, s6
; %bb.74:
	s_or_b64 exec, exec, s[4:5]
                                        ; implicit-def: $vgpr4
.LBB25_75:
	s_andn2_saveexec_b64 s[2:3], s[2:3]
; %bb.76:
	s_mov_b32 s4, 0x7f800000
	v_mov_b32_e32 v1, 0x7e
	v_mov_b32_e32 v5, 0x7f
	v_cmp_lt_u32_e32 vcc, s4, v4
	s_nop 1
	v_cndmask_b32_e32 v1, v1, v5, vcc
; %bb.77:
	s_or_b64 exec, exec, s[2:3]
	v_lshrrev_b32_e32 v4, 24, v0
	s_movk_i32 s2, 0x80
	v_and_or_b32 v1, v4, s2, v1
	global_store_byte v[2:3], v1, off
.LBB25_78:
	s_mov_b64 s[2:3], 0
.LBB25_79:
	s_andn2_b64 vcc, exec, s[2:3]
	s_cbranch_vccnz .LBB25_89
; %bb.80:
	v_and_b32_e32 v4, 0x7fffffff, v0
	s_mov_b32 s2, 0x47800000
	v_cmp_gt_u32_e32 vcc, s2, v4
                                        ; implicit-def: $vgpr1
	s_and_saveexec_b64 s[2:3], vcc
	s_xor_b64 s[2:3], exec, s[2:3]
	s_cbranch_execz .LBB25_86
; %bb.81:
	s_mov_b32 s4, 0x387fffff
	v_cmp_lt_u32_e32 vcc, s4, v4
                                        ; implicit-def: $vgpr1
	s_and_saveexec_b64 s[4:5], vcc
	s_xor_b64 s[4:5], exec, s[4:5]
; %bb.82:
	v_bfe_u32 v1, v0, 21, 1
	s_mov_b32 s6, 0x80fffff
	v_add3_u32 v1, v0, v1, s6
	v_lshrrev_b32_e32 v1, 21, v1
; %bb.83:
	s_andn2_saveexec_b64 s[4:5], s[4:5]
; %bb.84:
	s_mov_b32 s6, 0x43000000
	v_add_f32_e64 v1, |v0|, s6
; %bb.85:
	s_or_b64 exec, exec, s[4:5]
                                        ; implicit-def: $vgpr4
.LBB25_86:
	s_andn2_saveexec_b64 s[2:3], s[2:3]
; %bb.87:
	s_mov_b32 s4, 0x7f800000
	v_mov_b32_e32 v1, 0x7c
	v_mov_b32_e32 v5, 0x7f
	v_cmp_lt_u32_e32 vcc, s4, v4
	s_nop 1
	v_cndmask_b32_e32 v1, v1, v5, vcc
; %bb.88:
	s_or_b64 exec, exec, s[2:3]
	v_lshrrev_b32_e32 v4, 24, v0
	s_movk_i32 s2, 0x80
	v_and_or_b32 v1, v4, s2, v1
	global_store_byte v[2:3], v1, off
.LBB25_89:
	s_mov_b64 s[4:5], 0
	s_mov_b64 s[2:3], -1
.LBB25_90:
	s_andn2_b64 vcc, exec, s[4:5]
	s_cbranch_vccnz .LBB25_98
; %bb.91:
	v_mov_b32_e32 v1, 14
	v_cmp_gt_i16_sdwa s[6:7], v25, v1 src0_sel:BYTE_0 src1_sel:DWORD
	s_mov_b64 s[4:5], -1
	s_and_b64 vcc, exec, s[6:7]
	s_cbranch_vccz .LBB25_95
; %bb.92:
	v_mov_b32_e32 v1, 15
	v_cmp_eq_u16_sdwa s[4:5], v25, v1 src0_sel:BYTE_0 src1_sel:DWORD
	s_mov_b64 s[0:1], -1
	s_and_b64 vcc, exec, s[4:5]
	s_cbranch_vccz .LBB25_94
; %bb.93:
	v_bfe_u32 v1, v0, 16, 1
	s_movk_i32 s0, 0x7fff
	v_add3_u32 v1, v0, v1, s0
	v_lshrrev_b32_e32 v1, 16, v1
	v_mov_b32_e32 v4, 0x7fc0
	v_cmp_o_f32_e32 vcc, v0, v0
	s_mov_b64 s[2:3], -1
	s_mov_b64 s[0:1], 0
	v_cndmask_b32_e32 v1, v4, v1, vcc
	global_store_short v[2:3], v1, off
.LBB25_94:
	s_mov_b64 s[4:5], 0
.LBB25_95:
	s_and_b64 vcc, exec, s[4:5]
	s_cbranch_vccz .LBB25_98
; %bb.96:
	v_mov_b32_e32 v1, 11
	v_cmp_eq_u16_sdwa s[4:5], v25, v1 src0_sel:BYTE_0 src1_sel:DWORD
	s_mov_b64 s[0:1], -1
	s_and_b64 vcc, exec, s[4:5]
	s_cbranch_vccz .LBB25_98
; %bb.97:
	v_cmp_neq_f32_e32 vcc, 0, v0
	s_mov_b64 s[2:3], -1
	s_mov_b64 s[0:1], 0
	v_cndmask_b32_e64 v1, 0, 1, vcc
	global_store_byte v[2:3], v1, off
.LBB25_98:
	s_branch .LBB25_25
.LBB25_99:
	v_mov_b32_e32 v1, 5
	v_cmp_lt_i16_sdwa s[4:5], v25, v1 src0_sel:BYTE_0 src1_sel:DWORD
	s_mov_b64 s[2:3], -1
	s_and_b64 vcc, exec, s[4:5]
	s_cbranch_vccnz .LBB25_120
; %bb.100:
	v_mov_b32_e32 v1, 8
	v_cmp_lt_i16_sdwa s[4:5], v25, v1 src0_sel:BYTE_0 src1_sel:DWORD
	s_and_b64 vcc, exec, s[4:5]
	s_cbranch_vccnz .LBB25_110
; %bb.101:
	v_mov_b32_e32 v1, 9
	v_cmp_lt_i16_sdwa s[4:5], v25, v1 src0_sel:BYTE_0 src1_sel:DWORD
	s_and_b64 vcc, exec, s[4:5]
	s_cbranch_vccnz .LBB25_107
; %bb.102:
	v_cmp_gt_i16_sdwa s[4:5], v25, v1 src0_sel:BYTE_0 src1_sel:DWORD
	s_and_b64 vcc, exec, s[4:5]
	s_cbranch_vccz .LBB25_104
; %bb.103:
	v_mov_b32_e32 v6, 0
	v_cvt_f64_f32_e32 v[4:5], v0
	v_mov_b32_e32 v7, v6
	global_store_dwordx4 v[2:3], v[4:7], off
	s_mov_b64 s[2:3], 0
.LBB25_104:
	s_andn2_b64 vcc, exec, s[2:3]
	s_cbranch_vccnz .LBB25_106
; %bb.105:
	v_mov_b32_e32 v1, 0
	global_store_dwordx2 v[2:3], v[0:1], off
.LBB25_106:
	s_mov_b64 s[2:3], 0
.LBB25_107:
	s_andn2_b64 vcc, exec, s[2:3]
	s_cbranch_vccnz .LBB25_109
; %bb.108:
	v_cvt_f16_f32_e32 v1, v0
	global_store_dword v[2:3], v1, off
.LBB25_109:
	s_mov_b64 s[2:3], 0
.LBB25_110:
	s_andn2_b64 vcc, exec, s[2:3]
	s_cbranch_vccnz .LBB25_119
; %bb.111:
	v_mov_b32_e32 v1, 6
	v_cmp_lt_i16_sdwa s[4:5], v25, v1 src0_sel:BYTE_0 src1_sel:DWORD
	s_mov_b64 s[2:3], -1
	s_and_b64 vcc, exec, s[4:5]
	s_cbranch_vccnz .LBB25_117
; %bb.112:
	v_cmp_gt_i16_sdwa s[4:5], v25, v1 src0_sel:BYTE_0 src1_sel:DWORD
	s_and_b64 vcc, exec, s[4:5]
	s_cbranch_vccz .LBB25_114
; %bb.113:
	v_cvt_f64_f32_e32 v[4:5], v0
	global_store_dwordx2 v[2:3], v[4:5], off
	s_mov_b64 s[2:3], 0
.LBB25_114:
	s_andn2_b64 vcc, exec, s[2:3]
	s_cbranch_vccnz .LBB25_116
; %bb.115:
	global_store_dword v[2:3], v0, off
.LBB25_116:
	s_mov_b64 s[2:3], 0
.LBB25_117:
	s_andn2_b64 vcc, exec, s[2:3]
	s_cbranch_vccnz .LBB25_119
; %bb.118:
	v_cvt_f16_f32_e32 v1, v0
	global_store_short v[2:3], v1, off
.LBB25_119:
	s_mov_b64 s[2:3], 0
.LBB25_120:
	s_andn2_b64 vcc, exec, s[2:3]
	s_cbranch_vccnz .LBB25_136
; %bb.121:
	v_mov_b32_e32 v1, 2
	v_cmp_lt_i16_sdwa s[4:5], v25, v1 src0_sel:BYTE_0 src1_sel:DWORD
	s_mov_b64 s[2:3], -1
	s_and_b64 vcc, exec, s[4:5]
	s_cbranch_vccnz .LBB25_131
; %bb.122:
	v_mov_b32_e32 v1, 3
	v_cmp_lt_i16_sdwa s[4:5], v25, v1 src0_sel:BYTE_0 src1_sel:DWORD
	s_and_b64 vcc, exec, s[4:5]
	s_cbranch_vccnz .LBB25_128
; %bb.123:
	v_cmp_gt_i16_sdwa s[4:5], v25, v1 src0_sel:BYTE_0 src1_sel:DWORD
	s_and_b64 vcc, exec, s[4:5]
	s_cbranch_vccz .LBB25_125
; %bb.124:
	v_trunc_f32_e32 v1, v0
	s_mov_b32 s2, 0x2f800000
	v_mul_f32_e64 v4, |v1|, s2
	v_floor_f32_e32 v4, v4
	s_mov_b32 s2, 0xcf800000
	v_cvt_u32_f32_e32 v5, v4
	v_fma_f32 v4, v4, s2, |v1|
	v_cvt_u32_f32_e32 v4, v4
	v_ashrrev_i32_e32 v1, 31, v1
	v_xor_b32_e32 v5, v5, v1
	s_mov_b64 s[2:3], 0
	v_xor_b32_e32 v4, v4, v1
	v_sub_co_u32_e32 v4, vcc, v4, v1
	s_nop 1
	v_subb_co_u32_e32 v5, vcc, v5, v1, vcc
	global_store_dwordx2 v[2:3], v[4:5], off
.LBB25_125:
	s_andn2_b64 vcc, exec, s[2:3]
	s_cbranch_vccnz .LBB25_127
; %bb.126:
	v_cvt_i32_f32_e32 v1, v0
	global_store_dword v[2:3], v1, off
.LBB25_127:
	s_mov_b64 s[2:3], 0
.LBB25_128:
	s_andn2_b64 vcc, exec, s[2:3]
	s_cbranch_vccnz .LBB25_130
; %bb.129:
	v_cvt_i32_f32_e32 v1, v0
	global_store_short v[2:3], v1, off
.LBB25_130:
	s_mov_b64 s[2:3], 0
.LBB25_131:
	s_andn2_b64 vcc, exec, s[2:3]
	s_cbranch_vccnz .LBB25_136
; %bb.132:
	v_mov_b32_e32 v1, 0
	v_cmp_gt_i16_sdwa s[4:5], v25, v1 src0_sel:BYTE_0 src1_sel:DWORD
	s_mov_b64 s[2:3], -1
	s_and_b64 vcc, exec, s[4:5]
	s_cbranch_vccz .LBB25_134
; %bb.133:
	v_cvt_i32_f32_e32 v1, v0
	s_mov_b64 s[2:3], 0
	global_store_byte v[2:3], v1, off
.LBB25_134:
	s_andn2_b64 vcc, exec, s[2:3]
	s_cbranch_vccnz .LBB25_136
; %bb.135:
	v_trunc_f32_e32 v0, v0
	s_mov_b32 s2, 0x2f800000
	v_mul_f32_e64 v1, |v0|, s2
	v_floor_f32_e32 v1, v1
	s_mov_b32 s2, 0xcf800000
	v_fma_f32 v1, v1, s2, |v0|
	v_cvt_u32_f32_e32 v1, v1
	v_ashrrev_i32_e32 v0, 31, v0
	v_xor_b32_e32 v1, v1, v0
	v_sub_u32_e32 v0, v1, v0
	global_store_byte v[2:3], v0, off
.LBB25_136:
	s_branch .LBB25_26
.LBB25_137:
	s_mov_b64 s[2:3], 0
                                        ; implicit-def: $vgpr24
.LBB25_138:
	s_and_b64 s[58:59], s[0:1], exec
	s_orn2_b64 s[0:1], s[2:3], exec
.LBB25_139:
	s_or_b64 exec, exec, s[60:61]
	s_mov_b64 s[2:3], 0
                                        ; implicit-def: $vgpr4
                                        ; implicit-def: $vgpr2_vgpr3
                                        ; implicit-def: $vgpr0
	s_and_saveexec_b64 s[60:61], s[0:1]
	s_cbranch_execz .LBB25_147
; %bb.140:
	v_cmp_gt_i32_e32 vcc, s70, v24
	s_mov_b64 s[4:5], -1
	s_mov_b64 s[62:63], s[58:59]
	s_and_saveexec_b64 s[64:65], vcc
	s_cbranch_execz .LBB25_286
; %bb.141:
	s_andn2_b64 vcc, exec, s[34:35]
	s_cbranch_vccnz .LBB25_150
; %bb.142:
	s_mov_b32 s20, 0
	s_andn2_b64 vcc, exec, s[56:57]
	v_mov_b32_e32 v2, 0
	v_mov_b32_e32 v22, 0
	s_cbranch_vccnz .LBB25_156
; %bb.143:
	s_add_i32 s62, s73, 1
	s_cmp_eq_u32 s72, 2
	s_cbranch_scc1 .LBB25_151
; %bb.144:
	s_and_b32 s20, s62, 28
	s_mov_b32 s21, 0
	v_mov_b32_e32 v22, 0
	s_mov_b64 s[22:23], s[26:27]
	s_mov_b64 s[30:31], s[54:55]
	v_mov_b32_e32 v0, v24
	v_mov_b32_e32 v2, 0
.LBB25_145:                             ; =>This Inner Loop Header: Depth=1
	s_load_dwordx8 s[8:15], s[22:23], 0x4
	s_load_dwordx4 s[16:19], s[22:23], 0x24
	s_load_dwordx8 s[0:7], s[30:31], 0x0
	s_add_u32 s22, s22, 48
	s_addc_u32 s23, s23, 0
	s_waitcnt lgkmcnt(0)
	v_mul_hi_u32 v1, s9, v0
	v_add_u32_e32 v1, v0, v1
	v_lshrrev_b32_e32 v1, s10, v1
	v_mul_lo_u32 v3, v1, s8
	v_mul_hi_u32 v4, s12, v1
	v_sub_u32_e32 v0, v0, v3
	v_add_u32_e32 v3, v1, v4
	v_lshrrev_b32_e32 v3, s13, v3
	v_mul_lo_u32 v5, v3, s11
	v_mul_hi_u32 v6, s15, v3
	v_sub_u32_e32 v1, v1, v5
	v_add_u32_e32 v5, v3, v6
	v_mul_lo_u32 v4, v0, s1
	v_mul_lo_u32 v0, v0, s0
	;; [unrolled: 1-line block ×4, first 2 shown]
	v_lshrrev_b32_e32 v5, s16, v5
	v_add3_u32 v1, v0, v22, v1
	v_add3_u32 v2, v4, v2, v6
	v_mul_lo_u32 v0, v5, s14
	v_mul_hi_u32 v4, s18, v5
	v_sub_u32_e32 v0, v3, v0
	v_add_u32_e32 v3, v5, v4
	v_mul_lo_u32 v4, v0, s4
	v_mul_lo_u32 v6, v0, s5
	v_lshrrev_b32_e32 v0, s19, v3
	s_add_i32 s21, s21, 4
	v_mul_lo_u32 v3, v0, s17
	s_add_u32 s30, s30, 32
	v_sub_u32_e32 v3, v5, v3
	s_addc_u32 s31, s31, 0
	v_mul_lo_u32 v5, v3, s6
	v_mul_lo_u32 v3, v3, s7
	s_cmp_eq_u32 s20, s21
	v_add3_u32 v2, v6, v2, v3
	v_add3_u32 v22, v4, v1, v5
	s_cbranch_scc0 .LBB25_145
; %bb.146:
	v_mov_b32_e32 v23, v2
	s_branch .LBB25_152
.LBB25_147:
	s_or_b64 exec, exec, s[60:61]
	s_mov_b64 s[0:1], 0
	s_and_saveexec_b64 s[4:5], s[58:59]
	s_cbranch_execnz .LBB25_534
.LBB25_148:
	s_or_b64 exec, exec, s[4:5]
	s_and_saveexec_b64 s[4:5], s[64:65]
	s_xor_b64 s[4:5], exec, s[4:5]
	s_cbranch_execz .LBB25_535
.LBB25_149:
	v_cmp_neq_f32_e32 vcc, 0, v0
	s_nop 1
	v_cndmask_b32_e64 v1, 0, 1, vcc
	global_store_byte v[2:3], v1, off
	s_or_b64 exec, exec, s[4:5]
	s_and_saveexec_b64 s[4:5], s[2:3]
	s_xor_b64 s[2:3], exec, s[4:5]
	s_cbranch_execz .LBB25_573
	s_branch .LBB25_536
.LBB25_150:
                                        ; implicit-def: $vgpr2
                                        ; implicit-def: $vgpr22
	s_branch .LBB25_157
.LBB25_151:
	s_mov_b32 s21, s20
	v_mov_b64_e32 v[22:23], s[20:21]
                                        ; implicit-def: $vgpr2
	v_mov_b32_e32 v0, v24
.LBB25_152:
	s_and_b32 s4, s62, 3
	s_cmp_eq_u32 s4, 0
	s_cbranch_scc1 .LBB25_156
; %bb.153:
	s_lshl_b32 s0, s20, 3
	s_add_u32 s0, s0, s26
	s_addc_u32 s1, s27, 0
	s_add_u32 s0, s0, 0xc4
	s_addc_u32 s1, s1, 0
	s_mul_i32 s2, s20, 12
	s_add_u32 s2, s26, s2
	s_addc_u32 s3, s27, 0
.LBB25_154:                             ; =>This Inner Loop Header: Depth=1
	s_load_dwordx2 s[6:7], s[2:3], 0x4
	s_load_dword s5, s[2:3], 0xc
	s_load_dwordx2 s[8:9], s[0:1], 0x0
	s_add_u32 s2, s2, 12
	s_addc_u32 s3, s3, 0
	s_waitcnt lgkmcnt(0)
	v_mul_hi_u32 v1, s7, v0
	v_add_u32_e32 v1, v0, v1
	v_lshrrev_b32_e32 v1, s5, v1
	v_mul_lo_u32 v3, v1, s6
	v_mov_b32_e32 v2, v23
	s_add_u32 s0, s0, 8
	v_sub_u32_e32 v4, v0, v3
	s_addc_u32 s1, s1, 0
	s_add_i32 s4, s4, -1
	v_mad_u64_u32 v[2:3], s[6:7], v4, s9, v[2:3]
	v_mad_u64_u32 v[22:23], s[6:7], v4, s8, v[22:23]
	s_cmp_lg_u32 s4, 0
	v_mov_b32_e32 v0, v1
	v_mov_b32_e32 v23, v2
	s_cbranch_scc1 .LBB25_154
; %bb.155:
	v_mov_b32_e32 v2, v23
.LBB25_156:
	s_cbranch_execnz .LBB25_159
.LBB25_157:
	s_waitcnt lgkmcnt(0)
	v_mul_hi_u32 v0, s45, v24
	v_add_u32_e32 v0, v24, v0
	v_lshrrev_b32_e32 v0, s46, v0
	v_mul_lo_u32 v1, v0, s44
	v_sub_u32_e32 v1, v24, v1
	v_mul_lo_u32 v2, v1, s41
	s_andn2_b64 vcc, exec, s[52:53]
	v_mul_lo_u32 v22, v1, s40
	s_cbranch_vccnz .LBB25_159
; %bb.158:
	v_mul_hi_u32 v1, s50, v0
	v_add_u32_e32 v1, v0, v1
	v_lshrrev_b32_e32 v1, s51, v1
	v_mul_lo_u32 v1, v1, s47
	v_sub_u32_e32 v0, v0, v1
	v_mad_u64_u32 v[22:23], s[0:1], v0, s42, v[22:23]
	v_mad_u64_u32 v[2:3], s[0:1], v0, s43, v[2:3]
.LBB25_159:
	s_waitcnt lgkmcnt(0)
	v_mov_b32_e32 v0, s38
	v_mov_b32_e32 v1, s39
	;; [unrolled: 1-line block ×3, first 2 shown]
	s_getpc_b64 s[0:1]
	s_add_u32 s0, s0, _ZN2at6native6invokeIZZZNS0_12_GLOBAL__N_121bessel_y0_kernel_cudaERNS_18TensorIteratorBaseEENKUlvE_clEvENKUlvE0_clEvEUlfE_j15function_traitsIS7_EEENT1_11result_typeERKT_PrKPcPKT0_PKN3c1010ScalarTypeEi@rel32@lo+4
	s_addc_u32 s1, s1, _ZN2at6native6invokeIZZZNS0_12_GLOBAL__N_121bessel_y0_kernel_cudaERNS_18TensorIteratorBaseEENKUlvE_clEvENKUlvE0_clEvEUlfE_j15function_traitsIS7_EEENT1_11result_typeERKT_PrKPcPKT0_PKN3c1010ScalarTypeEi@rel32@hi+12
	s_swappc_b64 s[30:31], s[0:1]
	v_mov_b32_e32 v1, 11
	v_mov_b32_e32 v23, 0
	v_cmp_lt_i16_sdwa s[0:1], v25, v1 src0_sel:BYTE_0 src1_sel:DWORD
	v_lshl_add_u64 v[2:3], s[36:37], 0, v[22:23]
	s_and_b64 vcc, exec, s[0:1]
	s_cbranch_vccnz .LBB25_166
; %bb.160:
	v_mov_b32_e32 v1, 25
	v_cmp_gt_i16_sdwa s[0:1], v25, v1 src0_sel:BYTE_0 src1_sel:DWORD
	s_and_b64 vcc, exec, s[0:1]
	s_cbranch_vccz .LBB25_169
; %bb.161:
	v_mov_b32_e32 v1, 28
	v_cmp_gt_i16_sdwa s[0:1], v25, v1 src0_sel:BYTE_0 src1_sel:DWORD
	s_and_b64 vcc, exec, s[0:1]
	s_cbranch_vccz .LBB25_170
	;; [unrolled: 5-line block ×4, first 2 shown]
; %bb.164:
	v_mov_b32_e32 v1, 46
	v_cmp_eq_u16_sdwa s[2:3], v25, v1 src0_sel:BYTE_0 src1_sel:DWORD
	s_mov_b64 s[4:5], 0
	s_mov_b64 s[0:1], -1
	s_and_b64 vcc, exec, s[2:3]
	s_mov_b64 s[2:3], 0
	s_cbranch_vccz .LBB25_177
; %bb.165:
	v_bfe_u32 v1, v0, 16, 1
	s_movk_i32 s0, 0x7fff
	v_add3_u32 v1, v0, v1, s0
	v_lshrrev_b32_e32 v1, 16, v1
	v_mov_b32_e32 v4, 0x7fc0
	v_cmp_o_f32_e32 vcc, v0, v0
	s_mov_b64 s[2:3], -1
	s_mov_b64 s[0:1], 0
	v_cndmask_b32_e32 v1, v4, v1, vcc
	global_store_dword v[2:3], v1, off
	s_branch .LBB25_177
.LBB25_166:
	s_mov_b64 s[2:3], 0
	s_mov_b64 s[0:1], s[58:59]
	s_cbranch_execnz .LBB25_246
.LBB25_167:
	s_andn2_b64 vcc, exec, s[2:3]
	s_cbranch_vccnz .LBB25_284
.LBB25_168:
	v_add_u32_e32 v24, 0x80, v24
	s_mov_b64 s[2:3], -1
	s_branch .LBB25_285
.LBB25_169:
	s_mov_b64 s[4:5], -1
	s_mov_b64 s[2:3], 0
	s_mov_b64 s[0:1], s[58:59]
	s_branch .LBB25_204
.LBB25_170:
	s_mov_b64 s[4:5], -1
	s_mov_b64 s[2:3], 0
	s_mov_b64 s[0:1], s[58:59]
	s_branch .LBB25_187
.LBB25_171:
	s_or_saveexec_b64 s[6:7], s[6:7]
                                        ; implicit-def: $sgpr8
	s_xor_b64 exec, exec, s[6:7]
	s_cbranch_execz .LBB25_52
.LBB25_172:
	s_mov_b32 s8, 0x46000000
	v_add_f32_e64 v1, |v0|, s8
	v_and_b32_e32 v1, 0xff, v1
	v_cmp_ne_u32_e32 vcc, 0, v1
	s_andn2_b64 s[4:5], s[4:5], exec
	s_and_b64 s[10:11], vcc, exec
	s_mov_b32 s8, 0
	s_or_b64 s[4:5], s[4:5], s[10:11]
	s_or_b64 exec, exec, s[6:7]
	v_mov_b32_e32 v4, s8
	s_and_saveexec_b64 s[6:7], s[4:5]
	s_cbranch_execnz .LBB25_53
	s_branch .LBB25_54
.LBB25_173:
	s_mov_b64 s[4:5], -1
	s_mov_b64 s[2:3], 0
	s_mov_b64 s[0:1], s[58:59]
	s_branch .LBB25_183
.LBB25_174:
	s_or_saveexec_b64 s[6:7], s[6:7]
                                        ; implicit-def: $sgpr8
	s_xor_b64 exec, exec, s[6:7]
	s_cbranch_execz .LBB25_64
.LBB25_175:
	s_mov_b32 s8, 0x42800000
	v_add_f32_e64 v1, |v0|, s8
	v_and_b32_e32 v1, 0xff, v1
	v_cmp_ne_u32_e32 vcc, 0, v1
	s_andn2_b64 s[4:5], s[4:5], exec
	s_and_b64 s[10:11], vcc, exec
	s_mov_b32 s8, 0
	s_or_b64 s[4:5], s[4:5], s[10:11]
	s_or_b64 exec, exec, s[6:7]
	v_mov_b32_e32 v4, s8
	s_and_saveexec_b64 s[6:7], s[4:5]
	s_cbranch_execnz .LBB25_65
	s_branch .LBB25_66
.LBB25_176:
	s_mov_b64 s[4:5], -1
	s_mov_b64 s[2:3], 0
	s_mov_b64 s[0:1], s[58:59]
.LBB25_177:
	s_and_b64 vcc, exec, s[4:5]
	s_cbranch_vccz .LBB25_182
; %bb.178:
	v_mov_b32_e32 v1, 44
	v_cmp_eq_u16_sdwa s[4:5], v25, v1 src0_sel:BYTE_0 src1_sel:DWORD
	s_mov_b64 s[0:1], -1
	s_and_b64 vcc, exec, s[4:5]
	s_cbranch_vccz .LBB25_182
; %bb.179:
	v_bfe_u32 v1, v0, 23, 8
	s_movk_i32 s0, 0xff
	v_cmp_ne_u32_e32 vcc, s0, v1
	v_mov_b32_e32 v4, 0xff
	s_and_saveexec_b64 s[2:3], vcc
; %bb.180:
	s_mov_b32 s0, 0x3fffff
	v_and_b32_e32 v5, 0x400000, v0
	v_and_or_b32 v1, v0, s0, v1
	v_cmp_ne_u32_e32 vcc, 0, v5
	v_cmp_ne_u32_e64 s[0:1], 0, v1
	s_and_b64 s[0:1], vcc, s[0:1]
	v_lshrrev_b32_e32 v4, 23, v0
	v_cndmask_b32_e64 v1, 0, 1, s[0:1]
	v_add_u32_e32 v4, v4, v1
; %bb.181:
	s_or_b64 exec, exec, s[2:3]
	s_mov_b64 s[2:3], -1
	s_mov_b64 s[0:1], 0
	global_store_byte v[2:3], v4, off
.LBB25_182:
	s_mov_b64 s[4:5], 0
.LBB25_183:
	s_and_b64 vcc, exec, s[4:5]
	s_cbranch_vccz .LBB25_186
; %bb.184:
	v_mov_b32_e32 v1, 29
	v_cmp_eq_u16_sdwa s[4:5], v25, v1 src0_sel:BYTE_0 src1_sel:DWORD
	s_mov_b64 s[0:1], -1
	s_and_b64 vcc, exec, s[4:5]
	s_cbranch_vccz .LBB25_186
; %bb.185:
	v_trunc_f32_e32 v1, v0
	v_mul_f32_e32 v4, 0x2f800000, v1
	v_floor_f32_e32 v4, v4
	v_fmamk_f32 v1, v4, 0xcf800000, v1
	v_cvt_u32_f32_e32 v5, v4
	v_cvt_u32_f32_e32 v4, v1
	s_mov_b64 s[2:3], -1
	s_mov_b64 s[0:1], 0
	s_mov_b64 s[4:5], 0
	global_store_dwordx2 v[2:3], v[4:5], off
	s_branch .LBB25_187
.LBB25_186:
	s_mov_b64 s[4:5], 0
.LBB25_187:
	s_and_b64 vcc, exec, s[4:5]
	s_cbranch_vccz .LBB25_203
; %bb.188:
	v_mov_b32_e32 v1, 27
	v_cmp_lt_i16_sdwa s[4:5], v25, v1 src0_sel:BYTE_0 src1_sel:DWORD
	s_mov_b64 s[2:3], -1
	s_and_b64 vcc, exec, s[4:5]
	s_cbranch_vccnz .LBB25_194
; %bb.189:
	v_cmp_gt_i16_sdwa s[4:5], v25, v1 src0_sel:BYTE_0 src1_sel:DWORD
	v_cvt_u32_f32_e32 v1, v0
	s_and_b64 vcc, exec, s[4:5]
	s_cbranch_vccz .LBB25_191
; %bb.190:
	s_mov_b64 s[2:3], 0
	global_store_dword v[2:3], v1, off
.LBB25_191:
	s_andn2_b64 vcc, exec, s[2:3]
	s_cbranch_vccnz .LBB25_193
; %bb.192:
	global_store_short v[2:3], v1, off
.LBB25_193:
	s_mov_b64 s[2:3], 0
.LBB25_194:
	s_andn2_b64 vcc, exec, s[2:3]
	s_cbranch_vccnz .LBB25_202
; %bb.195:
	v_and_b32_e32 v1, 0x7fffffff, v0
	s_mov_b32 s2, 0x43800000
	v_cmp_gt_u32_e32 vcc, s2, v1
	v_mov_b32_e32 v4, 0x80
	s_and_saveexec_b64 s[2:3], vcc
	s_cbranch_execz .LBB25_201
; %bb.196:
	s_mov_b32 s4, 0x3bffffff
	v_cmp_lt_u32_e32 vcc, s4, v1
	s_mov_b64 s[4:5], 0
                                        ; implicit-def: $vgpr1
	s_and_saveexec_b64 s[6:7], vcc
	s_xor_b64 s[6:7], exec, s[6:7]
	s_cbranch_execz .LBB25_314
; %bb.197:
	v_bfe_u32 v1, v0, 20, 1
	s_mov_b32 s8, 0x487ffff
	v_add3_u32 v1, v0, v1, s8
	s_mov_b64 s[4:5], exec
	v_lshrrev_b32_e32 v1, 20, v1
	s_or_saveexec_b64 s[6:7], s[6:7]
                                        ; implicit-def: $sgpr8
	s_xor_b64 exec, exec, s[6:7]
	s_cbranch_execnz .LBB25_315
.LBB25_198:
	s_or_b64 exec, exec, s[6:7]
	v_mov_b32_e32 v4, s8
	s_and_saveexec_b64 s[6:7], s[4:5]
.LBB25_199:
	v_lshrrev_b32_e32 v4, 24, v0
	s_movk_i32 s4, 0x80
	v_and_or_b32 v4, v4, s4, v1
.LBB25_200:
	s_or_b64 exec, exec, s[6:7]
.LBB25_201:
	s_or_b64 exec, exec, s[2:3]
	global_store_byte v[2:3], v4, off
.LBB25_202:
	s_mov_b64 s[2:3], -1
.LBB25_203:
	s_mov_b64 s[4:5], 0
.LBB25_204:
	s_and_b64 vcc, exec, s[4:5]
	s_cbranch_vccz .LBB25_245
; %bb.205:
	v_mov_b32_e32 v1, 22
	v_cmp_gt_i16_sdwa s[6:7], v25, v1 src0_sel:BYTE_0 src1_sel:DWORD
	s_mov_b64 s[4:5], -1
	s_and_b64 vcc, exec, s[6:7]
	s_cbranch_vccz .LBB25_237
; %bb.206:
	v_mov_b32_e32 v1, 24
	v_cmp_lt_i16_sdwa s[4:5], v25, v1 src0_sel:BYTE_0 src1_sel:DWORD
	s_mov_b64 s[2:3], -1
	s_and_b64 vcc, exec, s[4:5]
	s_cbranch_vccnz .LBB25_226
; %bb.207:
	v_cmp_gt_i16_sdwa s[4:5], v25, v1 src0_sel:BYTE_0 src1_sel:DWORD
	s_and_b64 vcc, exec, s[4:5]
	s_cbranch_vccz .LBB25_215
; %bb.208:
	v_and_b32_e32 v1, 0x7fffffff, v0
	s_mov_b32 s2, 0x47800000
	v_cmp_gt_u32_e32 vcc, s2, v1
	v_mov_b32_e32 v4, 0x80
	s_and_saveexec_b64 s[2:3], vcc
	s_cbranch_execz .LBB25_214
; %bb.209:
	s_mov_b32 s4, 0x37ffffff
	v_cmp_lt_u32_e32 vcc, s4, v1
	s_mov_b64 s[4:5], 0
                                        ; implicit-def: $vgpr1
	s_and_saveexec_b64 s[6:7], vcc
	s_xor_b64 s[6:7], exec, s[6:7]
	s_cbranch_execz .LBB25_317
; %bb.210:
	v_bfe_u32 v1, v0, 21, 1
	s_mov_b32 s8, 0x88fffff
	v_add3_u32 v1, v0, v1, s8
	s_mov_b64 s[4:5], exec
	v_lshrrev_b32_e32 v1, 21, v1
	s_or_saveexec_b64 s[6:7], s[6:7]
                                        ; implicit-def: $sgpr8
	s_xor_b64 exec, exec, s[6:7]
	s_cbranch_execnz .LBB25_318
.LBB25_211:
	s_or_b64 exec, exec, s[6:7]
	v_mov_b32_e32 v4, s8
	s_and_saveexec_b64 s[6:7], s[4:5]
.LBB25_212:
	v_lshrrev_b32_e32 v4, 24, v0
	s_movk_i32 s4, 0x80
	v_and_or_b32 v4, v4, s4, v1
.LBB25_213:
	s_or_b64 exec, exec, s[6:7]
.LBB25_214:
	s_or_b64 exec, exec, s[2:3]
	s_mov_b64 s[2:3], 0
	global_store_byte v[2:3], v4, off
.LBB25_215:
	s_and_b64 vcc, exec, s[2:3]
	s_cbranch_vccz .LBB25_225
; %bb.216:
	v_and_b32_e32 v4, 0x7fffffff, v0
	s_mov_b32 s2, 0x43f00000
	v_cmp_gt_u32_e32 vcc, s2, v4
                                        ; implicit-def: $vgpr1
	s_and_saveexec_b64 s[2:3], vcc
	s_xor_b64 s[2:3], exec, s[2:3]
	s_cbranch_execz .LBB25_222
; %bb.217:
	s_mov_b32 s4, 0x3c7fffff
	v_cmp_lt_u32_e32 vcc, s4, v4
                                        ; implicit-def: $vgpr1
	s_and_saveexec_b64 s[4:5], vcc
	s_xor_b64 s[4:5], exec, s[4:5]
; %bb.218:
	v_bfe_u32 v1, v0, 20, 1
	s_mov_b32 s6, 0x407ffff
	v_add3_u32 v1, v0, v1, s6
	v_lshrrev_b32_e32 v4, 20, v1
	v_and_b32_e32 v1, 0xff00000, v1
	s_mov_b32 s6, 0x7f00000
	v_mov_b32_e32 v5, 0x7e
	v_cmp_ne_u32_e32 vcc, s6, v1
	s_nop 1
	v_cndmask_b32_e32 v1, v5, v4, vcc
; %bb.219:
	s_andn2_saveexec_b64 s[4:5], s[4:5]
; %bb.220:
	s_mov_b32 s6, 0x46800000
	v_add_f32_e64 v1, |v0|, s6
; %bb.221:
	s_or_b64 exec, exec, s[4:5]
                                        ; implicit-def: $vgpr4
.LBB25_222:
	s_andn2_saveexec_b64 s[2:3], s[2:3]
; %bb.223:
	s_mov_b32 s4, 0x7f800000
	v_mov_b32_e32 v1, 0x7e
	v_mov_b32_e32 v5, 0x7f
	v_cmp_lt_u32_e32 vcc, s4, v4
	s_nop 1
	v_cndmask_b32_e32 v1, v1, v5, vcc
; %bb.224:
	s_or_b64 exec, exec, s[2:3]
	v_lshrrev_b32_e32 v4, 24, v0
	s_movk_i32 s2, 0x80
	v_and_or_b32 v1, v4, s2, v1
	global_store_byte v[2:3], v1, off
.LBB25_225:
	s_mov_b64 s[2:3], 0
.LBB25_226:
	s_andn2_b64 vcc, exec, s[2:3]
	s_cbranch_vccnz .LBB25_236
; %bb.227:
	v_and_b32_e32 v4, 0x7fffffff, v0
	s_mov_b32 s2, 0x47800000
	v_cmp_gt_u32_e32 vcc, s2, v4
                                        ; implicit-def: $vgpr1
	s_and_saveexec_b64 s[2:3], vcc
	s_xor_b64 s[2:3], exec, s[2:3]
	s_cbranch_execz .LBB25_233
; %bb.228:
	s_mov_b32 s4, 0x387fffff
	v_cmp_lt_u32_e32 vcc, s4, v4
                                        ; implicit-def: $vgpr1
	s_and_saveexec_b64 s[4:5], vcc
	s_xor_b64 s[4:5], exec, s[4:5]
; %bb.229:
	v_bfe_u32 v1, v0, 21, 1
	s_mov_b32 s6, 0x80fffff
	v_add3_u32 v1, v0, v1, s6
	v_lshrrev_b32_e32 v1, 21, v1
; %bb.230:
	s_andn2_saveexec_b64 s[4:5], s[4:5]
; %bb.231:
	s_mov_b32 s6, 0x43000000
	v_add_f32_e64 v1, |v0|, s6
; %bb.232:
	s_or_b64 exec, exec, s[4:5]
                                        ; implicit-def: $vgpr4
.LBB25_233:
	s_andn2_saveexec_b64 s[2:3], s[2:3]
; %bb.234:
	s_mov_b32 s4, 0x7f800000
	v_mov_b32_e32 v1, 0x7c
	v_mov_b32_e32 v5, 0x7f
	v_cmp_lt_u32_e32 vcc, s4, v4
	s_nop 1
	v_cndmask_b32_e32 v1, v1, v5, vcc
; %bb.235:
	s_or_b64 exec, exec, s[2:3]
	v_lshrrev_b32_e32 v4, 24, v0
	s_movk_i32 s2, 0x80
	v_and_or_b32 v1, v4, s2, v1
	global_store_byte v[2:3], v1, off
.LBB25_236:
	s_mov_b64 s[4:5], 0
	s_mov_b64 s[2:3], -1
.LBB25_237:
	s_andn2_b64 vcc, exec, s[4:5]
	s_cbranch_vccnz .LBB25_245
; %bb.238:
	v_mov_b32_e32 v1, 14
	v_cmp_gt_i16_sdwa s[6:7], v25, v1 src0_sel:BYTE_0 src1_sel:DWORD
	s_mov_b64 s[4:5], -1
	s_and_b64 vcc, exec, s[6:7]
	s_cbranch_vccz .LBB25_242
; %bb.239:
	v_mov_b32_e32 v1, 15
	v_cmp_eq_u16_sdwa s[4:5], v25, v1 src0_sel:BYTE_0 src1_sel:DWORD
	s_mov_b64 s[0:1], -1
	s_and_b64 vcc, exec, s[4:5]
	s_cbranch_vccz .LBB25_241
; %bb.240:
	v_bfe_u32 v1, v0, 16, 1
	s_movk_i32 s0, 0x7fff
	v_add3_u32 v1, v0, v1, s0
	v_lshrrev_b32_e32 v1, 16, v1
	v_mov_b32_e32 v4, 0x7fc0
	v_cmp_o_f32_e32 vcc, v0, v0
	s_mov_b64 s[2:3], -1
	s_mov_b64 s[0:1], 0
	v_cndmask_b32_e32 v1, v4, v1, vcc
	global_store_short v[2:3], v1, off
.LBB25_241:
	s_mov_b64 s[4:5], 0
.LBB25_242:
	s_and_b64 vcc, exec, s[4:5]
	s_cbranch_vccz .LBB25_245
; %bb.243:
	v_mov_b32_e32 v1, 11
	v_cmp_eq_u16_sdwa s[4:5], v25, v1 src0_sel:BYTE_0 src1_sel:DWORD
	s_mov_b64 s[0:1], -1
	s_and_b64 vcc, exec, s[4:5]
	s_cbranch_vccz .LBB25_245
; %bb.244:
	v_cmp_neq_f32_e32 vcc, 0, v0
	s_mov_b64 s[2:3], -1
	s_mov_b64 s[0:1], 0
	v_cndmask_b32_e64 v1, 0, 1, vcc
	global_store_byte v[2:3], v1, off
.LBB25_245:
	s_branch .LBB25_167
.LBB25_246:
	v_mov_b32_e32 v1, 5
	v_cmp_lt_i16_sdwa s[4:5], v25, v1 src0_sel:BYTE_0 src1_sel:DWORD
	s_mov_b64 s[2:3], -1
	s_and_b64 vcc, exec, s[4:5]
	s_cbranch_vccnz .LBB25_267
; %bb.247:
	v_mov_b32_e32 v1, 8
	v_cmp_lt_i16_sdwa s[4:5], v25, v1 src0_sel:BYTE_0 src1_sel:DWORD
	s_and_b64 vcc, exec, s[4:5]
	s_cbranch_vccnz .LBB25_257
; %bb.248:
	v_mov_b32_e32 v1, 9
	v_cmp_lt_i16_sdwa s[4:5], v25, v1 src0_sel:BYTE_0 src1_sel:DWORD
	s_and_b64 vcc, exec, s[4:5]
	s_cbranch_vccnz .LBB25_254
; %bb.249:
	v_cmp_gt_i16_sdwa s[4:5], v25, v1 src0_sel:BYTE_0 src1_sel:DWORD
	s_and_b64 vcc, exec, s[4:5]
	s_cbranch_vccz .LBB25_251
; %bb.250:
	v_mov_b32_e32 v6, 0
	v_cvt_f64_f32_e32 v[4:5], v0
	v_mov_b32_e32 v7, v6
	s_mov_b64 s[2:3], 0
	global_store_dwordx4 v[2:3], v[4:7], off
.LBB25_251:
	s_andn2_b64 vcc, exec, s[2:3]
	s_cbranch_vccnz .LBB25_253
; %bb.252:
	v_mov_b32_e32 v1, 0
	global_store_dwordx2 v[2:3], v[0:1], off
.LBB25_253:
	s_mov_b64 s[2:3], 0
.LBB25_254:
	s_andn2_b64 vcc, exec, s[2:3]
	s_cbranch_vccnz .LBB25_256
; %bb.255:
	v_cvt_f16_f32_e32 v1, v0
	global_store_dword v[2:3], v1, off
.LBB25_256:
	s_mov_b64 s[2:3], 0
.LBB25_257:
	s_andn2_b64 vcc, exec, s[2:3]
	s_cbranch_vccnz .LBB25_266
; %bb.258:
	v_mov_b32_e32 v1, 6
	v_cmp_lt_i16_sdwa s[4:5], v25, v1 src0_sel:BYTE_0 src1_sel:DWORD
	s_mov_b64 s[2:3], -1
	s_and_b64 vcc, exec, s[4:5]
	s_cbranch_vccnz .LBB25_264
; %bb.259:
	v_cmp_gt_i16_sdwa s[4:5], v25, v1 src0_sel:BYTE_0 src1_sel:DWORD
	s_and_b64 vcc, exec, s[4:5]
	s_cbranch_vccz .LBB25_261
; %bb.260:
	v_cvt_f64_f32_e32 v[4:5], v0
	s_mov_b64 s[2:3], 0
	global_store_dwordx2 v[2:3], v[4:5], off
.LBB25_261:
	s_andn2_b64 vcc, exec, s[2:3]
	s_cbranch_vccnz .LBB25_263
; %bb.262:
	global_store_dword v[2:3], v0, off
.LBB25_263:
	s_mov_b64 s[2:3], 0
.LBB25_264:
	s_andn2_b64 vcc, exec, s[2:3]
	s_cbranch_vccnz .LBB25_266
; %bb.265:
	v_cvt_f16_f32_e32 v1, v0
	global_store_short v[2:3], v1, off
.LBB25_266:
	s_mov_b64 s[2:3], 0
.LBB25_267:
	s_andn2_b64 vcc, exec, s[2:3]
	s_cbranch_vccnz .LBB25_283
; %bb.268:
	v_mov_b32_e32 v1, 2
	v_cmp_lt_i16_sdwa s[4:5], v25, v1 src0_sel:BYTE_0 src1_sel:DWORD
	s_mov_b64 s[2:3], -1
	s_and_b64 vcc, exec, s[4:5]
	s_cbranch_vccnz .LBB25_278
; %bb.269:
	v_mov_b32_e32 v1, 3
	v_cmp_lt_i16_sdwa s[4:5], v25, v1 src0_sel:BYTE_0 src1_sel:DWORD
	s_and_b64 vcc, exec, s[4:5]
	s_cbranch_vccnz .LBB25_275
; %bb.270:
	v_cmp_gt_i16_sdwa s[4:5], v25, v1 src0_sel:BYTE_0 src1_sel:DWORD
	s_and_b64 vcc, exec, s[4:5]
	s_cbranch_vccz .LBB25_272
; %bb.271:
	v_trunc_f32_e32 v1, v0
	s_mov_b32 s2, 0x2f800000
	v_mul_f32_e64 v4, |v1|, s2
	v_floor_f32_e32 v4, v4
	s_mov_b32 s2, 0xcf800000
	v_cvt_u32_f32_e32 v5, v4
	v_fma_f32 v4, v4, s2, |v1|
	v_cvt_u32_f32_e32 v4, v4
	v_ashrrev_i32_e32 v1, 31, v1
	v_xor_b32_e32 v5, v5, v1
	s_mov_b64 s[2:3], 0
	v_xor_b32_e32 v4, v4, v1
	v_sub_co_u32_e32 v4, vcc, v4, v1
	s_nop 1
	v_subb_co_u32_e32 v5, vcc, v5, v1, vcc
	global_store_dwordx2 v[2:3], v[4:5], off
.LBB25_272:
	s_andn2_b64 vcc, exec, s[2:3]
	s_cbranch_vccnz .LBB25_274
; %bb.273:
	v_cvt_i32_f32_e32 v1, v0
	global_store_dword v[2:3], v1, off
.LBB25_274:
	s_mov_b64 s[2:3], 0
.LBB25_275:
	s_andn2_b64 vcc, exec, s[2:3]
	s_cbranch_vccnz .LBB25_277
; %bb.276:
	v_cvt_i32_f32_e32 v1, v0
	global_store_short v[2:3], v1, off
.LBB25_277:
	s_mov_b64 s[2:3], 0
.LBB25_278:
	s_andn2_b64 vcc, exec, s[2:3]
	s_cbranch_vccnz .LBB25_283
; %bb.279:
	v_mov_b32_e32 v1, 0
	v_cmp_gt_i16_sdwa s[4:5], v25, v1 src0_sel:BYTE_0 src1_sel:DWORD
	s_mov_b64 s[2:3], -1
	s_and_b64 vcc, exec, s[4:5]
	s_cbranch_vccz .LBB25_281
; %bb.280:
	v_cvt_i32_f32_e32 v1, v0
	s_mov_b64 s[2:3], 0
	global_store_byte v[2:3], v1, off
.LBB25_281:
	s_andn2_b64 vcc, exec, s[2:3]
	s_cbranch_vccnz .LBB25_283
; %bb.282:
	v_trunc_f32_e32 v0, v0
	s_mov_b32 s2, 0x2f800000
	v_mul_f32_e64 v1, |v0|, s2
	v_floor_f32_e32 v1, v1
	s_mov_b32 s2, 0xcf800000
	v_fma_f32 v1, v1, s2, |v0|
	v_cvt_u32_f32_e32 v1, v1
	v_ashrrev_i32_e32 v0, 31, v0
	v_xor_b32_e32 v1, v1, v0
	v_sub_u32_e32 v0, v1, v0
	global_store_byte v[2:3], v0, off
.LBB25_283:
	s_branch .LBB25_168
.LBB25_284:
	s_mov_b64 s[2:3], 0
                                        ; implicit-def: $vgpr24
.LBB25_285:
	s_andn2_b64 s[4:5], s[58:59], exec
	s_and_b64 s[0:1], s[0:1], exec
	s_or_b64 s[62:63], s[4:5], s[0:1]
	s_orn2_b64 s[4:5], s[2:3], exec
.LBB25_286:
	s_or_b64 exec, exec, s[64:65]
	s_mov_b64 s[0:1], 0
	s_mov_b64 s[2:3], 0
                                        ; implicit-def: $vgpr4
                                        ; implicit-def: $vgpr2_vgpr3
                                        ; implicit-def: $vgpr0
	s_and_saveexec_b64 s[64:65], s[4:5]
	s_cbranch_execz .LBB25_533
; %bb.287:
	v_cmp_gt_i32_e32 vcc, s70, v24
	s_mov_b64 s[2:3], -1
	s_mov_b64 s[68:69], s[62:63]
	s_and_saveexec_b64 s[66:67], vcc
	s_cbranch_execz .LBB25_432
; %bb.288:
	s_andn2_b64 vcc, exec, s[34:35]
	s_cbranch_vccnz .LBB25_294
; %bb.289:
	s_mov_b32 s20, 0
	s_andn2_b64 vcc, exec, s[56:57]
	v_mov_b32_e32 v2, 0
	v_mov_b32_e32 v22, 0
	s_cbranch_vccnz .LBB25_300
; %bb.290:
	s_add_i32 s68, s73, 1
	s_cmp_eq_u32 s72, 2
	s_cbranch_scc1 .LBB25_295
; %bb.291:
	s_and_b32 s20, s68, 28
	s_mov_b32 s21, 0
	v_mov_b32_e32 v22, 0
	s_mov_b64 s[22:23], s[26:27]
	s_mov_b64 s[30:31], s[54:55]
	v_mov_b32_e32 v0, v24
	v_mov_b32_e32 v2, 0
.LBB25_292:                             ; =>This Inner Loop Header: Depth=1
	s_load_dwordx8 s[8:15], s[22:23], 0x4
	s_load_dwordx4 s[16:19], s[22:23], 0x24
	s_load_dwordx8 s[0:7], s[30:31], 0x0
	s_add_u32 s22, s22, 48
	s_addc_u32 s23, s23, 0
	s_waitcnt lgkmcnt(0)
	v_mul_hi_u32 v1, s9, v0
	v_add_u32_e32 v1, v0, v1
	v_lshrrev_b32_e32 v1, s10, v1
	v_mul_lo_u32 v3, v1, s8
	v_mul_hi_u32 v4, s12, v1
	v_sub_u32_e32 v0, v0, v3
	v_add_u32_e32 v3, v1, v4
	v_lshrrev_b32_e32 v3, s13, v3
	v_mul_lo_u32 v5, v3, s11
	v_mul_hi_u32 v6, s15, v3
	v_sub_u32_e32 v1, v1, v5
	v_add_u32_e32 v5, v3, v6
	v_mul_lo_u32 v4, v0, s1
	v_mul_lo_u32 v0, v0, s0
	;; [unrolled: 1-line block ×4, first 2 shown]
	v_lshrrev_b32_e32 v5, s16, v5
	v_add3_u32 v1, v0, v22, v1
	v_add3_u32 v2, v4, v2, v6
	v_mul_lo_u32 v0, v5, s14
	v_mul_hi_u32 v4, s18, v5
	v_sub_u32_e32 v0, v3, v0
	v_add_u32_e32 v3, v5, v4
	v_mul_lo_u32 v4, v0, s4
	v_mul_lo_u32 v6, v0, s5
	v_lshrrev_b32_e32 v0, s19, v3
	s_add_i32 s21, s21, 4
	v_mul_lo_u32 v3, v0, s17
	s_add_u32 s30, s30, 32
	v_sub_u32_e32 v3, v5, v3
	s_addc_u32 s31, s31, 0
	v_mul_lo_u32 v5, v3, s6
	v_mul_lo_u32 v3, v3, s7
	s_cmp_eq_u32 s20, s21
	v_add3_u32 v2, v6, v2, v3
	v_add3_u32 v22, v4, v1, v5
	s_cbranch_scc0 .LBB25_292
; %bb.293:
	v_mov_b32_e32 v23, v2
	s_branch .LBB25_296
.LBB25_294:
	s_mov_b64 s[0:1], -1
                                        ; implicit-def: $vgpr2
                                        ; implicit-def: $vgpr22
	s_branch .LBB25_301
.LBB25_295:
	s_mov_b32 s21, s20
	v_mov_b64_e32 v[22:23], s[20:21]
                                        ; implicit-def: $vgpr2
	v_mov_b32_e32 v0, v24
.LBB25_296:
	s_and_b32 s4, s68, 3
	s_cmp_eq_u32 s4, 0
	s_cbranch_scc1 .LBB25_300
; %bb.297:
	s_lshl_b32 s0, s20, 3
	s_add_u32 s0, s0, s26
	s_addc_u32 s1, s27, 0
	s_add_u32 s0, s0, 0xc4
	s_addc_u32 s1, s1, 0
	s_mul_i32 s2, s20, 12
	s_add_u32 s2, s26, s2
	s_addc_u32 s3, s27, 0
.LBB25_298:                             ; =>This Inner Loop Header: Depth=1
	s_load_dwordx2 s[6:7], s[2:3], 0x4
	s_load_dword s5, s[2:3], 0xc
	s_load_dwordx2 s[8:9], s[0:1], 0x0
	s_add_u32 s2, s2, 12
	s_addc_u32 s3, s3, 0
	s_waitcnt lgkmcnt(0)
	v_mul_hi_u32 v1, s7, v0
	v_add_u32_e32 v1, v0, v1
	v_lshrrev_b32_e32 v1, s5, v1
	v_mul_lo_u32 v3, v1, s6
	v_mov_b32_e32 v2, v23
	s_add_u32 s0, s0, 8
	v_sub_u32_e32 v4, v0, v3
	s_addc_u32 s1, s1, 0
	s_add_i32 s4, s4, -1
	v_mad_u64_u32 v[2:3], s[6:7], v4, s9, v[2:3]
	v_mad_u64_u32 v[22:23], s[6:7], v4, s8, v[22:23]
	s_cmp_lg_u32 s4, 0
	v_mov_b32_e32 v0, v1
	v_mov_b32_e32 v23, v2
	s_cbranch_scc1 .LBB25_298
; %bb.299:
	v_mov_b32_e32 v2, v23
.LBB25_300:
	s_mov_b64 s[0:1], 0
.LBB25_301:
	s_andn2_b64 vcc, exec, s[0:1]
	s_cbranch_vccnz .LBB25_304
; %bb.302:
	s_waitcnt lgkmcnt(0)
	v_mul_hi_u32 v0, s45, v24
	v_add_u32_e32 v0, v24, v0
	v_lshrrev_b32_e32 v0, s46, v0
	v_mul_lo_u32 v1, v0, s44
	v_sub_u32_e32 v1, v24, v1
	v_mul_lo_u32 v2, v1, s41
	s_andn2_b64 vcc, exec, s[52:53]
	v_mul_lo_u32 v22, v1, s40
	s_cbranch_vccnz .LBB25_304
; %bb.303:
	v_mul_hi_u32 v1, s50, v0
	v_add_u32_e32 v1, v0, v1
	v_lshrrev_b32_e32 v1, s51, v1
	v_mul_lo_u32 v1, v1, s47
	v_sub_u32_e32 v0, v0, v1
	v_mad_u64_u32 v[22:23], s[0:1], v0, s42, v[22:23]
	v_mad_u64_u32 v[2:3], s[0:1], v0, s43, v[2:3]
.LBB25_304:
	s_waitcnt lgkmcnt(0)
	v_mov_b32_e32 v0, s38
	v_mov_b32_e32 v1, s39
	;; [unrolled: 1-line block ×3, first 2 shown]
	s_getpc_b64 s[0:1]
	s_add_u32 s0, s0, _ZN2at6native6invokeIZZZNS0_12_GLOBAL__N_121bessel_y0_kernel_cudaERNS_18TensorIteratorBaseEENKUlvE_clEvENKUlvE0_clEvEUlfE_j15function_traitsIS7_EEENT1_11result_typeERKT_PrKPcPKT0_PKN3c1010ScalarTypeEi@rel32@lo+4
	s_addc_u32 s1, s1, _ZN2at6native6invokeIZZZNS0_12_GLOBAL__N_121bessel_y0_kernel_cudaERNS_18TensorIteratorBaseEENKUlvE_clEvENKUlvE0_clEvEUlfE_j15function_traitsIS7_EEENT1_11result_typeERKT_PrKPcPKT0_PKN3c1010ScalarTypeEi@rel32@hi+12
	s_swappc_b64 s[30:31], s[0:1]
	v_mov_b32_e32 v1, 11
	v_mov_b32_e32 v23, 0
	v_cmp_lt_i16_sdwa s[0:1], v25, v1 src0_sel:BYTE_0 src1_sel:DWORD
	v_lshl_add_u64 v[2:3], s[36:37], 0, v[22:23]
	s_and_b64 vcc, exec, s[0:1]
	s_cbranch_vccnz .LBB25_311
; %bb.305:
	v_mov_b32_e32 v1, 25
	v_cmp_gt_i16_sdwa s[0:1], v25, v1 src0_sel:BYTE_0 src1_sel:DWORD
	s_and_b64 vcc, exec, s[0:1]
	s_cbranch_vccz .LBB25_312
; %bb.306:
	v_mov_b32_e32 v1, 28
	v_cmp_gt_i16_sdwa s[0:1], v25, v1 src0_sel:BYTE_0 src1_sel:DWORD
	s_and_b64 vcc, exec, s[0:1]
	s_cbranch_vccz .LBB25_313
	;; [unrolled: 5-line block ×4, first 2 shown]
; %bb.309:
	v_mov_b32_e32 v1, 46
	v_cmp_eq_u16_sdwa s[2:3], v25, v1 src0_sel:BYTE_0 src1_sel:DWORD
	s_mov_b64 s[4:5], 0
	s_mov_b64 s[0:1], -1
	s_and_b64 vcc, exec, s[2:3]
	s_mov_b64 s[2:3], 0
	s_cbranch_vccz .LBB25_320
; %bb.310:
	v_bfe_u32 v1, v0, 16, 1
	s_movk_i32 s0, 0x7fff
	v_add3_u32 v1, v0, v1, s0
	v_lshrrev_b32_e32 v1, 16, v1
	v_mov_b32_e32 v4, 0x7fc0
	v_cmp_o_f32_e32 vcc, v0, v0
	s_mov_b64 s[2:3], -1
	s_mov_b64 s[0:1], 0
	v_cndmask_b32_e32 v1, v4, v1, vcc
	global_store_dword v[2:3], v1, off
	s_branch .LBB25_320
.LBB25_311:
	s_mov_b64 s[4:5], -1
	s_mov_b64 s[2:3], 0
	s_mov_b64 s[0:1], s[62:63]
	s_branch .LBB25_389
.LBB25_312:
	s_mov_b64 s[4:5], -1
	s_mov_b64 s[2:3], 0
	s_mov_b64 s[0:1], s[62:63]
	s_branch .LBB25_347
.LBB25_313:
	s_mov_b64 s[4:5], -1
	s_mov_b64 s[2:3], 0
	s_mov_b64 s[0:1], s[62:63]
	s_branch .LBB25_330
.LBB25_314:
	s_or_saveexec_b64 s[6:7], s[6:7]
                                        ; implicit-def: $sgpr8
	s_xor_b64 exec, exec, s[6:7]
	s_cbranch_execz .LBB25_198
.LBB25_315:
	s_mov_b32 s8, 0x46000000
	v_add_f32_e64 v1, |v0|, s8
	v_and_b32_e32 v1, 0xff, v1
	v_cmp_ne_u32_e32 vcc, 0, v1
	s_andn2_b64 s[4:5], s[4:5], exec
	s_and_b64 s[10:11], vcc, exec
	s_mov_b32 s8, 0
	s_or_b64 s[4:5], s[4:5], s[10:11]
	s_or_b64 exec, exec, s[6:7]
	v_mov_b32_e32 v4, s8
	s_and_saveexec_b64 s[6:7], s[4:5]
	s_cbranch_execnz .LBB25_199
	s_branch .LBB25_200
.LBB25_316:
	s_mov_b64 s[4:5], -1
	s_mov_b64 s[2:3], 0
	s_mov_b64 s[0:1], s[62:63]
	s_branch .LBB25_326
.LBB25_317:
	s_or_saveexec_b64 s[6:7], s[6:7]
                                        ; implicit-def: $sgpr8
	s_xor_b64 exec, exec, s[6:7]
	s_cbranch_execz .LBB25_211
.LBB25_318:
	s_mov_b32 s8, 0x42800000
	v_add_f32_e64 v1, |v0|, s8
	v_and_b32_e32 v1, 0xff, v1
	v_cmp_ne_u32_e32 vcc, 0, v1
	s_andn2_b64 s[4:5], s[4:5], exec
	s_and_b64 s[10:11], vcc, exec
	s_mov_b32 s8, 0
	s_or_b64 s[4:5], s[4:5], s[10:11]
	s_or_b64 exec, exec, s[6:7]
	v_mov_b32_e32 v4, s8
	s_and_saveexec_b64 s[6:7], s[4:5]
	s_cbranch_execnz .LBB25_212
	s_branch .LBB25_213
.LBB25_319:
	s_mov_b64 s[4:5], -1
	s_mov_b64 s[2:3], 0
	s_mov_b64 s[0:1], s[62:63]
.LBB25_320:
	s_and_b64 vcc, exec, s[4:5]
	s_cbranch_vccz .LBB25_325
; %bb.321:
	v_mov_b32_e32 v1, 44
	v_cmp_eq_u16_sdwa s[4:5], v25, v1 src0_sel:BYTE_0 src1_sel:DWORD
	s_mov_b64 s[0:1], -1
	s_and_b64 vcc, exec, s[4:5]
	s_cbranch_vccz .LBB25_325
; %bb.322:
	v_bfe_u32 v1, v0, 23, 8
	s_movk_i32 s0, 0xff
	v_cmp_ne_u32_e32 vcc, s0, v1
	v_mov_b32_e32 v4, 0xff
	s_and_saveexec_b64 s[2:3], vcc
; %bb.323:
	s_mov_b32 s0, 0x3fffff
	v_and_b32_e32 v5, 0x400000, v0
	v_and_or_b32 v1, v0, s0, v1
	v_cmp_ne_u32_e32 vcc, 0, v5
	v_cmp_ne_u32_e64 s[0:1], 0, v1
	s_and_b64 s[0:1], vcc, s[0:1]
	v_lshrrev_b32_e32 v4, 23, v0
	v_cndmask_b32_e64 v1, 0, 1, s[0:1]
	v_add_u32_e32 v4, v4, v1
; %bb.324:
	s_or_b64 exec, exec, s[2:3]
	s_mov_b64 s[2:3], -1
	s_mov_b64 s[0:1], 0
	global_store_byte v[2:3], v4, off
.LBB25_325:
	s_mov_b64 s[4:5], 0
.LBB25_326:
	s_and_b64 vcc, exec, s[4:5]
	s_cbranch_vccz .LBB25_329
; %bb.327:
	v_mov_b32_e32 v1, 29
	v_cmp_eq_u16_sdwa s[4:5], v25, v1 src0_sel:BYTE_0 src1_sel:DWORD
	s_mov_b64 s[0:1], -1
	s_and_b64 vcc, exec, s[4:5]
	s_cbranch_vccz .LBB25_329
; %bb.328:
	v_trunc_f32_e32 v1, v0
	v_mul_f32_e32 v4, 0x2f800000, v1
	v_floor_f32_e32 v4, v4
	v_fmamk_f32 v1, v4, 0xcf800000, v1
	v_cvt_u32_f32_e32 v5, v4
	v_cvt_u32_f32_e32 v4, v1
	s_mov_b64 s[2:3], -1
	s_mov_b64 s[0:1], 0
	s_mov_b64 s[4:5], 0
	global_store_dwordx2 v[2:3], v[4:5], off
	s_branch .LBB25_330
.LBB25_329:
	s_mov_b64 s[4:5], 0
.LBB25_330:
	s_and_b64 vcc, exec, s[4:5]
	s_cbranch_vccz .LBB25_346
; %bb.331:
	v_mov_b32_e32 v1, 27
	v_cmp_lt_i16_sdwa s[4:5], v25, v1 src0_sel:BYTE_0 src1_sel:DWORD
	s_mov_b64 s[2:3], -1
	s_and_b64 vcc, exec, s[4:5]
	s_cbranch_vccnz .LBB25_337
; %bb.332:
	v_cmp_gt_i16_sdwa s[4:5], v25, v1 src0_sel:BYTE_0 src1_sel:DWORD
	v_cvt_u32_f32_e32 v1, v0
	s_and_b64 vcc, exec, s[4:5]
	s_cbranch_vccz .LBB25_334
; %bb.333:
	s_mov_b64 s[2:3], 0
	global_store_dword v[2:3], v1, off
.LBB25_334:
	s_andn2_b64 vcc, exec, s[2:3]
	s_cbranch_vccnz .LBB25_336
; %bb.335:
	global_store_short v[2:3], v1, off
.LBB25_336:
	s_mov_b64 s[2:3], 0
.LBB25_337:
	s_andn2_b64 vcc, exec, s[2:3]
	s_cbranch_vccnz .LBB25_345
; %bb.338:
	v_and_b32_e32 v1, 0x7fffffff, v0
	s_mov_b32 s2, 0x43800000
	v_cmp_gt_u32_e32 vcc, s2, v1
	v_mov_b32_e32 v4, 0x80
	s_and_saveexec_b64 s[2:3], vcc
	s_cbranch_execz .LBB25_344
; %bb.339:
	s_mov_b32 s4, 0x3bffffff
	v_cmp_lt_u32_e32 vcc, s4, v1
	s_mov_b64 s[4:5], 0
                                        ; implicit-def: $vgpr1
	s_and_saveexec_b64 s[6:7], vcc
	s_xor_b64 s[6:7], exec, s[6:7]
	s_cbranch_execz .LBB25_458
; %bb.340:
	v_bfe_u32 v1, v0, 20, 1
	s_mov_b32 s8, 0x487ffff
	v_add3_u32 v1, v0, v1, s8
	s_mov_b64 s[4:5], exec
	v_lshrrev_b32_e32 v1, 20, v1
	s_or_saveexec_b64 s[6:7], s[6:7]
                                        ; implicit-def: $sgpr8
	s_xor_b64 exec, exec, s[6:7]
	s_cbranch_execnz .LBB25_459
.LBB25_341:
	s_or_b64 exec, exec, s[6:7]
	v_mov_b32_e32 v4, s8
	s_and_saveexec_b64 s[6:7], s[4:5]
.LBB25_342:
	v_lshrrev_b32_e32 v4, 24, v0
	s_movk_i32 s4, 0x80
	v_and_or_b32 v4, v4, s4, v1
.LBB25_343:
	s_or_b64 exec, exec, s[6:7]
.LBB25_344:
	s_or_b64 exec, exec, s[2:3]
	global_store_byte v[2:3], v4, off
.LBB25_345:
	s_mov_b64 s[2:3], -1
.LBB25_346:
	s_mov_b64 s[4:5], 0
.LBB25_347:
	s_and_b64 vcc, exec, s[4:5]
	s_cbranch_vccz .LBB25_388
; %bb.348:
	v_mov_b32_e32 v1, 22
	v_cmp_gt_i16_sdwa s[6:7], v25, v1 src0_sel:BYTE_0 src1_sel:DWORD
	s_mov_b64 s[4:5], -1
	s_and_b64 vcc, exec, s[6:7]
	s_cbranch_vccz .LBB25_380
; %bb.349:
	v_mov_b32_e32 v1, 24
	v_cmp_lt_i16_sdwa s[4:5], v25, v1 src0_sel:BYTE_0 src1_sel:DWORD
	s_mov_b64 s[2:3], -1
	s_and_b64 vcc, exec, s[4:5]
	s_cbranch_vccnz .LBB25_369
; %bb.350:
	v_cmp_gt_i16_sdwa s[4:5], v25, v1 src0_sel:BYTE_0 src1_sel:DWORD
	s_and_b64 vcc, exec, s[4:5]
	s_cbranch_vccz .LBB25_358
; %bb.351:
	v_and_b32_e32 v1, 0x7fffffff, v0
	s_mov_b32 s2, 0x47800000
	v_cmp_gt_u32_e32 vcc, s2, v1
	v_mov_b32_e32 v4, 0x80
	s_and_saveexec_b64 s[2:3], vcc
	s_cbranch_execz .LBB25_357
; %bb.352:
	s_mov_b32 s4, 0x37ffffff
	v_cmp_lt_u32_e32 vcc, s4, v1
	s_mov_b64 s[4:5], 0
                                        ; implicit-def: $vgpr1
	s_and_saveexec_b64 s[6:7], vcc
	s_xor_b64 s[6:7], exec, s[6:7]
	s_cbranch_execz .LBB25_460
; %bb.353:
	v_bfe_u32 v1, v0, 21, 1
	s_mov_b32 s8, 0x88fffff
	v_add3_u32 v1, v0, v1, s8
	s_mov_b64 s[4:5], exec
	v_lshrrev_b32_e32 v1, 21, v1
	s_or_saveexec_b64 s[6:7], s[6:7]
                                        ; implicit-def: $sgpr8
	s_xor_b64 exec, exec, s[6:7]
	s_cbranch_execnz .LBB25_461
.LBB25_354:
	s_or_b64 exec, exec, s[6:7]
	v_mov_b32_e32 v4, s8
	s_and_saveexec_b64 s[6:7], s[4:5]
.LBB25_355:
	v_lshrrev_b32_e32 v4, 24, v0
	s_movk_i32 s4, 0x80
	v_and_or_b32 v4, v4, s4, v1
.LBB25_356:
	s_or_b64 exec, exec, s[6:7]
.LBB25_357:
	s_or_b64 exec, exec, s[2:3]
	s_mov_b64 s[2:3], 0
	global_store_byte v[2:3], v4, off
.LBB25_358:
	s_and_b64 vcc, exec, s[2:3]
	s_cbranch_vccz .LBB25_368
; %bb.359:
	v_and_b32_e32 v4, 0x7fffffff, v0
	s_mov_b32 s2, 0x43f00000
	v_cmp_gt_u32_e32 vcc, s2, v4
                                        ; implicit-def: $vgpr1
	s_and_saveexec_b64 s[2:3], vcc
	s_xor_b64 s[2:3], exec, s[2:3]
	s_cbranch_execz .LBB25_365
; %bb.360:
	s_mov_b32 s4, 0x3c7fffff
	v_cmp_lt_u32_e32 vcc, s4, v4
                                        ; implicit-def: $vgpr1
	s_and_saveexec_b64 s[4:5], vcc
	s_xor_b64 s[4:5], exec, s[4:5]
; %bb.361:
	v_bfe_u32 v1, v0, 20, 1
	s_mov_b32 s6, 0x407ffff
	v_add3_u32 v1, v0, v1, s6
	v_lshrrev_b32_e32 v4, 20, v1
	v_and_b32_e32 v1, 0xff00000, v1
	s_mov_b32 s6, 0x7f00000
	v_mov_b32_e32 v5, 0x7e
	v_cmp_ne_u32_e32 vcc, s6, v1
	s_nop 1
	v_cndmask_b32_e32 v1, v5, v4, vcc
; %bb.362:
	s_andn2_saveexec_b64 s[4:5], s[4:5]
; %bb.363:
	s_mov_b32 s6, 0x46800000
	v_add_f32_e64 v1, |v0|, s6
; %bb.364:
	s_or_b64 exec, exec, s[4:5]
                                        ; implicit-def: $vgpr4
.LBB25_365:
	s_andn2_saveexec_b64 s[2:3], s[2:3]
; %bb.366:
	s_mov_b32 s4, 0x7f800000
	v_mov_b32_e32 v1, 0x7e
	v_mov_b32_e32 v5, 0x7f
	v_cmp_lt_u32_e32 vcc, s4, v4
	s_nop 1
	v_cndmask_b32_e32 v1, v1, v5, vcc
; %bb.367:
	s_or_b64 exec, exec, s[2:3]
	v_lshrrev_b32_e32 v4, 24, v0
	s_movk_i32 s2, 0x80
	v_and_or_b32 v1, v4, s2, v1
	global_store_byte v[2:3], v1, off
.LBB25_368:
	s_mov_b64 s[2:3], 0
.LBB25_369:
	s_andn2_b64 vcc, exec, s[2:3]
	s_cbranch_vccnz .LBB25_379
; %bb.370:
	v_and_b32_e32 v4, 0x7fffffff, v0
	s_mov_b32 s2, 0x47800000
	v_cmp_gt_u32_e32 vcc, s2, v4
                                        ; implicit-def: $vgpr1
	s_and_saveexec_b64 s[2:3], vcc
	s_xor_b64 s[2:3], exec, s[2:3]
	s_cbranch_execz .LBB25_376
; %bb.371:
	s_mov_b32 s4, 0x387fffff
	v_cmp_lt_u32_e32 vcc, s4, v4
                                        ; implicit-def: $vgpr1
	s_and_saveexec_b64 s[4:5], vcc
	s_xor_b64 s[4:5], exec, s[4:5]
; %bb.372:
	v_bfe_u32 v1, v0, 21, 1
	s_mov_b32 s6, 0x80fffff
	v_add3_u32 v1, v0, v1, s6
	v_lshrrev_b32_e32 v1, 21, v1
; %bb.373:
	s_andn2_saveexec_b64 s[4:5], s[4:5]
; %bb.374:
	s_mov_b32 s6, 0x43000000
	v_add_f32_e64 v1, |v0|, s6
; %bb.375:
	s_or_b64 exec, exec, s[4:5]
                                        ; implicit-def: $vgpr4
.LBB25_376:
	s_andn2_saveexec_b64 s[2:3], s[2:3]
; %bb.377:
	s_mov_b32 s4, 0x7f800000
	v_mov_b32_e32 v1, 0x7c
	v_mov_b32_e32 v5, 0x7f
	v_cmp_lt_u32_e32 vcc, s4, v4
	s_nop 1
	v_cndmask_b32_e32 v1, v1, v5, vcc
; %bb.378:
	s_or_b64 exec, exec, s[2:3]
	v_lshrrev_b32_e32 v4, 24, v0
	s_movk_i32 s2, 0x80
	v_and_or_b32 v1, v4, s2, v1
	global_store_byte v[2:3], v1, off
.LBB25_379:
	s_mov_b64 s[4:5], 0
	s_mov_b64 s[2:3], -1
.LBB25_380:
	s_andn2_b64 vcc, exec, s[4:5]
	s_cbranch_vccnz .LBB25_388
; %bb.381:
	v_mov_b32_e32 v1, 14
	v_cmp_gt_i16_sdwa s[6:7], v25, v1 src0_sel:BYTE_0 src1_sel:DWORD
	s_mov_b64 s[4:5], -1
	s_and_b64 vcc, exec, s[6:7]
	s_cbranch_vccz .LBB25_385
; %bb.382:
	v_mov_b32_e32 v1, 15
	v_cmp_eq_u16_sdwa s[4:5], v25, v1 src0_sel:BYTE_0 src1_sel:DWORD
	s_mov_b64 s[0:1], -1
	s_and_b64 vcc, exec, s[4:5]
	s_cbranch_vccz .LBB25_384
; %bb.383:
	v_bfe_u32 v1, v0, 16, 1
	s_movk_i32 s0, 0x7fff
	v_add3_u32 v1, v0, v1, s0
	v_lshrrev_b32_e32 v1, 16, v1
	v_mov_b32_e32 v4, 0x7fc0
	v_cmp_o_f32_e32 vcc, v0, v0
	s_mov_b64 s[2:3], -1
	s_mov_b64 s[0:1], 0
	v_cndmask_b32_e32 v1, v4, v1, vcc
	global_store_short v[2:3], v1, off
.LBB25_384:
	s_mov_b64 s[4:5], 0
.LBB25_385:
	s_and_b64 vcc, exec, s[4:5]
	s_cbranch_vccz .LBB25_388
; %bb.386:
	v_mov_b32_e32 v1, 11
	v_cmp_eq_u16_sdwa s[4:5], v25, v1 src0_sel:BYTE_0 src1_sel:DWORD
	s_mov_b64 s[0:1], -1
	s_and_b64 vcc, exec, s[4:5]
	s_cbranch_vccz .LBB25_388
; %bb.387:
	v_cmp_neq_f32_e32 vcc, 0, v0
	s_mov_b64 s[2:3], -1
	s_mov_b64 s[0:1], 0
	v_cndmask_b32_e64 v1, 0, 1, vcc
	global_store_byte v[2:3], v1, off
.LBB25_388:
	s_mov_b64 s[4:5], 0
.LBB25_389:
	s_and_b64 vcc, exec, s[4:5]
	s_cbranch_vccz .LBB25_428
; %bb.390:
	v_mov_b32_e32 v1, 5
	v_cmp_lt_i16_sdwa s[4:5], v25, v1 src0_sel:BYTE_0 src1_sel:DWORD
	s_mov_b64 s[2:3], -1
	s_and_b64 vcc, exec, s[4:5]
	s_cbranch_vccnz .LBB25_411
; %bb.391:
	v_mov_b32_e32 v1, 8
	v_cmp_lt_i16_sdwa s[4:5], v25, v1 src0_sel:BYTE_0 src1_sel:DWORD
	s_and_b64 vcc, exec, s[4:5]
	s_cbranch_vccnz .LBB25_401
; %bb.392:
	v_mov_b32_e32 v1, 9
	v_cmp_lt_i16_sdwa s[4:5], v25, v1 src0_sel:BYTE_0 src1_sel:DWORD
	s_and_b64 vcc, exec, s[4:5]
	s_cbranch_vccnz .LBB25_398
; %bb.393:
	v_cmp_gt_i16_sdwa s[4:5], v25, v1 src0_sel:BYTE_0 src1_sel:DWORD
	s_and_b64 vcc, exec, s[4:5]
	s_cbranch_vccz .LBB25_395
; %bb.394:
	v_mov_b32_e32 v6, 0
	v_cvt_f64_f32_e32 v[4:5], v0
	v_mov_b32_e32 v7, v6
	s_mov_b64 s[2:3], 0
	global_store_dwordx4 v[2:3], v[4:7], off
.LBB25_395:
	s_andn2_b64 vcc, exec, s[2:3]
	s_cbranch_vccnz .LBB25_397
; %bb.396:
	v_mov_b32_e32 v1, 0
	global_store_dwordx2 v[2:3], v[0:1], off
.LBB25_397:
	s_mov_b64 s[2:3], 0
.LBB25_398:
	s_andn2_b64 vcc, exec, s[2:3]
	s_cbranch_vccnz .LBB25_400
; %bb.399:
	v_cvt_f16_f32_e32 v1, v0
	global_store_dword v[2:3], v1, off
.LBB25_400:
	s_mov_b64 s[2:3], 0
.LBB25_401:
	s_andn2_b64 vcc, exec, s[2:3]
	s_cbranch_vccnz .LBB25_410
; %bb.402:
	v_mov_b32_e32 v1, 6
	v_cmp_lt_i16_sdwa s[4:5], v25, v1 src0_sel:BYTE_0 src1_sel:DWORD
	s_mov_b64 s[2:3], -1
	s_and_b64 vcc, exec, s[4:5]
	s_cbranch_vccnz .LBB25_408
; %bb.403:
	v_cmp_gt_i16_sdwa s[4:5], v25, v1 src0_sel:BYTE_0 src1_sel:DWORD
	s_and_b64 vcc, exec, s[4:5]
	s_cbranch_vccz .LBB25_405
; %bb.404:
	v_cvt_f64_f32_e32 v[4:5], v0
	s_mov_b64 s[2:3], 0
	global_store_dwordx2 v[2:3], v[4:5], off
.LBB25_405:
	s_andn2_b64 vcc, exec, s[2:3]
	s_cbranch_vccnz .LBB25_407
; %bb.406:
	global_store_dword v[2:3], v0, off
.LBB25_407:
	s_mov_b64 s[2:3], 0
.LBB25_408:
	s_andn2_b64 vcc, exec, s[2:3]
	s_cbranch_vccnz .LBB25_410
; %bb.409:
	v_cvt_f16_f32_e32 v1, v0
	global_store_short v[2:3], v1, off
.LBB25_410:
	s_mov_b64 s[2:3], 0
.LBB25_411:
	s_andn2_b64 vcc, exec, s[2:3]
	s_cbranch_vccnz .LBB25_427
; %bb.412:
	v_mov_b32_e32 v1, 2
	v_cmp_lt_i16_sdwa s[4:5], v25, v1 src0_sel:BYTE_0 src1_sel:DWORD
	s_mov_b64 s[2:3], -1
	s_and_b64 vcc, exec, s[4:5]
	s_cbranch_vccnz .LBB25_422
; %bb.413:
	v_mov_b32_e32 v1, 3
	v_cmp_lt_i16_sdwa s[4:5], v25, v1 src0_sel:BYTE_0 src1_sel:DWORD
	s_and_b64 vcc, exec, s[4:5]
	s_cbranch_vccnz .LBB25_419
; %bb.414:
	v_cmp_gt_i16_sdwa s[4:5], v25, v1 src0_sel:BYTE_0 src1_sel:DWORD
	s_and_b64 vcc, exec, s[4:5]
	s_cbranch_vccz .LBB25_416
; %bb.415:
	v_trunc_f32_e32 v1, v0
	s_mov_b32 s2, 0x2f800000
	v_mul_f32_e64 v4, |v1|, s2
	v_floor_f32_e32 v4, v4
	s_mov_b32 s2, 0xcf800000
	v_cvt_u32_f32_e32 v5, v4
	v_fma_f32 v4, v4, s2, |v1|
	v_cvt_u32_f32_e32 v4, v4
	v_ashrrev_i32_e32 v1, 31, v1
	v_xor_b32_e32 v5, v5, v1
	s_mov_b64 s[2:3], 0
	v_xor_b32_e32 v4, v4, v1
	v_sub_co_u32_e32 v4, vcc, v4, v1
	s_nop 1
	v_subb_co_u32_e32 v5, vcc, v5, v1, vcc
	global_store_dwordx2 v[2:3], v[4:5], off
.LBB25_416:
	s_andn2_b64 vcc, exec, s[2:3]
	s_cbranch_vccnz .LBB25_418
; %bb.417:
	v_cvt_i32_f32_e32 v1, v0
	global_store_dword v[2:3], v1, off
.LBB25_418:
	s_mov_b64 s[2:3], 0
.LBB25_419:
	s_andn2_b64 vcc, exec, s[2:3]
	s_cbranch_vccnz .LBB25_421
; %bb.420:
	v_cvt_i32_f32_e32 v1, v0
	global_store_short v[2:3], v1, off
.LBB25_421:
	s_mov_b64 s[2:3], 0
.LBB25_422:
	s_andn2_b64 vcc, exec, s[2:3]
	s_cbranch_vccnz .LBB25_427
; %bb.423:
	v_mov_b32_e32 v1, 0
	v_cmp_gt_i16_sdwa s[4:5], v25, v1 src0_sel:BYTE_0 src1_sel:DWORD
	s_mov_b64 s[2:3], -1
	s_and_b64 vcc, exec, s[4:5]
	s_cbranch_vccz .LBB25_425
; %bb.424:
	v_cvt_i32_f32_e32 v1, v0
	s_mov_b64 s[2:3], 0
	global_store_byte v[2:3], v1, off
.LBB25_425:
	s_andn2_b64 vcc, exec, s[2:3]
	s_cbranch_vccnz .LBB25_427
; %bb.426:
	v_trunc_f32_e32 v0, v0
	s_mov_b32 s2, 0x2f800000
	v_mul_f32_e64 v1, |v0|, s2
	v_floor_f32_e32 v1, v1
	s_mov_b32 s2, 0xcf800000
	v_fma_f32 v1, v1, s2, |v0|
	v_cvt_u32_f32_e32 v1, v1
	v_ashrrev_i32_e32 v0, 31, v0
	v_xor_b32_e32 v1, v1, v0
	v_sub_u32_e32 v0, v1, v0
	global_store_byte v[2:3], v0, off
.LBB25_427:
	s_mov_b64 s[2:3], -1
.LBB25_428:
	s_andn2_b64 vcc, exec, s[2:3]
	s_cbranch_vccnz .LBB25_430
; %bb.429:
	v_add_u32_e32 v24, 0x80, v24
	s_mov_b64 s[2:3], -1
	s_branch .LBB25_431
.LBB25_430:
	s_mov_b64 s[2:3], 0
                                        ; implicit-def: $vgpr24
.LBB25_431:
	s_andn2_b64 s[4:5], s[62:63], exec
	s_and_b64 s[0:1], s[0:1], exec
	s_or_b64 s[68:69], s[4:5], s[0:1]
	s_orn2_b64 s[2:3], s[2:3], exec
.LBB25_432:
	s_or_b64 exec, exec, s[66:67]
	s_mov_b64 s[0:1], 0
	s_mov_b64 s[6:7], 0
                                        ; implicit-def: $vgpr4
                                        ; implicit-def: $vgpr2_vgpr3
                                        ; implicit-def: $vgpr0
	s_and_saveexec_b64 s[66:67], s[2:3]
	s_cbranch_execz .LBB25_532
; %bb.433:
	v_cmp_gt_i32_e32 vcc, s70, v24
	s_mov_b64 s[2:3], 0
	s_mov_b64 s[4:5], s[68:69]
                                        ; implicit-def: $vgpr4
                                        ; implicit-def: $vgpr2_vgpr3
                                        ; implicit-def: $vgpr0
	s_and_saveexec_b64 s[70:71], vcc
	s_cbranch_execz .LBB25_531
; %bb.434:
	s_andn2_b64 vcc, exec, s[34:35]
	s_cbranch_vccnz .LBB25_440
; %bb.435:
	s_mov_b32 s20, 0
	s_andn2_b64 vcc, exec, s[56:57]
	v_mov_b32_e32 v2, 0
	v_mov_b32_e32 v22, 0
	s_cbranch_vccnz .LBB25_446
; %bb.436:
	s_add_i32 s73, s73, 1
	s_cmp_eq_u32 s72, 2
	s_cbranch_scc1 .LBB25_441
; %bb.437:
	s_and_b32 s20, s73, 28
	s_mov_b32 s21, 0
	v_mov_b32_e32 v22, 0
	s_mov_b64 s[22:23], s[26:27]
	v_mov_b32_e32 v0, v24
	v_mov_b32_e32 v2, 0
.LBB25_438:                             ; =>This Inner Loop Header: Depth=1
	s_load_dwordx8 s[8:15], s[22:23], 0x4
	s_load_dwordx4 s[16:19], s[22:23], 0x24
	s_load_dwordx8 s[0:7], s[54:55], 0x0
	s_add_u32 s22, s22, 48
	s_addc_u32 s23, s23, 0
	s_waitcnt lgkmcnt(0)
	v_mul_hi_u32 v1, s9, v0
	v_add_u32_e32 v1, v0, v1
	v_lshrrev_b32_e32 v1, s10, v1
	v_mul_lo_u32 v3, v1, s8
	v_mul_hi_u32 v4, s12, v1
	v_sub_u32_e32 v0, v0, v3
	v_add_u32_e32 v3, v1, v4
	v_lshrrev_b32_e32 v3, s13, v3
	v_mul_lo_u32 v5, v3, s11
	v_mul_hi_u32 v6, s15, v3
	v_sub_u32_e32 v1, v1, v5
	v_add_u32_e32 v5, v3, v6
	v_mul_lo_u32 v4, v0, s1
	v_mul_lo_u32 v0, v0, s0
	;; [unrolled: 1-line block ×4, first 2 shown]
	v_lshrrev_b32_e32 v5, s16, v5
	v_add3_u32 v1, v0, v22, v1
	v_add3_u32 v2, v4, v2, v6
	v_mul_lo_u32 v0, v5, s14
	v_mul_hi_u32 v4, s18, v5
	v_sub_u32_e32 v0, v3, v0
	v_add_u32_e32 v3, v5, v4
	v_mul_lo_u32 v4, v0, s4
	v_mul_lo_u32 v6, v0, s5
	v_lshrrev_b32_e32 v0, s19, v3
	s_add_i32 s21, s21, 4
	v_mul_lo_u32 v3, v0, s17
	s_add_u32 s54, s54, 32
	v_sub_u32_e32 v3, v5, v3
	s_addc_u32 s55, s55, 0
	v_mul_lo_u32 v5, v3, s6
	v_mul_lo_u32 v3, v3, s7
	s_cmp_eq_u32 s20, s21
	v_add3_u32 v2, v6, v2, v3
	v_add3_u32 v22, v4, v1, v5
	s_cbranch_scc0 .LBB25_438
; %bb.439:
	v_mov_b32_e32 v23, v2
	s_branch .LBB25_442
.LBB25_440:
	s_mov_b64 s[0:1], -1
                                        ; implicit-def: $vgpr2
                                        ; implicit-def: $vgpr22
	s_branch .LBB25_447
.LBB25_441:
	s_mov_b32 s21, s20
	v_mov_b64_e32 v[22:23], s[20:21]
                                        ; implicit-def: $vgpr2
	v_mov_b32_e32 v0, v24
.LBB25_442:
	s_and_b32 s4, s73, 3
	s_cmp_eq_u32 s4, 0
	s_cbranch_scc1 .LBB25_446
; %bb.443:
	s_lshl_b32 s0, s20, 3
	s_add_u32 s0, s0, s26
	s_addc_u32 s1, s27, 0
	s_add_u32 s0, s0, 0xc4
	s_addc_u32 s1, s1, 0
	s_mul_i32 s2, s20, 12
	s_add_u32 s2, s26, s2
	s_addc_u32 s3, s27, 0
.LBB25_444:                             ; =>This Inner Loop Header: Depth=1
	s_load_dwordx2 s[6:7], s[2:3], 0x4
	s_load_dword s5, s[2:3], 0xc
	s_load_dwordx2 s[8:9], s[0:1], 0x0
	s_add_u32 s2, s2, 12
	s_addc_u32 s3, s3, 0
	s_waitcnt lgkmcnt(0)
	v_mul_hi_u32 v1, s7, v0
	v_add_u32_e32 v1, v0, v1
	v_lshrrev_b32_e32 v1, s5, v1
	v_mul_lo_u32 v3, v1, s6
	v_mov_b32_e32 v2, v23
	s_add_u32 s0, s0, 8
	v_sub_u32_e32 v4, v0, v3
	s_addc_u32 s1, s1, 0
	s_add_i32 s4, s4, -1
	v_mad_u64_u32 v[2:3], s[6:7], v4, s9, v[2:3]
	v_mad_u64_u32 v[22:23], s[6:7], v4, s8, v[22:23]
	s_cmp_lg_u32 s4, 0
	v_mov_b32_e32 v0, v1
	v_mov_b32_e32 v23, v2
	s_cbranch_scc1 .LBB25_444
; %bb.445:
	v_mov_b32_e32 v2, v23
.LBB25_446:
	s_mov_b64 s[0:1], 0
.LBB25_447:
	s_andn2_b64 vcc, exec, s[0:1]
	s_cbranch_vccnz .LBB25_450
; %bb.448:
	s_waitcnt lgkmcnt(0)
	v_mul_hi_u32 v0, s45, v24
	v_add_u32_e32 v0, v24, v0
	v_lshrrev_b32_e32 v0, s46, v0
	v_mul_lo_u32 v1, v0, s44
	v_sub_u32_e32 v1, v24, v1
	v_mul_lo_u32 v2, v1, s41
	s_andn2_b64 vcc, exec, s[52:53]
	v_mul_lo_u32 v22, v1, s40
	s_cbranch_vccnz .LBB25_450
; %bb.449:
	v_mul_hi_u32 v1, s50, v0
	v_add_u32_e32 v1, v0, v1
	v_lshrrev_b32_e32 v1, s51, v1
	v_mul_lo_u32 v1, v1, s47
	v_sub_u32_e32 v0, v0, v1
	v_mad_u64_u32 v[22:23], s[0:1], v0, s42, v[22:23]
	v_mad_u64_u32 v[2:3], s[0:1], v0, s43, v[2:3]
.LBB25_450:
	s_waitcnt lgkmcnt(0)
	v_mov_b32_e32 v0, s38
	v_mov_b32_e32 v1, s39
	;; [unrolled: 1-line block ×3, first 2 shown]
	s_getpc_b64 s[0:1]
	s_add_u32 s0, s0, _ZN2at6native6invokeIZZZNS0_12_GLOBAL__N_121bessel_y0_kernel_cudaERNS_18TensorIteratorBaseEENKUlvE_clEvENKUlvE0_clEvEUlfE_j15function_traitsIS7_EEENT1_11result_typeERKT_PrKPcPKT0_PKN3c1010ScalarTypeEi@rel32@lo+4
	s_addc_u32 s1, s1, _ZN2at6native6invokeIZZZNS0_12_GLOBAL__N_121bessel_y0_kernel_cudaERNS_18TensorIteratorBaseEENKUlvE_clEvENKUlvE0_clEvEUlfE_j15function_traitsIS7_EEENT1_11result_typeERKT_PrKPcPKT0_PKN3c1010ScalarTypeEi@rel32@hi+12
	s_swappc_b64 s[30:31], s[0:1]
	v_and_b32_e32 v4, 0xff, v25
	v_mov_b32_e32 v23, 0
	v_cmp_gt_i16_e32 vcc, 11, v4
	v_lshl_add_u64 v[2:3], s[36:37], 0, v[22:23]
	s_cbranch_vccnz .LBB25_457
; %bb.451:
	v_cmp_lt_i16_e32 vcc, 25, v4
	s_mov_b64 s[4:5], -1
	s_mov_b64 s[0:1], s[68:69]
	s_cbranch_vccz .LBB25_489
; %bb.452:
	v_cmp_lt_i16_e32 vcc, 28, v4
	s_mov_b64 s[2:3], -1
	s_mov_b64 s[0:1], s[68:69]
	s_cbranch_vccz .LBB25_473
; %bb.453:
	v_cmp_lt_i16_e32 vcc, 43, v4
	s_mov_b64 s[0:1], s[68:69]
	s_cbranch_vccz .LBB25_469
; %bb.454:
	v_cmp_lt_i16_e32 vcc, 45, v4
	s_mov_b64 s[0:1], s[68:69]
	s_cbranch_vccz .LBB25_463
; %bb.455:
	v_cmp_eq_u16_e32 vcc, 46, v4
	s_mov_b64 s[0:1], -1
	s_cbranch_vccz .LBB25_462
; %bb.456:
	v_bfe_u32 v1, v0, 16, 1
	s_movk_i32 s0, 0x7fff
	v_add3_u32 v1, v0, v1, s0
	v_lshrrev_b32_e32 v1, 16, v1
	v_mov_b32_e32 v5, 0x7fc0
	v_cmp_o_f32_e32 vcc, v0, v0
	s_mov_b64 s[0:1], 0
	s_mov_b64 s[2:3], 0
	v_cndmask_b32_e32 v1, v5, v1, vcc
	global_store_dword v[2:3], v1, off
	s_branch .LBB25_463
.LBB25_457:
	s_mov_b64 s[4:5], 0
	s_mov_b64 s[2:3], -1
	s_mov_b64 s[0:1], s[68:69]
	s_branch .LBB25_530
.LBB25_458:
	s_or_saveexec_b64 s[6:7], s[6:7]
                                        ; implicit-def: $sgpr8
	s_xor_b64 exec, exec, s[6:7]
	s_cbranch_execz .LBB25_341
.LBB25_459:
	s_mov_b32 s8, 0x46000000
	v_add_f32_e64 v1, |v0|, s8
	v_and_b32_e32 v1, 0xff, v1
	v_cmp_ne_u32_e32 vcc, 0, v1
	s_andn2_b64 s[4:5], s[4:5], exec
	s_and_b64 s[10:11], vcc, exec
	s_mov_b32 s8, 0
	s_or_b64 s[4:5], s[4:5], s[10:11]
	s_or_b64 exec, exec, s[6:7]
	v_mov_b32_e32 v4, s8
	s_and_saveexec_b64 s[6:7], s[4:5]
	s_cbranch_execnz .LBB25_342
	s_branch .LBB25_343
.LBB25_460:
	s_or_saveexec_b64 s[6:7], s[6:7]
                                        ; implicit-def: $sgpr8
	s_xor_b64 exec, exec, s[6:7]
	s_cbranch_execz .LBB25_354
.LBB25_461:
	s_mov_b32 s8, 0x42800000
	v_add_f32_e64 v1, |v0|, s8
	v_and_b32_e32 v1, 0xff, v1
	v_cmp_ne_u32_e32 vcc, 0, v1
	s_andn2_b64 s[4:5], s[4:5], exec
	s_and_b64 s[10:11], vcc, exec
	s_mov_b32 s8, 0
	s_or_b64 s[4:5], s[4:5], s[10:11]
	s_or_b64 exec, exec, s[6:7]
	v_mov_b32_e32 v4, s8
	s_and_saveexec_b64 s[6:7], s[4:5]
	s_cbranch_execnz .LBB25_355
	s_branch .LBB25_356
.LBB25_462:
	s_mov_b64 s[2:3], 0
.LBB25_463:
	s_and_b64 vcc, exec, s[2:3]
	s_cbranch_vccz .LBB25_468
; %bb.464:
	v_cmp_eq_u16_e32 vcc, 44, v4
	s_mov_b64 s[0:1], -1
	s_cbranch_vccz .LBB25_468
; %bb.465:
	v_bfe_u32 v1, v0, 23, 8
	s_movk_i32 s0, 0xff
	v_cmp_ne_u32_e32 vcc, s0, v1
	v_mov_b32_e32 v5, 0xff
	s_and_saveexec_b64 s[2:3], vcc
; %bb.466:
	s_mov_b32 s0, 0x3fffff
	v_and_b32_e32 v6, 0x400000, v0
	v_and_or_b32 v1, v0, s0, v1
	v_cmp_ne_u32_e32 vcc, 0, v6
	v_cmp_ne_u32_e64 s[0:1], 0, v1
	s_and_b64 s[0:1], vcc, s[0:1]
	v_lshrrev_b32_e32 v5, 23, v0
	v_cndmask_b32_e64 v1, 0, 1, s[0:1]
	v_add_u32_e32 v5, v5, v1
; %bb.467:
	s_or_b64 exec, exec, s[2:3]
	s_mov_b64 s[0:1], 0
	global_store_byte v[2:3], v5, off
.LBB25_468:
	s_mov_b64 s[2:3], 0
.LBB25_469:
	s_and_b64 vcc, exec, s[2:3]
	s_cbranch_vccz .LBB25_472
; %bb.470:
	v_cmp_eq_u16_e32 vcc, 29, v4
	s_mov_b64 s[0:1], -1
	s_cbranch_vccz .LBB25_472
; %bb.471:
	v_trunc_f32_e32 v1, v0
	v_mul_f32_e32 v5, 0x2f800000, v1
	v_floor_f32_e32 v5, v5
	v_fmamk_f32 v1, v5, 0xcf800000, v1
	v_cvt_u32_f32_e32 v7, v5
	v_cvt_u32_f32_e32 v6, v1
	s_mov_b64 s[0:1], 0
	s_mov_b64 s[2:3], 0
	global_store_dwordx2 v[2:3], v[6:7], off
	s_branch .LBB25_473
.LBB25_472:
	s_mov_b64 s[2:3], 0
.LBB25_473:
	s_and_b64 vcc, exec, s[2:3]
	s_cbranch_vccz .LBB25_488
; %bb.474:
	v_cmp_gt_i16_e32 vcc, 27, v4
	s_mov_b64 s[2:3], -1
	s_cbranch_vccnz .LBB25_480
; %bb.475:
	v_cvt_u32_f32_e32 v1, v0
	v_cmp_lt_i16_e32 vcc, 27, v4
	s_cbranch_vccz .LBB25_477
; %bb.476:
	s_mov_b64 s[2:3], 0
	global_store_dword v[2:3], v1, off
.LBB25_477:
	s_andn2_b64 vcc, exec, s[2:3]
	s_cbranch_vccnz .LBB25_479
; %bb.478:
	global_store_short v[2:3], v1, off
.LBB25_479:
	s_mov_b64 s[2:3], 0
.LBB25_480:
	s_andn2_b64 vcc, exec, s[2:3]
	s_cbranch_vccnz .LBB25_488
; %bb.481:
	v_and_b32_e32 v1, 0x7fffffff, v0
	s_mov_b32 s2, 0x43800000
	v_cmp_gt_u32_e32 vcc, s2, v1
	v_mov_b32_e32 v5, 0x80
	s_and_saveexec_b64 s[2:3], vcc
	s_cbranch_execz .LBB25_487
; %bb.482:
	s_mov_b32 s4, 0x3bffffff
	v_cmp_lt_u32_e32 vcc, s4, v1
	s_mov_b64 s[4:5], 0
                                        ; implicit-def: $vgpr1
	s_and_saveexec_b64 s[6:7], vcc
	s_xor_b64 s[6:7], exec, s[6:7]
	s_cbranch_execz .LBB25_1133
; %bb.483:
	v_bfe_u32 v1, v0, 20, 1
	s_mov_b32 s8, 0x487ffff
	v_add3_u32 v1, v0, v1, s8
	s_mov_b64 s[4:5], exec
	v_lshrrev_b32_e32 v1, 20, v1
	s_or_saveexec_b64 s[6:7], s[6:7]
                                        ; implicit-def: $sgpr8
	s_xor_b64 exec, exec, s[6:7]
	s_cbranch_execnz .LBB25_1134
.LBB25_484:
	s_or_b64 exec, exec, s[6:7]
	v_mov_b32_e32 v5, s8
	s_and_saveexec_b64 s[6:7], s[4:5]
.LBB25_485:
	v_lshrrev_b32_e32 v5, 24, v0
	s_movk_i32 s4, 0x80
	v_and_or_b32 v5, v5, s4, v1
.LBB25_486:
	s_or_b64 exec, exec, s[6:7]
.LBB25_487:
	s_or_b64 exec, exec, s[2:3]
	global_store_byte v[2:3], v5, off
.LBB25_488:
	s_mov_b64 s[4:5], 0
.LBB25_489:
	s_mov_b64 s[2:3], 0
	s_and_b64 vcc, exec, s[4:5]
	s_cbranch_vccz .LBB25_529
; %bb.490:
	v_cmp_lt_i16_e32 vcc, 22, v4
	s_mov_b64 s[4:5], -1
	s_cbranch_vccz .LBB25_522
; %bb.491:
	v_cmp_gt_i16_e32 vcc, 24, v4
	s_cbranch_vccnz .LBB25_511
; %bb.492:
	v_cmp_lt_i16_e32 vcc, 24, v4
	s_cbranch_vccz .LBB25_500
; %bb.493:
	v_and_b32_e32 v1, 0x7fffffff, v0
	s_mov_b32 s4, 0x47800000
	v_cmp_gt_u32_e32 vcc, s4, v1
	v_mov_b32_e32 v5, 0x80
	s_and_saveexec_b64 s[4:5], vcc
	s_cbranch_execz .LBB25_499
; %bb.494:
	s_mov_b32 s6, 0x37ffffff
	v_cmp_lt_u32_e32 vcc, s6, v1
	s_mov_b64 s[6:7], 0
                                        ; implicit-def: $vgpr1
	s_and_saveexec_b64 s[8:9], vcc
	s_xor_b64 s[8:9], exec, s[8:9]
	s_cbranch_execz .LBB25_1137
; %bb.495:
	v_bfe_u32 v1, v0, 21, 1
	s_mov_b32 s10, 0x88fffff
	v_add3_u32 v1, v0, v1, s10
	s_mov_b64 s[6:7], exec
	v_lshrrev_b32_e32 v1, 21, v1
	s_or_saveexec_b64 s[8:9], s[8:9]
                                        ; implicit-def: $sgpr10
	s_xor_b64 exec, exec, s[8:9]
	s_cbranch_execnz .LBB25_1138
.LBB25_496:
	s_or_b64 exec, exec, s[8:9]
	v_mov_b32_e32 v5, s10
	s_and_saveexec_b64 s[8:9], s[6:7]
.LBB25_497:
	v_lshrrev_b32_e32 v5, 24, v0
	s_movk_i32 s6, 0x80
	v_and_or_b32 v5, v5, s6, v1
.LBB25_498:
	s_or_b64 exec, exec, s[8:9]
.LBB25_499:
	s_or_b64 exec, exec, s[4:5]
	s_mov_b64 s[4:5], 0
	global_store_byte v[2:3], v5, off
.LBB25_500:
	s_and_b64 vcc, exec, s[4:5]
	s_cbranch_vccz .LBB25_510
; %bb.501:
	v_and_b32_e32 v5, 0x7fffffff, v0
	s_mov_b32 s4, 0x43f00000
	v_cmp_gt_u32_e32 vcc, s4, v5
                                        ; implicit-def: $vgpr1
	s_and_saveexec_b64 s[4:5], vcc
	s_xor_b64 s[4:5], exec, s[4:5]
	s_cbranch_execz .LBB25_507
; %bb.502:
	s_mov_b32 s6, 0x3c7fffff
	v_cmp_lt_u32_e32 vcc, s6, v5
                                        ; implicit-def: $vgpr1
	s_and_saveexec_b64 s[6:7], vcc
	s_xor_b64 s[6:7], exec, s[6:7]
; %bb.503:
	v_bfe_u32 v1, v0, 20, 1
	s_mov_b32 s8, 0x407ffff
	v_add3_u32 v1, v0, v1, s8
	v_lshrrev_b32_e32 v5, 20, v1
	v_and_b32_e32 v1, 0xff00000, v1
	s_mov_b32 s8, 0x7f00000
	v_mov_b32_e32 v6, 0x7e
	v_cmp_ne_u32_e32 vcc, s8, v1
	s_nop 1
	v_cndmask_b32_e32 v1, v6, v5, vcc
; %bb.504:
	s_andn2_saveexec_b64 s[6:7], s[6:7]
; %bb.505:
	s_mov_b32 s8, 0x46800000
	v_add_f32_e64 v1, |v0|, s8
; %bb.506:
	s_or_b64 exec, exec, s[6:7]
                                        ; implicit-def: $vgpr5
.LBB25_507:
	s_andn2_saveexec_b64 s[4:5], s[4:5]
; %bb.508:
	s_mov_b32 s6, 0x7f800000
	v_mov_b32_e32 v1, 0x7e
	v_mov_b32_e32 v6, 0x7f
	v_cmp_lt_u32_e32 vcc, s6, v5
	s_nop 1
	v_cndmask_b32_e32 v1, v1, v6, vcc
; %bb.509:
	s_or_b64 exec, exec, s[4:5]
	v_lshrrev_b32_e32 v5, 24, v0
	s_movk_i32 s4, 0x80
	v_and_or_b32 v1, v5, s4, v1
	global_store_byte v[2:3], v1, off
.LBB25_510:
	s_mov_b64 s[4:5], 0
.LBB25_511:
	s_andn2_b64 vcc, exec, s[4:5]
	s_cbranch_vccnz .LBB25_521
; %bb.512:
	v_and_b32_e32 v5, 0x7fffffff, v0
	s_mov_b32 s4, 0x47800000
	v_cmp_gt_u32_e32 vcc, s4, v5
                                        ; implicit-def: $vgpr1
	s_and_saveexec_b64 s[4:5], vcc
	s_xor_b64 s[4:5], exec, s[4:5]
	s_cbranch_execz .LBB25_518
; %bb.513:
	s_mov_b32 s6, 0x387fffff
	v_cmp_lt_u32_e32 vcc, s6, v5
                                        ; implicit-def: $vgpr1
	s_and_saveexec_b64 s[6:7], vcc
	s_xor_b64 s[6:7], exec, s[6:7]
; %bb.514:
	v_bfe_u32 v1, v0, 21, 1
	s_mov_b32 s8, 0x80fffff
	v_add3_u32 v1, v0, v1, s8
	v_lshrrev_b32_e32 v1, 21, v1
; %bb.515:
	s_andn2_saveexec_b64 s[6:7], s[6:7]
; %bb.516:
	s_mov_b32 s8, 0x43000000
	v_add_f32_e64 v1, |v0|, s8
; %bb.517:
	s_or_b64 exec, exec, s[6:7]
                                        ; implicit-def: $vgpr5
.LBB25_518:
	s_andn2_saveexec_b64 s[4:5], s[4:5]
; %bb.519:
	s_mov_b32 s6, 0x7f800000
	v_mov_b32_e32 v1, 0x7c
	v_mov_b32_e32 v6, 0x7f
	v_cmp_lt_u32_e32 vcc, s6, v5
	s_nop 1
	v_cndmask_b32_e32 v1, v1, v6, vcc
; %bb.520:
	s_or_b64 exec, exec, s[4:5]
	v_lshrrev_b32_e32 v5, 24, v0
	s_movk_i32 s4, 0x80
	v_and_or_b32 v1, v5, s4, v1
	global_store_byte v[2:3], v1, off
.LBB25_521:
	s_mov_b64 s[4:5], 0
.LBB25_522:
	s_andn2_b64 vcc, exec, s[4:5]
	s_mov_b64 s[4:5], 0
	s_cbranch_vccnz .LBB25_530
; %bb.523:
	v_cmp_lt_i16_e32 vcc, 14, v4
	s_mov_b64 s[6:7], -1
	s_cbranch_vccz .LBB25_527
; %bb.524:
	v_cmp_eq_u16_e32 vcc, 15, v4
	s_mov_b64 s[0:1], -1
	s_cbranch_vccz .LBB25_526
; %bb.525:
	v_bfe_u32 v1, v0, 16, 1
	s_movk_i32 s0, 0x7fff
	v_add3_u32 v1, v0, v1, s0
	v_lshrrev_b32_e32 v1, 16, v1
	v_mov_b32_e32 v5, 0x7fc0
	v_cmp_o_f32_e32 vcc, v0, v0
	s_mov_b64 s[0:1], 0
	s_nop 0
	v_cndmask_b32_e32 v1, v5, v1, vcc
	global_store_short v[2:3], v1, off
.LBB25_526:
	s_mov_b64 s[6:7], 0
.LBB25_527:
	s_and_b64 vcc, exec, s[6:7]
	s_cbranch_vccz .LBB25_530
; %bb.528:
	v_cmp_ne_u16_e32 vcc, 11, v4
	s_andn2_b64 s[0:1], s[0:1], exec
	s_and_b64 s[6:7], vcc, exec
	s_mov_b64 s[4:5], -1
	s_or_b64 s[0:1], s[0:1], s[6:7]
	s_branch .LBB25_530
.LBB25_529:
	s_mov_b64 s[4:5], 0
.LBB25_530:
	s_and_b64 s[6:7], s[2:3], exec
	s_and_b64 s[2:3], s[4:5], exec
	s_andn2_b64 s[4:5], s[68:69], exec
	s_and_b64 s[0:1], s[0:1], exec
	s_or_b64 s[4:5], s[4:5], s[0:1]
.LBB25_531:
	s_or_b64 exec, exec, s[70:71]
	s_and_b64 s[0:1], s[2:3], exec
	s_andn2_b64 s[2:3], s[68:69], exec
	s_and_b64 s[4:5], s[4:5], exec
	s_and_b64 s[6:7], s[6:7], exec
	s_or_b64 s[68:69], s[2:3], s[4:5]
.LBB25_532:
	s_or_b64 exec, exec, s[66:67]
	s_and_b64 s[2:3], s[6:7], exec
	s_andn2_b64 s[4:5], s[62:63], exec
	s_and_b64 s[6:7], s[68:69], exec
	s_and_b64 s[0:1], s[0:1], exec
	s_or_b64 s[62:63], s[4:5], s[6:7]
.LBB25_533:
	s_or_b64 exec, exec, s[64:65]
	s_and_b64 s[64:65], s[0:1], exec
	s_andn2_b64 s[0:1], s[58:59], exec
	s_and_b64 s[4:5], s[62:63], exec
	s_and_b64 s[2:3], s[2:3], exec
	s_or_b64 s[58:59], s[0:1], s[4:5]
	s_or_b64 exec, exec, s[60:61]
	s_mov_b64 s[0:1], 0
	s_and_saveexec_b64 s[4:5], s[58:59]
	s_cbranch_execz .LBB25_148
.LBB25_534:
	s_mov_b64 s[0:1], exec
	s_andn2_b64 s[64:65], s[64:65], exec
	s_trap 2
	s_or_b64 exec, exec, s[4:5]
	s_and_saveexec_b64 s[4:5], s[64:65]
	s_xor_b64 s[4:5], exec, s[4:5]
	s_cbranch_execnz .LBB25_149
.LBB25_535:
	s_or_b64 exec, exec, s[4:5]
	s_and_saveexec_b64 s[4:5], s[2:3]
	s_xor_b64 s[2:3], exec, s[4:5]
	s_cbranch_execz .LBB25_573
.LBB25_536:
	v_cmp_gt_i16_e32 vcc, 5, v4
	s_mov_b64 s[4:5], -1
	s_cbranch_vccnz .LBB25_557
; %bb.537:
	v_cmp_gt_i16_e32 vcc, 8, v4
	s_cbranch_vccnz .LBB25_547
; %bb.538:
	v_cmp_gt_i16_e32 vcc, 9, v4
	s_cbranch_vccnz .LBB25_544
; %bb.539:
	v_cmp_lt_i16_e32 vcc, 9, v4
	s_cbranch_vccz .LBB25_541
; %bb.540:
	v_mov_b32_e32 v8, 0
	v_cvt_f64_f32_e32 v[6:7], v0
	v_mov_b32_e32 v9, v8
	s_mov_b64 s[4:5], 0
	global_store_dwordx4 v[2:3], v[6:9], off
.LBB25_541:
	s_andn2_b64 vcc, exec, s[4:5]
	s_cbranch_vccnz .LBB25_543
; %bb.542:
	v_mov_b32_e32 v1, 0
	global_store_dwordx2 v[2:3], v[0:1], off
.LBB25_543:
	s_mov_b64 s[4:5], 0
.LBB25_544:
	s_andn2_b64 vcc, exec, s[4:5]
	s_cbranch_vccnz .LBB25_546
; %bb.545:
	v_cvt_f16_f32_e32 v1, v0
	global_store_dword v[2:3], v1, off
.LBB25_546:
	s_mov_b64 s[4:5], 0
.LBB25_547:
	s_andn2_b64 vcc, exec, s[4:5]
	s_cbranch_vccnz .LBB25_556
; %bb.548:
	v_cmp_gt_i16_e32 vcc, 6, v4
	s_mov_b64 s[4:5], -1
	s_cbranch_vccnz .LBB25_554
; %bb.549:
	v_cmp_lt_i16_e32 vcc, 6, v4
	s_cbranch_vccz .LBB25_551
; %bb.550:
	v_cvt_f64_f32_e32 v[6:7], v0
	s_mov_b64 s[4:5], 0
	global_store_dwordx2 v[2:3], v[6:7], off
.LBB25_551:
	s_andn2_b64 vcc, exec, s[4:5]
	s_cbranch_vccnz .LBB25_553
; %bb.552:
	global_store_dword v[2:3], v0, off
.LBB25_553:
	s_mov_b64 s[4:5], 0
.LBB25_554:
	s_andn2_b64 vcc, exec, s[4:5]
	s_cbranch_vccnz .LBB25_556
; %bb.555:
	v_cvt_f16_f32_e32 v1, v0
	global_store_short v[2:3], v1, off
.LBB25_556:
	s_mov_b64 s[4:5], 0
.LBB25_557:
	s_andn2_b64 vcc, exec, s[4:5]
	s_cbranch_vccnz .LBB25_573
; %bb.558:
	v_cmp_gt_i16_e32 vcc, 2, v4
	s_mov_b64 s[4:5], -1
	s_cbranch_vccnz .LBB25_568
; %bb.559:
	v_cmp_gt_i16_e32 vcc, 3, v4
	s_cbranch_vccnz .LBB25_565
; %bb.560:
	v_cmp_lt_i16_e32 vcc, 3, v4
	s_cbranch_vccz .LBB25_562
; %bb.561:
	v_trunc_f32_e32 v1, v0
	s_mov_b32 s4, 0x2f800000
	v_mul_f32_e64 v5, |v1|, s4
	v_floor_f32_e32 v5, v5
	s_mov_b32 s4, 0xcf800000
	v_cvt_u32_f32_e32 v6, v5
	v_fma_f32 v5, v5, s4, |v1|
	v_cvt_u32_f32_e32 v5, v5
	v_ashrrev_i32_e32 v1, 31, v1
	v_xor_b32_e32 v7, v6, v1
	s_mov_b64 s[4:5], 0
	v_xor_b32_e32 v5, v5, v1
	v_sub_co_u32_e32 v6, vcc, v5, v1
	s_nop 1
	v_subb_co_u32_e32 v7, vcc, v7, v1, vcc
	global_store_dwordx2 v[2:3], v[6:7], off
.LBB25_562:
	s_andn2_b64 vcc, exec, s[4:5]
	s_cbranch_vccnz .LBB25_564
; %bb.563:
	v_cvt_i32_f32_e32 v1, v0
	global_store_dword v[2:3], v1, off
.LBB25_564:
	s_mov_b64 s[4:5], 0
.LBB25_565:
	s_andn2_b64 vcc, exec, s[4:5]
	s_cbranch_vccnz .LBB25_567
; %bb.566:
	v_cvt_i32_f32_e32 v1, v0
	global_store_short v[2:3], v1, off
.LBB25_567:
	s_mov_b64 s[4:5], 0
.LBB25_568:
	s_andn2_b64 vcc, exec, s[4:5]
	s_cbranch_vccnz .LBB25_573
; %bb.569:
	v_cmp_lt_i16_e32 vcc, 0, v4
	s_mov_b64 s[4:5], -1
	s_cbranch_vccz .LBB25_571
; %bb.570:
	v_cvt_i32_f32_e32 v1, v0
	s_mov_b64 s[4:5], 0
	global_store_byte v[2:3], v1, off
.LBB25_571:
	s_andn2_b64 vcc, exec, s[4:5]
	s_cbranch_vccnz .LBB25_573
; %bb.572:
	v_trunc_f32_e32 v0, v0
	s_mov_b32 s4, 0x2f800000
	v_mul_f32_e64 v1, |v0|, s4
	v_floor_f32_e32 v1, v1
	s_mov_b32 s4, 0xcf800000
	v_fma_f32 v1, v1, s4, |v0|
	v_cvt_u32_f32_e32 v1, v1
	v_ashrrev_i32_e32 v0, 31, v0
	v_xor_b32_e32 v1, v1, v0
	v_sub_u32_e32 v0, v1, v0
	global_store_byte v[2:3], v0, off
.LBB25_573:
	s_or_b64 exec, exec, s[2:3]
	s_waitcnt lgkmcnt(0)
	s_and_b64 s[40:41], s[0:1], exec
                                        ; implicit-def: $vgpr1
                                        ; implicit-def: $vgpr24
.LBB25_574:
	s_or_saveexec_b64 s[42:43], s[48:49]
	s_mov_b64 s[0:1], 0
                                        ; implicit-def: $vgpr4
                                        ; implicit-def: $vgpr2_vgpr3
                                        ; implicit-def: $vgpr0
	s_xor_b64 exec, exec, s[42:43]
	s_cbranch_execz .LBB25_1082
; %bb.575:
	v_cndmask_b32_e64 v0, 0, 1, s[34:35]
	v_cmp_ne_u32_e64 s[0:1], 1, v0
	s_andn2_b64 vcc, exec, s[34:35]
	s_cbranch_vccnz .LBB25_582
; %bb.576:
	s_mov_b32 s2, 0
	s_cmp_lg_u32 s33, 0
	v_mov_b32_e32 v2, 0
	v_mov_b32_e32 v38, 0
	s_cbranch_scc0 .LBB25_581
; %bb.577:
	s_min_u32 s34, s72, 15
	s_add_i32 s34, s34, 1
	s_cmp_eq_u32 s72, 2
	s_cbranch_scc1 .LBB25_583
; %bb.578:
	s_add_u32 s28, s26, 0xc4
	s_addc_u32 s29, s27, 0
	s_and_b32 s2, s34, 28
	s_mov_b32 s3, 0
	v_mov_b32_e32 v38, 0
	s_mov_b64 s[30:31], s[26:27]
	v_mov_b32_e32 v0, v24
	v_mov_b32_e32 v2, 0
.LBB25_579:                             ; =>This Inner Loop Header: Depth=1
	s_load_dwordx8 s[12:19], s[30:31], 0x4
	s_load_dwordx4 s[20:23], s[30:31], 0x24
	s_load_dwordx8 s[4:11], s[28:29], 0x0
	s_add_u32 s30, s30, 48
	s_addc_u32 s31, s31, 0
	s_waitcnt lgkmcnt(0)
	v_mul_hi_u32 v3, s13, v0
	v_add_u32_e32 v3, v0, v3
	v_lshrrev_b32_e32 v3, s14, v3
	v_mul_lo_u32 v4, v3, s12
	v_mul_hi_u32 v5, s16, v3
	v_sub_u32_e32 v0, v0, v4
	v_add_u32_e32 v4, v3, v5
	v_lshrrev_b32_e32 v4, s17, v4
	v_mul_lo_u32 v6, v4, s15
	v_mul_hi_u32 v7, s19, v4
	v_sub_u32_e32 v3, v3, v6
	v_add_u32_e32 v6, v4, v7
	v_mul_lo_u32 v5, v0, s5
	v_mul_lo_u32 v0, v0, s4
	;; [unrolled: 1-line block ×4, first 2 shown]
	v_lshrrev_b32_e32 v6, s20, v6
	v_add3_u32 v3, v0, v38, v3
	v_add3_u32 v2, v5, v2, v7
	v_mul_lo_u32 v0, v6, s18
	v_mul_hi_u32 v5, s22, v6
	v_sub_u32_e32 v0, v4, v0
	v_add_u32_e32 v4, v6, v5
	v_mul_lo_u32 v5, v0, s8
	v_mul_lo_u32 v7, v0, s9
	v_lshrrev_b32_e32 v0, s23, v4
	s_add_i32 s3, s3, 4
	v_mul_lo_u32 v4, v0, s21
	s_add_u32 s28, s28, 32
	v_sub_u32_e32 v4, v6, v4
	s_addc_u32 s29, s29, 0
	v_mul_lo_u32 v6, v4, s10
	v_mul_lo_u32 v4, v4, s11
	s_cmp_lg_u32 s2, s3
	v_add3_u32 v2, v7, v2, v4
	v_add3_u32 v38, v5, v3, v6
	s_cbranch_scc1 .LBB25_579
; %bb.580:
	v_mov_b32_e32 v39, v2
	s_and_b32 s6, s34, 3
	s_cmp_eq_u32 s6, 0
	s_cbranch_scc0 .LBB25_584
.LBB25_581:
	s_cbranch_execz .LBB25_587
	s_branch .LBB25_589
.LBB25_582:
                                        ; implicit-def: $vgpr2
                                        ; implicit-def: $vgpr38
	s_branch .LBB25_587
.LBB25_583:
	s_mov_b32 s3, s2
	v_mov_b64_e32 v[38:39], s[2:3]
                                        ; implicit-def: $vgpr2
	v_mov_b32_e32 v0, v24
	s_and_b32 s6, s34, 3
	s_cmp_eq_u32 s6, 0
	s_cbranch_scc1 .LBB25_581
.LBB25_584:
	s_lshl_b32 s3, s2, 3
	s_add_u32 s3, s3, s26
	s_addc_u32 s5, 0, s27
	s_add_u32 s4, s3, 0xc4
	s_addc_u32 s5, s5, 0
	s_mul_i32 s2, s2, 12
	s_add_u32 s2, s26, s2
	s_addc_u32 s3, 0, s27
.LBB25_585:                             ; =>This Inner Loop Header: Depth=1
	s_load_dwordx2 s[8:9], s[2:3], 0x4
	s_load_dword s7, s[2:3], 0xc
	s_load_dwordx2 s[10:11], s[4:5], 0x0
	s_add_u32 s2, s2, 12
	s_addc_u32 s3, s3, 0
	s_waitcnt lgkmcnt(0)
	v_mul_hi_u32 v3, s9, v0
	v_add_u32_e32 v3, v0, v3
	v_lshrrev_b32_e32 v3, s7, v3
	v_mul_lo_u32 v4, v3, s8
	v_mov_b32_e32 v2, v39
	s_add_u32 s4, s4, 8
	v_sub_u32_e32 v4, v0, v4
	s_addc_u32 s5, s5, 0
	s_add_i32 s6, s6, -1
	v_mov_b32_e32 v0, v3
	v_mad_u64_u32 v[2:3], s[8:9], v4, s11, v[2:3]
	v_mad_u64_u32 v[38:39], s[8:9], v4, s10, v[38:39]
	s_cmp_lg_u32 s6, 0
	v_mov_b32_e32 v39, v2
	s_cbranch_scc1 .LBB25_585
; %bb.586:
	v_mov_b32_e32 v2, v39
	s_cbranch_execnz .LBB25_589
.LBB25_587:
	s_load_dwordx4 s[4:7], s[26:27], 0x4
	s_load_dwordx2 s[2:3], s[26:27], 0xc4
	s_cmp_lt_u32 s33, 2
	s_waitcnt lgkmcnt(0)
	v_mul_hi_u32 v0, s5, v24
	v_add_u32_e32 v0, v24, v0
	v_lshrrev_b32_e32 v0, s6, v0
	v_mul_lo_u32 v2, v0, s4
	v_sub_u32_e32 v3, v24, v2
	v_mul_lo_u32 v2, v3, s3
	v_mul_lo_u32 v38, v3, s2
	s_cbranch_scc1 .LBB25_589
; %bb.588:
	s_load_dwordx4 s[4:7], s[26:27], 0x10
	s_load_dwordx2 s[2:3], s[26:27], 0xcc
	s_waitcnt lgkmcnt(0)
	v_mul_hi_u32 v3, s5, v0
	v_add_u32_e32 v3, v0, v3
	v_lshrrev_b32_e32 v3, s6, v3
	v_mul_lo_u32 v3, v3, s4
	v_sub_u32_e32 v0, v0, v3
	v_mad_u64_u32 v[38:39], s[4:5], v0, s2, v[38:39]
	v_mad_u64_u32 v[2:3], s[2:3], v0, s3, v[2:3]
.LBB25_589:
	s_and_b64 vcc, exec, s[0:1]
	v_add_u32_e32 v0, 0x80, v24
	s_cbranch_vccnz .LBB25_596
; %bb.590:
	s_mov_b32 s2, 0
	s_cmp_lg_u32 s33, 0
	v_mov_b32_e32 v22, 0
	v_mov_b32_e32 v36, 0
	s_cbranch_scc0 .LBB25_595
; %bb.591:
	s_min_u32 s34, s72, 15
	s_add_i32 s34, s34, 1
	s_cmp_eq_u32 s72, 2
	s_cbranch_scc1 .LBB25_597
; %bb.592:
	s_add_u32 s28, s26, 0xc4
	s_addc_u32 s29, s27, 0
	s_and_b32 s2, s34, 28
	s_mov_b32 s3, 0
	v_mov_b32_e32 v36, 0
	s_mov_b64 s[30:31], s[26:27]
	v_mov_b32_e32 v3, v0
	v_mov_b32_e32 v22, 0
.LBB25_593:                             ; =>This Inner Loop Header: Depth=1
	s_load_dwordx8 s[12:19], s[30:31], 0x4
	s_load_dwordx4 s[20:23], s[30:31], 0x24
	s_load_dwordx8 s[4:11], s[28:29], 0x0
	s_add_u32 s30, s30, 48
	s_addc_u32 s31, s31, 0
	s_waitcnt lgkmcnt(0)
	v_mul_hi_u32 v4, s13, v3
	v_add_u32_e32 v4, v3, v4
	v_lshrrev_b32_e32 v4, s14, v4
	v_mul_lo_u32 v5, v4, s12
	v_mul_hi_u32 v6, s16, v4
	v_sub_u32_e32 v3, v3, v5
	v_add_u32_e32 v5, v4, v6
	v_lshrrev_b32_e32 v5, s17, v5
	v_mul_lo_u32 v7, v5, s15
	v_mul_hi_u32 v8, s19, v5
	v_sub_u32_e32 v4, v4, v7
	v_add_u32_e32 v7, v5, v8
	v_mul_lo_u32 v6, v3, s5
	v_mul_lo_u32 v3, v3, s4
	;; [unrolled: 1-line block ×4, first 2 shown]
	v_lshrrev_b32_e32 v7, s20, v7
	v_add3_u32 v4, v3, v36, v4
	v_add3_u32 v6, v6, v22, v8
	v_mul_lo_u32 v3, v7, s18
	v_mul_hi_u32 v8, s22, v7
	v_sub_u32_e32 v3, v5, v3
	v_add_u32_e32 v5, v7, v8
	v_mul_lo_u32 v8, v3, s8
	v_mul_lo_u32 v9, v3, s9
	v_lshrrev_b32_e32 v3, s23, v5
	s_add_i32 s3, s3, 4
	v_mul_lo_u32 v5, v3, s21
	s_add_u32 s28, s28, 32
	v_sub_u32_e32 v5, v7, v5
	s_addc_u32 s29, s29, 0
	v_mul_lo_u32 v7, v5, s10
	v_mul_lo_u32 v5, v5, s11
	s_cmp_lg_u32 s2, s3
	v_add3_u32 v22, v9, v6, v5
	v_add3_u32 v36, v8, v4, v7
	s_cbranch_scc1 .LBB25_593
; %bb.594:
	v_mov_b32_e32 v37, v22
	s_and_b32 s6, s34, 3
	s_cmp_eq_u32 s6, 0
	s_cbranch_scc0 .LBB25_598
.LBB25_595:
	s_cbranch_execz .LBB25_601
	s_branch .LBB25_603
.LBB25_596:
                                        ; implicit-def: $vgpr22
                                        ; implicit-def: $vgpr36
	s_branch .LBB25_601
.LBB25_597:
	s_mov_b32 s3, s2
	v_mov_b64_e32 v[36:37], s[2:3]
                                        ; implicit-def: $vgpr22
	v_mov_b32_e32 v3, v0
	s_and_b32 s6, s34, 3
	s_cmp_eq_u32 s6, 0
	s_cbranch_scc1 .LBB25_595
.LBB25_598:
	s_lshl_b32 s3, s2, 3
	s_add_u32 s3, s3, s26
	s_addc_u32 s5, 0, s27
	s_add_u32 s4, s3, 0xc4
	s_addc_u32 s5, s5, 0
	s_mul_i32 s2, s2, 12
	s_add_u32 s2, s26, s2
	s_addc_u32 s3, 0, s27
.LBB25_599:                             ; =>This Inner Loop Header: Depth=1
	s_load_dwordx2 s[8:9], s[2:3], 0x4
	s_load_dword s7, s[2:3], 0xc
	s_load_dwordx2 s[10:11], s[4:5], 0x0
	s_add_u32 s2, s2, 12
	s_addc_u32 s3, s3, 0
	s_waitcnt lgkmcnt(0)
	v_mul_hi_u32 v5, s9, v3
	v_add_u32_e32 v5, v3, v5
	v_lshrrev_b32_e32 v5, s7, v5
	v_mul_lo_u32 v6, v5, s8
	v_mov_b32_e32 v4, v37
	s_add_u32 s4, s4, 8
	v_sub_u32_e32 v6, v3, v6
	s_addc_u32 s5, s5, 0
	s_add_i32 s6, s6, -1
	v_mov_b32_e32 v3, v5
	v_mad_u64_u32 v[4:5], s[8:9], v6, s11, v[4:5]
	v_mad_u64_u32 v[36:37], s[8:9], v6, s10, v[36:37]
	s_cmp_lg_u32 s6, 0
	v_mov_b32_e32 v37, v4
	s_cbranch_scc1 .LBB25_599
; %bb.600:
	v_mov_b32_e32 v22, v37
	s_cbranch_execnz .LBB25_603
.LBB25_601:
	s_load_dwordx4 s[4:7], s[26:27], 0x4
	s_load_dwordx2 s[2:3], s[26:27], 0xc4
	s_cmp_lt_u32 s33, 2
	s_waitcnt lgkmcnt(0)
	v_mul_hi_u32 v3, s5, v0
	v_add_u32_e32 v3, v0, v3
	v_lshrrev_b32_e32 v3, s6, v3
	v_mul_lo_u32 v4, v3, s4
	v_sub_u32_e32 v0, v0, v4
	v_mul_lo_u32 v22, v0, s3
	v_mul_lo_u32 v36, v0, s2
	s_cbranch_scc1 .LBB25_603
; %bb.602:
	s_load_dwordx4 s[4:7], s[26:27], 0x10
	s_load_dwordx2 s[2:3], s[26:27], 0xcc
	s_waitcnt lgkmcnt(0)
	v_mul_hi_u32 v0, s5, v3
	v_add_u32_e32 v0, v3, v0
	v_lshrrev_b32_e32 v0, s6, v0
	v_mul_lo_u32 v0, v0, s4
	v_sub_u32_e32 v0, v3, v0
	v_mad_u64_u32 v[36:37], s[4:5], v0, s2, v[36:37]
	v_mad_u64_u32 v[22:23], s[2:3], v0, s3, v[22:23]
.LBB25_603:
	s_and_b64 vcc, exec, s[0:1]
	v_add_u32_e32 v0, 0x100, v24
	s_cbranch_vccnz .LBB25_610
; %bb.604:
	s_mov_b32 s2, 0
	s_cmp_lg_u32 s33, 0
	v_mov_b32_e32 v28, 0
	v_mov_b32_e32 v34, 0
	s_cbranch_scc0 .LBB25_609
; %bb.605:
	s_min_u32 s34, s72, 15
	s_add_i32 s34, s34, 1
	s_cmp_eq_u32 s72, 2
	s_cbranch_scc1 .LBB25_611
; %bb.606:
	s_add_u32 s28, s26, 0xc4
	s_addc_u32 s29, s27, 0
	s_and_b32 s2, s34, 28
	s_mov_b32 s3, 0
	v_mov_b32_e32 v34, 0
	s_mov_b64 s[30:31], s[26:27]
	v_mov_b32_e32 v3, v0
	v_mov_b32_e32 v28, 0
.LBB25_607:                             ; =>This Inner Loop Header: Depth=1
	s_load_dwordx8 s[12:19], s[30:31], 0x4
	s_load_dwordx4 s[20:23], s[30:31], 0x24
	s_load_dwordx8 s[4:11], s[28:29], 0x0
	s_add_u32 s30, s30, 48
	s_addc_u32 s31, s31, 0
	s_waitcnt lgkmcnt(0)
	v_mul_hi_u32 v4, s13, v3
	v_add_u32_e32 v4, v3, v4
	v_lshrrev_b32_e32 v4, s14, v4
	v_mul_lo_u32 v5, v4, s12
	v_mul_hi_u32 v6, s16, v4
	v_sub_u32_e32 v3, v3, v5
	v_add_u32_e32 v5, v4, v6
	v_lshrrev_b32_e32 v5, s17, v5
	v_mul_lo_u32 v7, v5, s15
	v_mul_hi_u32 v8, s19, v5
	v_sub_u32_e32 v4, v4, v7
	v_add_u32_e32 v7, v5, v8
	v_mul_lo_u32 v6, v3, s5
	v_mul_lo_u32 v3, v3, s4
	;; [unrolled: 1-line block ×4, first 2 shown]
	v_lshrrev_b32_e32 v7, s20, v7
	v_add3_u32 v4, v3, v34, v4
	v_add3_u32 v6, v6, v28, v8
	v_mul_lo_u32 v3, v7, s18
	v_mul_hi_u32 v8, s22, v7
	v_sub_u32_e32 v3, v5, v3
	v_add_u32_e32 v5, v7, v8
	v_mul_lo_u32 v8, v3, s8
	v_mul_lo_u32 v9, v3, s9
	v_lshrrev_b32_e32 v3, s23, v5
	s_add_i32 s3, s3, 4
	v_mul_lo_u32 v5, v3, s21
	s_add_u32 s28, s28, 32
	v_sub_u32_e32 v5, v7, v5
	s_addc_u32 s29, s29, 0
	v_mul_lo_u32 v7, v5, s10
	v_mul_lo_u32 v5, v5, s11
	s_cmp_lg_u32 s2, s3
	v_add3_u32 v28, v9, v6, v5
	v_add3_u32 v34, v8, v4, v7
	s_cbranch_scc1 .LBB25_607
; %bb.608:
	v_mov_b32_e32 v35, v28
	s_and_b32 s6, s34, 3
	s_cmp_eq_u32 s6, 0
	s_cbranch_scc0 .LBB25_612
.LBB25_609:
	s_cbranch_execz .LBB25_615
	s_branch .LBB25_617
.LBB25_610:
                                        ; implicit-def: $vgpr28
                                        ; implicit-def: $vgpr34
	s_branch .LBB25_615
.LBB25_611:
	s_mov_b32 s3, s2
	v_mov_b64_e32 v[34:35], s[2:3]
                                        ; implicit-def: $vgpr28
	v_mov_b32_e32 v3, v0
	s_and_b32 s6, s34, 3
	s_cmp_eq_u32 s6, 0
	s_cbranch_scc1 .LBB25_609
.LBB25_612:
	s_lshl_b32 s3, s2, 3
	s_add_u32 s3, s3, s26
	s_addc_u32 s5, 0, s27
	s_add_u32 s4, s3, 0xc4
	s_addc_u32 s5, s5, 0
	s_mul_i32 s2, s2, 12
	s_add_u32 s2, s26, s2
	s_addc_u32 s3, 0, s27
.LBB25_613:                             ; =>This Inner Loop Header: Depth=1
	s_load_dwordx2 s[8:9], s[2:3], 0x4
	s_load_dword s7, s[2:3], 0xc
	s_load_dwordx2 s[10:11], s[4:5], 0x0
	s_add_u32 s2, s2, 12
	s_addc_u32 s3, s3, 0
	s_waitcnt lgkmcnt(0)
	v_mul_hi_u32 v5, s9, v3
	v_add_u32_e32 v5, v3, v5
	v_lshrrev_b32_e32 v5, s7, v5
	v_mul_lo_u32 v6, v5, s8
	v_mov_b32_e32 v4, v35
	s_add_u32 s4, s4, 8
	v_sub_u32_e32 v6, v3, v6
	s_addc_u32 s5, s5, 0
	s_add_i32 s6, s6, -1
	v_mov_b32_e32 v3, v5
	v_mad_u64_u32 v[4:5], s[8:9], v6, s11, v[4:5]
	v_mad_u64_u32 v[34:35], s[8:9], v6, s10, v[34:35]
	s_cmp_lg_u32 s6, 0
	v_mov_b32_e32 v35, v4
	s_cbranch_scc1 .LBB25_613
; %bb.614:
	v_mov_b32_e32 v28, v35
	s_cbranch_execnz .LBB25_617
.LBB25_615:
	s_load_dwordx4 s[4:7], s[26:27], 0x4
	s_load_dwordx2 s[2:3], s[26:27], 0xc4
	s_cmp_lt_u32 s33, 2
	s_waitcnt lgkmcnt(0)
	v_mul_hi_u32 v3, s5, v0
	v_add_u32_e32 v3, v0, v3
	v_lshrrev_b32_e32 v3, s6, v3
	v_mul_lo_u32 v4, v3, s4
	v_sub_u32_e32 v0, v0, v4
	v_mul_lo_u32 v28, v0, s3
	v_mul_lo_u32 v34, v0, s2
	s_cbranch_scc1 .LBB25_617
; %bb.616:
	s_load_dwordx4 s[4:7], s[26:27], 0x10
	s_load_dwordx2 s[2:3], s[26:27], 0xcc
	s_waitcnt lgkmcnt(0)
	v_mul_hi_u32 v0, s5, v3
	v_add_u32_e32 v0, v3, v0
	v_lshrrev_b32_e32 v0, s6, v0
	v_mul_lo_u32 v0, v0, s4
	v_sub_u32_e32 v0, v3, v0
	v_mad_u64_u32 v[34:35], s[4:5], v0, s2, v[34:35]
	v_mad_u64_u32 v[28:29], s[2:3], v0, s3, v[28:29]
.LBB25_617:
	s_and_b64 vcc, exec, s[0:1]
	s_cbranch_vccnz .LBB25_624
; %bb.618:
	s_mov_b32 s20, 0
	s_cmp_lg_u32 s33, 0
	v_mov_b32_e32 v30, 0
	v_mov_b32_e32 v32, 0
	s_cbranch_scc0 .LBB25_623
; %bb.619:
	s_min_u32 s30, s72, 15
	s_add_i32 s30, s30, 1
	s_cmp_eq_u32 s72, 2
	s_cbranch_scc1 .LBB25_625
; %bb.620:
	s_add_u32 s22, s26, 0xc4
	s_addc_u32 s23, s27, 0
	s_and_b32 s20, s30, 28
	s_mov_b32 s21, 0
	v_mov_b32_e32 v32, 0
	s_mov_b64 s[28:29], s[26:27]
	v_mov_b32_e32 v0, v1
	v_mov_b32_e32 v30, 0
.LBB25_621:                             ; =>This Inner Loop Header: Depth=1
	s_load_dwordx8 s[8:15], s[28:29], 0x4
	s_load_dwordx4 s[16:19], s[28:29], 0x24
	s_load_dwordx8 s[0:7], s[22:23], 0x0
	s_add_u32 s28, s28, 48
	s_addc_u32 s29, s29, 0
	s_waitcnt lgkmcnt(0)
	v_mul_hi_u32 v3, s9, v0
	v_add_u32_e32 v3, v0, v3
	v_lshrrev_b32_e32 v3, s10, v3
	v_mul_lo_u32 v4, v3, s8
	v_mul_hi_u32 v5, s12, v3
	v_sub_u32_e32 v0, v0, v4
	v_add_u32_e32 v4, v3, v5
	v_lshrrev_b32_e32 v4, s13, v4
	v_mul_lo_u32 v6, v4, s11
	v_mul_hi_u32 v7, s15, v4
	v_sub_u32_e32 v3, v3, v6
	v_add_u32_e32 v6, v4, v7
	v_mul_lo_u32 v5, v0, s1
	v_mul_lo_u32 v0, v0, s0
	;; [unrolled: 1-line block ×4, first 2 shown]
	v_lshrrev_b32_e32 v6, s16, v6
	v_add3_u32 v3, v0, v32, v3
	v_add3_u32 v5, v5, v30, v7
	v_mul_lo_u32 v0, v6, s14
	v_mul_hi_u32 v7, s18, v6
	v_sub_u32_e32 v0, v4, v0
	v_add_u32_e32 v4, v6, v7
	v_mul_lo_u32 v7, v0, s4
	v_mul_lo_u32 v8, v0, s5
	v_lshrrev_b32_e32 v0, s19, v4
	s_add_i32 s21, s21, 4
	v_mul_lo_u32 v4, v0, s17
	s_add_u32 s22, s22, 32
	v_sub_u32_e32 v4, v6, v4
	s_addc_u32 s23, s23, 0
	v_mul_lo_u32 v6, v4, s6
	v_mul_lo_u32 v4, v4, s7
	s_cmp_lg_u32 s20, s21
	v_add3_u32 v30, v8, v5, v4
	v_add3_u32 v32, v7, v3, v6
	s_cbranch_scc1 .LBB25_621
; %bb.622:
	v_mov_b32_e32 v33, v30
	s_and_b32 s4, s30, 3
	s_cmp_eq_u32 s4, 0
	s_cbranch_scc0 .LBB25_626
.LBB25_623:
	s_cbranch_execz .LBB25_629
	s_branch .LBB25_631
.LBB25_624:
                                        ; implicit-def: $vgpr30
                                        ; implicit-def: $vgpr32
	s_branch .LBB25_629
.LBB25_625:
	s_mov_b32 s21, s20
	v_mov_b64_e32 v[32:33], s[20:21]
                                        ; implicit-def: $vgpr30
	v_mov_b32_e32 v0, v1
	s_and_b32 s4, s30, 3
	s_cmp_eq_u32 s4, 0
	s_cbranch_scc1 .LBB25_623
.LBB25_626:
	s_lshl_b32 s0, s20, 3
	s_add_u32 s0, s0, s26
	s_addc_u32 s1, 0, s27
	s_add_u32 s0, s0, 0xc4
	s_addc_u32 s1, s1, 0
	s_mul_i32 s2, s20, 12
	s_add_u32 s2, s26, s2
	s_addc_u32 s3, 0, s27
.LBB25_627:                             ; =>This Inner Loop Header: Depth=1
	s_load_dwordx2 s[6:7], s[2:3], 0x4
	s_load_dword s5, s[2:3], 0xc
	s_load_dwordx2 s[8:9], s[0:1], 0x0
	s_add_u32 s2, s2, 12
	s_addc_u32 s3, s3, 0
	s_waitcnt lgkmcnt(0)
	v_mul_hi_u32 v3, s7, v0
	v_add_u32_e32 v3, v0, v3
	v_lshrrev_b32_e32 v3, s5, v3
	v_mul_lo_u32 v5, v3, s6
	v_mov_b32_e32 v4, v33
	s_add_u32 s0, s0, 8
	v_sub_u32_e32 v6, v0, v5
	s_addc_u32 s1, s1, 0
	s_add_i32 s4, s4, -1
	v_mad_u64_u32 v[4:5], s[6:7], v6, s9, v[4:5]
	v_mad_u64_u32 v[32:33], s[6:7], v6, s8, v[32:33]
	s_cmp_lg_u32 s4, 0
	v_mov_b32_e32 v0, v3
	v_mov_b32_e32 v33, v4
	s_cbranch_scc1 .LBB25_627
; %bb.628:
	v_mov_b32_e32 v30, v33
	s_cbranch_execnz .LBB25_631
.LBB25_629:
	s_load_dwordx4 s[0:3], s[26:27], 0x4
	s_load_dwordx2 s[4:5], s[26:27], 0xc4
	s_cmp_lt_u32 s33, 2
	s_waitcnt lgkmcnt(0)
	v_mul_hi_u32 v0, s1, v1
	v_add_u32_e32 v0, v1, v0
	v_lshrrev_b32_e32 v0, s2, v0
	v_mul_lo_u32 v3, v0, s0
	v_sub_u32_e32 v1, v1, v3
	v_mul_lo_u32 v30, v1, s5
	v_mul_lo_u32 v32, v1, s4
	s_cbranch_scc1 .LBB25_631
; %bb.630:
	s_load_dwordx4 s[0:3], s[26:27], 0x10
	s_load_dwordx2 s[4:5], s[26:27], 0xcc
	s_waitcnt lgkmcnt(0)
	v_mul_hi_u32 v1, s1, v0
	v_add_u32_e32 v1, v0, v1
	v_lshrrev_b32_e32 v1, s2, v1
	v_mul_lo_u32 v1, v1, s0
	v_sub_u32_e32 v0, v0, v1
	v_mad_u64_u32 v[32:33], s[0:1], v0, s4, v[32:33]
	v_mad_u64_u32 v[30:31], s[0:1], v0, s5, v[30:31]
.LBB25_631:
	s_load_dword s28, s[24:25], 0x160
	s_load_dwordx4 s[36:39], s[26:27], 0x148
	s_getpc_b64 s[24:25]
	s_add_u32 s24, s24, _ZN2at6native6invokeIZZZNS0_12_GLOBAL__N_121bessel_y0_kernel_cudaERNS_18TensorIteratorBaseEENKUlvE_clEvENKUlvE0_clEvEUlfE_j15function_traitsIS7_EEENT1_11result_typeERKT_PrKPcPKT0_PKN3c1010ScalarTypeEi@rel32@lo+4
	s_addc_u32 s25, s25, _ZN2at6native6invokeIZZZNS0_12_GLOBAL__N_121bessel_y0_kernel_cudaERNS_18TensorIteratorBaseEENKUlvE_clEvENKUlvE0_clEvEUlfE_j15function_traitsIS7_EEENT1_11result_typeERKT_PrKPcPKT0_PKN3c1010ScalarTypeEi@rel32@hi+12
	s_waitcnt lgkmcnt(0)
	s_lshr_b32 s26, s28, 16
	v_mov_b32_e32 v0, s38
	v_mov_b32_e32 v1, s39
	v_mov_b32_e32 v3, s26
	s_swappc_b64 s[30:31], s[24:25]
	v_mov_b32_e32 v26, v0
	v_mov_b32_e32 v0, s38
	v_mov_b32_e32 v1, s39
	v_mov_b32_e32 v2, v22
	v_mov_b32_e32 v3, s26
	s_swappc_b64 s[30:31], s[24:25]
	v_mov_b32_e32 v24, v0
	v_mov_b32_e32 v0, s38
	;; [unrolled: 6-line block ×3, first 2 shown]
	v_mov_b32_e32 v1, s39
	v_mov_b32_e32 v2, v30
	;; [unrolled: 1-line block ×3, first 2 shown]
	s_swappc_b64 s[30:31], s[24:25]
	s_lshr_b32 s12, s28, 8
	v_mov_b32_e32 v1, 11
	v_mov_b32_e32 v39, 0
	v_cmp_lt_i16_sdwa s[0:1], s12, v1 src0_sel:BYTE_0 src1_sel:DWORD
	v_lshl_add_u64 v[2:3], s[36:37], 0, v[38:39]
	s_and_b64 vcc, exec, s[0:1]
	s_cbranch_vccnz .LBB25_638
; %bb.632:
	v_mov_b32_e32 v1, 25
	v_cmp_gt_i16_sdwa s[0:1], s12, v1 src0_sel:BYTE_0 src1_sel:DWORD
	s_mov_b64 s[2:3], -1
	s_mov_b64 s[4:5], 0
	s_and_b64 vcc, exec, s[0:1]
	s_mov_b64 s[6:7], 0
	s_mov_b64 s[0:1], 0
	s_cbranch_vccz .LBB25_669
; %bb.633:
	v_mov_b32_e32 v1, 28
	v_cmp_gt_i16_sdwa s[0:1], s12, v1 src0_sel:BYTE_0 src1_sel:DWORD
	s_and_b64 vcc, exec, s[0:1]
	s_cbranch_vccz .LBB25_640
; %bb.634:
	v_mov_b32_e32 v1, 43
	v_cmp_gt_i16_sdwa s[0:1], s12, v1 src0_sel:BYTE_0 src1_sel:DWORD
	s_and_b64 vcc, exec, s[0:1]
	;; [unrolled: 5-line block ×3, first 2 shown]
	s_cbranch_vccz .LBB25_642
; %bb.636:
	v_mov_b32_e32 v1, 46
	v_cmp_eq_u16_sdwa s[6:7], s12, v1 src0_sel:BYTE_0 src1_sel:DWORD
	s_mov_b64 s[0:1], -1
	s_mov_b64 s[2:3], 0
	s_and_b64 vcc, exec, s[6:7]
	s_mov_b64 s[6:7], 0
	s_cbranch_vccz .LBB25_643
; %bb.637:
	v_bfe_u32 v1, v26, 16, 1
	s_movk_i32 s0, 0x7fff
	v_add3_u32 v1, v26, v1, s0
	v_lshrrev_b32_e32 v1, 16, v1
	v_mov_b32_e32 v4, 0x7fc0
	v_cmp_o_f32_e32 vcc, v26, v26
	s_mov_b64 s[0:1], 0
	s_mov_b64 s[6:7], -1
	v_cndmask_b32_e32 v1, v4, v1, vcc
	global_store_dword v[2:3], v1, off
	s_branch .LBB25_643
.LBB25_638:
	s_mov_b64 s[6:7], 0
	s_mov_b64 s[2:3], s[40:41]
	s_cbranch_execnz .LBB25_713
.LBB25_639:
	s_andn2_b64 vcc, exec, s[6:7]
	s_cbranch_vccz .LBB25_751
	s_branch .LBB25_1080
.LBB25_640:
	s_mov_b64 s[0:1], 0
	s_branch .LBB25_652
.LBB25_641:
	s_mov_b64 s[0:1], 0
	s_and_b64 vcc, exec, s[2:3]
	s_cbranch_vccnz .LBB25_649
	s_branch .LBB25_651
.LBB25_642:
	s_mov_b64 s[0:1], 0
.LBB25_643:
	s_and_b64 vcc, exec, s[2:3]
	s_cbranch_vccz .LBB25_648
; %bb.644:
	v_mov_b32_e32 v1, 44
	v_cmp_eq_u16_sdwa s[2:3], s12, v1 src0_sel:BYTE_0 src1_sel:DWORD
	s_mov_b64 s[0:1], -1
	s_and_b64 vcc, exec, s[2:3]
	s_cbranch_vccz .LBB25_648
; %bb.645:
	v_bfe_u32 v1, v26, 23, 8
	s_movk_i32 s0, 0xff
	v_cmp_ne_u32_e32 vcc, s0, v1
	v_mov_b32_e32 v4, 0xff
	s_and_saveexec_b64 s[2:3], vcc
; %bb.646:
	s_mov_b32 s0, 0x3fffff
	v_and_b32_e32 v5, 0x400000, v26
	v_and_or_b32 v1, v26, s0, v1
	v_cmp_ne_u32_e32 vcc, 0, v5
	v_cmp_ne_u32_e64 s[0:1], 0, v1
	s_and_b64 s[0:1], vcc, s[0:1]
	v_lshrrev_b32_e32 v4, 23, v26
	v_cndmask_b32_e64 v1, 0, 1, s[0:1]
	v_add_u32_e32 v4, v4, v1
; %bb.647:
	s_or_b64 exec, exec, s[2:3]
	s_mov_b64 s[0:1], 0
	s_mov_b64 s[6:7], -1
	global_store_byte v[2:3], v4, off
.LBB25_648:
	s_branch .LBB25_651
.LBB25_649:
	v_mov_b32_e32 v1, 29
	v_cmp_eq_u16_sdwa s[2:3], s12, v1 src0_sel:BYTE_0 src1_sel:DWORD
	s_mov_b64 s[0:1], -1
	s_and_b64 vcc, exec, s[2:3]
	s_cbranch_vccz .LBB25_651
; %bb.650:
	v_trunc_f32_e32 v1, v26
	v_mul_f32_e32 v4, 0x2f800000, v1
	v_floor_f32_e32 v4, v4
	v_fmamk_f32 v1, v4, 0xcf800000, v1
	v_cvt_u32_f32_e32 v5, v4
	v_cvt_u32_f32_e32 v4, v1
	s_mov_b64 s[0:1], 0
	s_mov_b64 s[6:7], -1
	s_mov_b64 s[2:3], 0
	global_store_dwordx2 v[2:3], v[4:5], off
	s_branch .LBB25_652
.LBB25_651:
	s_mov_b64 s[2:3], 0
.LBB25_652:
	s_and_b64 vcc, exec, s[2:3]
	s_cbranch_vccz .LBB25_668
; %bb.653:
	v_mov_b32_e32 v1, 27
	v_cmp_lt_i16_sdwa s[6:7], s12, v1 src0_sel:BYTE_0 src1_sel:DWORD
	s_mov_b64 s[2:3], -1
	s_and_b64 vcc, exec, s[6:7]
	s_cbranch_vccnz .LBB25_659
; %bb.654:
	v_cmp_gt_i16_sdwa s[6:7], s12, v1 src0_sel:BYTE_0 src1_sel:DWORD
	s_and_b64 vcc, exec, s[6:7]
	s_cbranch_vccz .LBB25_656
; %bb.655:
	v_cvt_u32_f32_e32 v1, v26
	s_mov_b64 s[2:3], 0
	global_store_dword v[2:3], v1, off
.LBB25_656:
	s_andn2_b64 vcc, exec, s[2:3]
	s_cbranch_vccnz .LBB25_658
; %bb.657:
	v_cvt_u32_f32_e32 v1, v26
	global_store_short v[2:3], v1, off
.LBB25_658:
	s_mov_b64 s[2:3], 0
.LBB25_659:
	s_andn2_b64 vcc, exec, s[2:3]
	s_cbranch_vccnz .LBB25_667
; %bb.660:
	v_and_b32_e32 v1, 0x7fffffff, v26
	s_mov_b32 s2, 0x43800000
	v_cmp_gt_u32_e32 vcc, s2, v1
	v_mov_b32_e32 v4, 0x80
	s_and_saveexec_b64 s[2:3], vcc
	s_cbranch_execz .LBB25_666
; %bb.661:
	s_mov_b32 s6, 0x3bffffff
	v_cmp_lt_u32_e32 vcc, s6, v1
	s_mov_b64 s[6:7], 0
                                        ; implicit-def: $vgpr1
	s_and_saveexec_b64 s[8:9], vcc
	s_xor_b64 s[8:9], exec, s[8:9]
	s_cbranch_execz .LBB25_761
; %bb.662:
	v_bfe_u32 v1, v26, 20, 1
	s_mov_b32 s10, 0x487ffff
	v_add3_u32 v1, v26, v1, s10
	s_mov_b64 s[6:7], exec
	v_lshrrev_b32_e32 v1, 20, v1
	s_or_saveexec_b64 s[8:9], s[8:9]
                                        ; implicit-def: $sgpr10
	s_xor_b64 exec, exec, s[8:9]
	s_cbranch_execnz .LBB25_762
.LBB25_663:
	s_or_b64 exec, exec, s[8:9]
	v_mov_b32_e32 v4, s10
	s_and_saveexec_b64 s[8:9], s[6:7]
.LBB25_664:
	v_lshrrev_b32_e32 v4, 24, v26
	s_movk_i32 s6, 0x80
	v_and_or_b32 v4, v4, s6, v1
.LBB25_665:
	s_or_b64 exec, exec, s[8:9]
.LBB25_666:
	s_or_b64 exec, exec, s[2:3]
	global_store_byte v[2:3], v4, off
.LBB25_667:
	s_mov_b64 s[6:7], -1
.LBB25_668:
	s_mov_b64 s[2:3], 0
.LBB25_669:
	s_and_b64 vcc, exec, s[2:3]
	s_cbranch_vccz .LBB25_709
; %bb.670:
	v_mov_b32_e32 v1, 22
	v_cmp_gt_i16_sdwa s[4:5], s12, v1 src0_sel:BYTE_0 src1_sel:DWORD
	s_mov_b64 s[2:3], -1
	s_and_b64 vcc, exec, s[4:5]
	s_cbranch_vccz .LBB25_702
; %bb.671:
	v_mov_b32_e32 v1, 24
	v_cmp_lt_i16_sdwa s[4:5], s12, v1 src0_sel:BYTE_0 src1_sel:DWORD
	s_and_b64 vcc, exec, s[4:5]
	s_cbranch_vccnz .LBB25_691
; %bb.672:
	v_cmp_gt_i16_sdwa s[4:5], s12, v1 src0_sel:BYTE_0 src1_sel:DWORD
	s_and_b64 vcc, exec, s[4:5]
	s_cbranch_vccz .LBB25_680
; %bb.673:
	v_and_b32_e32 v1, 0x7fffffff, v26
	s_mov_b32 s2, 0x47800000
	v_cmp_gt_u32_e32 vcc, s2, v1
	v_mov_b32_e32 v4, 0x80
	s_and_saveexec_b64 s[2:3], vcc
	s_cbranch_execz .LBB25_679
; %bb.674:
	s_mov_b32 s4, 0x37ffffff
	v_cmp_lt_u32_e32 vcc, s4, v1
	s_mov_b64 s[4:5], 0
                                        ; implicit-def: $vgpr1
	s_and_saveexec_b64 s[6:7], vcc
	s_xor_b64 s[6:7], exec, s[6:7]
	s_cbranch_execz .LBB25_765
; %bb.675:
	v_bfe_u32 v1, v26, 21, 1
	s_mov_b32 s8, 0x88fffff
	v_add3_u32 v1, v26, v1, s8
	s_mov_b64 s[4:5], exec
	v_lshrrev_b32_e32 v1, 21, v1
	s_or_saveexec_b64 s[6:7], s[6:7]
                                        ; implicit-def: $sgpr8
	s_xor_b64 exec, exec, s[6:7]
	s_cbranch_execnz .LBB25_766
.LBB25_676:
	s_or_b64 exec, exec, s[6:7]
	v_mov_b32_e32 v4, s8
	s_and_saveexec_b64 s[6:7], s[4:5]
.LBB25_677:
	v_lshrrev_b32_e32 v4, 24, v26
	s_movk_i32 s4, 0x80
	v_and_or_b32 v4, v4, s4, v1
.LBB25_678:
	s_or_b64 exec, exec, s[6:7]
.LBB25_679:
	s_or_b64 exec, exec, s[2:3]
	s_mov_b64 s[2:3], 0
	global_store_byte v[2:3], v4, off
.LBB25_680:
	s_and_b64 vcc, exec, s[2:3]
	s_cbranch_vccz .LBB25_690
; %bb.681:
	v_and_b32_e32 v4, 0x7fffffff, v26
	s_mov_b32 s2, 0x43f00000
	v_cmp_gt_u32_e32 vcc, s2, v4
                                        ; implicit-def: $vgpr1
	s_and_saveexec_b64 s[2:3], vcc
	s_xor_b64 s[2:3], exec, s[2:3]
	s_cbranch_execz .LBB25_687
; %bb.682:
	s_mov_b32 s4, 0x3c7fffff
	v_cmp_lt_u32_e32 vcc, s4, v4
                                        ; implicit-def: $vgpr1
	s_and_saveexec_b64 s[4:5], vcc
	s_xor_b64 s[4:5], exec, s[4:5]
; %bb.683:
	v_bfe_u32 v1, v26, 20, 1
	s_mov_b32 s6, 0x407ffff
	v_add3_u32 v1, v26, v1, s6
	v_lshrrev_b32_e32 v4, 20, v1
	v_and_b32_e32 v1, 0xff00000, v1
	s_mov_b32 s6, 0x7f00000
	v_mov_b32_e32 v5, 0x7e
	v_cmp_ne_u32_e32 vcc, s6, v1
	s_nop 1
	v_cndmask_b32_e32 v1, v5, v4, vcc
; %bb.684:
	s_andn2_saveexec_b64 s[4:5], s[4:5]
; %bb.685:
	s_mov_b32 s6, 0x46800000
	v_add_f32_e64 v1, |v26|, s6
; %bb.686:
	s_or_b64 exec, exec, s[4:5]
                                        ; implicit-def: $vgpr4
.LBB25_687:
	s_andn2_saveexec_b64 s[2:3], s[2:3]
; %bb.688:
	s_mov_b32 s4, 0x7f800000
	v_mov_b32_e32 v1, 0x7e
	v_mov_b32_e32 v5, 0x7f
	v_cmp_lt_u32_e32 vcc, s4, v4
	s_nop 1
	v_cndmask_b32_e32 v1, v1, v5, vcc
; %bb.689:
	s_or_b64 exec, exec, s[2:3]
	v_lshrrev_b32_e32 v4, 24, v26
	s_movk_i32 s2, 0x80
	v_and_or_b32 v1, v4, s2, v1
	global_store_byte v[2:3], v1, off
.LBB25_690:
	s_mov_b64 s[2:3], 0
.LBB25_691:
	s_andn2_b64 vcc, exec, s[2:3]
	s_cbranch_vccnz .LBB25_701
; %bb.692:
	v_and_b32_e32 v4, 0x7fffffff, v26
	s_mov_b32 s2, 0x47800000
	v_cmp_gt_u32_e32 vcc, s2, v4
                                        ; implicit-def: $vgpr1
	s_and_saveexec_b64 s[2:3], vcc
	s_xor_b64 s[2:3], exec, s[2:3]
	s_cbranch_execz .LBB25_698
; %bb.693:
	s_mov_b32 s4, 0x387fffff
	v_cmp_lt_u32_e32 vcc, s4, v4
                                        ; implicit-def: $vgpr1
	s_and_saveexec_b64 s[4:5], vcc
	s_xor_b64 s[4:5], exec, s[4:5]
; %bb.694:
	v_bfe_u32 v1, v26, 21, 1
	s_mov_b32 s6, 0x80fffff
	v_add3_u32 v1, v26, v1, s6
	v_lshrrev_b32_e32 v1, 21, v1
; %bb.695:
	s_andn2_saveexec_b64 s[4:5], s[4:5]
; %bb.696:
	s_mov_b32 s6, 0x43000000
	v_add_f32_e64 v1, |v26|, s6
; %bb.697:
	s_or_b64 exec, exec, s[4:5]
                                        ; implicit-def: $vgpr4
.LBB25_698:
	s_andn2_saveexec_b64 s[2:3], s[2:3]
; %bb.699:
	s_mov_b32 s4, 0x7f800000
	v_mov_b32_e32 v1, 0x7c
	v_mov_b32_e32 v5, 0x7f
	v_cmp_lt_u32_e32 vcc, s4, v4
	s_nop 1
	v_cndmask_b32_e32 v1, v1, v5, vcc
; %bb.700:
	s_or_b64 exec, exec, s[2:3]
	v_lshrrev_b32_e32 v4, 24, v26
	s_movk_i32 s2, 0x80
	v_and_or_b32 v1, v4, s2, v1
	global_store_byte v[2:3], v1, off
.LBB25_701:
	s_mov_b64 s[2:3], 0
	s_mov_b64 s[6:7], -1
.LBB25_702:
	s_andn2_b64 vcc, exec, s[2:3]
	s_mov_b64 s[4:5], 0
	s_cbranch_vccnz .LBB25_709
; %bb.703:
	v_mov_b32_e32 v1, 14
	v_cmp_gt_i16_sdwa s[4:5], s12, v1 src0_sel:BYTE_0 src1_sel:DWORD
	s_mov_b64 s[2:3], -1
	s_and_b64 vcc, exec, s[4:5]
	s_cbranch_vccz .LBB25_707
; %bb.704:
	v_mov_b32_e32 v1, 15
	v_cmp_eq_u16_sdwa s[2:3], s12, v1 src0_sel:BYTE_0 src1_sel:DWORD
	s_mov_b64 s[0:1], -1
	s_and_b64 vcc, exec, s[2:3]
	s_cbranch_vccz .LBB25_706
; %bb.705:
	v_bfe_u32 v1, v26, 16, 1
	s_movk_i32 s0, 0x7fff
	v_add3_u32 v1, v26, v1, s0
	v_lshrrev_b32_e32 v1, 16, v1
	v_mov_b32_e32 v4, 0x7fc0
	v_cmp_o_f32_e32 vcc, v26, v26
	s_mov_b64 s[0:1], 0
	s_mov_b64 s[6:7], -1
	v_cndmask_b32_e32 v1, v4, v1, vcc
	global_store_short v[2:3], v1, off
.LBB25_706:
	s_mov_b64 s[2:3], 0
.LBB25_707:
	s_mov_b64 s[4:5], 0
	s_and_b64 vcc, exec, s[2:3]
	s_cbranch_vccz .LBB25_709
; %bb.708:
	v_mov_b32_e32 v1, 11
	v_cmp_ne_u16_sdwa s[0:1], s12, v1 src0_sel:BYTE_0 src1_sel:DWORD
	s_mov_b64 s[4:5], -1
.LBB25_709:
	s_and_b64 vcc, exec, s[0:1]
	s_mov_b64 s[2:3], s[40:41]
	s_cbranch_vccnz .LBB25_764
; %bb.710:
	s_andn2_b64 vcc, exec, s[4:5]
	s_cbranch_vccnz .LBB25_712
.LBB25_711:
	v_cmp_neq_f32_e32 vcc, 0, v26
	s_mov_b64 s[6:7], -1
	s_nop 0
	v_cndmask_b32_e64 v1, 0, 1, vcc
	global_store_byte v[2:3], v1, off
.LBB25_712:
	s_branch .LBB25_639
.LBB25_713:
	v_mov_b32_e32 v1, 5
	v_cmp_lt_i16_sdwa s[4:5], s12, v1 src0_sel:BYTE_0 src1_sel:DWORD
	s_mov_b64 s[0:1], -1
	s_and_b64 vcc, exec, s[4:5]
	s_cbranch_vccnz .LBB25_734
; %bb.714:
	v_mov_b32_e32 v1, 8
	v_cmp_lt_i16_sdwa s[4:5], s12, v1 src0_sel:BYTE_0 src1_sel:DWORD
	s_and_b64 vcc, exec, s[4:5]
	s_cbranch_vccnz .LBB25_724
; %bb.715:
	v_mov_b32_e32 v1, 9
	v_cmp_lt_i16_sdwa s[4:5], s12, v1 src0_sel:BYTE_0 src1_sel:DWORD
	s_and_b64 vcc, exec, s[4:5]
	s_cbranch_vccnz .LBB25_721
; %bb.716:
	v_cmp_gt_i16_sdwa s[4:5], s12, v1 src0_sel:BYTE_0 src1_sel:DWORD
	s_and_b64 vcc, exec, s[4:5]
	s_cbranch_vccz .LBB25_718
; %bb.717:
	v_mov_b32_e32 v6, 0
	v_cvt_f64_f32_e32 v[4:5], v26
	v_mov_b32_e32 v7, v6
	global_store_dwordx4 v[2:3], v[4:7], off
	s_mov_b64 s[0:1], 0
.LBB25_718:
	s_andn2_b64 vcc, exec, s[0:1]
	s_cbranch_vccnz .LBB25_720
; %bb.719:
	v_mov_b32_e32 v27, 0
	global_store_dwordx2 v[2:3], v[26:27], off
.LBB25_720:
	s_mov_b64 s[0:1], 0
.LBB25_721:
	s_andn2_b64 vcc, exec, s[0:1]
	s_cbranch_vccnz .LBB25_723
; %bb.722:
	v_cvt_f16_f32_e32 v1, v26
	global_store_dword v[2:3], v1, off
.LBB25_723:
	s_mov_b64 s[0:1], 0
.LBB25_724:
	s_andn2_b64 vcc, exec, s[0:1]
	s_cbranch_vccnz .LBB25_733
; %bb.725:
	v_mov_b32_e32 v1, 6
	v_cmp_lt_i16_sdwa s[4:5], s12, v1 src0_sel:BYTE_0 src1_sel:DWORD
	s_mov_b64 s[0:1], -1
	s_and_b64 vcc, exec, s[4:5]
	s_cbranch_vccnz .LBB25_731
; %bb.726:
	v_cmp_gt_i16_sdwa s[4:5], s12, v1 src0_sel:BYTE_0 src1_sel:DWORD
	s_and_b64 vcc, exec, s[4:5]
	s_cbranch_vccz .LBB25_728
; %bb.727:
	v_cvt_f64_f32_e32 v[4:5], v26
	global_store_dwordx2 v[2:3], v[4:5], off
	s_mov_b64 s[0:1], 0
.LBB25_728:
	s_andn2_b64 vcc, exec, s[0:1]
	s_cbranch_vccnz .LBB25_730
; %bb.729:
	global_store_dword v[2:3], v26, off
.LBB25_730:
	s_mov_b64 s[0:1], 0
.LBB25_731:
	s_andn2_b64 vcc, exec, s[0:1]
	s_cbranch_vccnz .LBB25_733
; %bb.732:
	v_cvt_f16_f32_e32 v1, v26
	global_store_short v[2:3], v1, off
.LBB25_733:
	s_mov_b64 s[0:1], 0
.LBB25_734:
	s_andn2_b64 vcc, exec, s[0:1]
	s_cbranch_vccnz .LBB25_750
; %bb.735:
	v_mov_b32_e32 v1, 2
	v_cmp_lt_i16_sdwa s[4:5], s12, v1 src0_sel:BYTE_0 src1_sel:DWORD
	s_mov_b64 s[0:1], -1
	s_and_b64 vcc, exec, s[4:5]
	s_cbranch_vccnz .LBB25_745
; %bb.736:
	v_mov_b32_e32 v1, 3
	v_cmp_lt_i16_sdwa s[4:5], s12, v1 src0_sel:BYTE_0 src1_sel:DWORD
	s_and_b64 vcc, exec, s[4:5]
	s_cbranch_vccnz .LBB25_742
; %bb.737:
	v_cmp_gt_i16_sdwa s[4:5], s12, v1 src0_sel:BYTE_0 src1_sel:DWORD
	s_and_b64 vcc, exec, s[4:5]
	s_cbranch_vccz .LBB25_739
; %bb.738:
	v_trunc_f32_e32 v1, v26
	s_mov_b32 s0, 0x2f800000
	v_mul_f32_e64 v4, |v1|, s0
	v_floor_f32_e32 v4, v4
	s_mov_b32 s0, 0xcf800000
	v_cvt_u32_f32_e32 v5, v4
	v_fma_f32 v4, v4, s0, |v1|
	v_cvt_u32_f32_e32 v4, v4
	v_ashrrev_i32_e32 v1, 31, v1
	v_xor_b32_e32 v5, v5, v1
	s_mov_b64 s[0:1], 0
	v_xor_b32_e32 v4, v4, v1
	v_sub_co_u32_e32 v4, vcc, v4, v1
	s_nop 1
	v_subb_co_u32_e32 v5, vcc, v5, v1, vcc
	global_store_dwordx2 v[2:3], v[4:5], off
.LBB25_739:
	s_andn2_b64 vcc, exec, s[0:1]
	s_cbranch_vccnz .LBB25_741
; %bb.740:
	v_cvt_i32_f32_e32 v1, v26
	global_store_dword v[2:3], v1, off
.LBB25_741:
	s_mov_b64 s[0:1], 0
.LBB25_742:
	s_andn2_b64 vcc, exec, s[0:1]
	s_cbranch_vccnz .LBB25_744
; %bb.743:
	v_cvt_i32_f32_e32 v1, v26
	global_store_short v[2:3], v1, off
.LBB25_744:
	s_mov_b64 s[0:1], 0
.LBB25_745:
	s_andn2_b64 vcc, exec, s[0:1]
	s_cbranch_vccnz .LBB25_750
; %bb.746:
	v_mov_b32_e32 v1, 0
	v_cmp_gt_i16_sdwa s[4:5], s12, v1 src0_sel:BYTE_0 src1_sel:DWORD
	s_mov_b64 s[0:1], -1
	s_and_b64 vcc, exec, s[4:5]
	s_cbranch_vccz .LBB25_748
; %bb.747:
	v_cvt_i32_f32_e32 v1, v26
	s_mov_b64 s[0:1], 0
	global_store_byte v[2:3], v1, off
.LBB25_748:
	s_andn2_b64 vcc, exec, s[0:1]
	s_cbranch_vccnz .LBB25_750
; %bb.749:
	v_trunc_f32_e32 v1, v26
	s_mov_b32 s0, 0x2f800000
	v_mul_f32_e64 v4, |v1|, s0
	v_floor_f32_e32 v4, v4
	s_mov_b32 s0, 0xcf800000
	v_fma_f32 v4, v4, s0, |v1|
	v_cvt_u32_f32_e32 v4, v4
	v_ashrrev_i32_e32 v1, 31, v1
	v_xor_b32_e32 v4, v4, v1
	v_sub_u32_e32 v1, v4, v1
	global_store_byte v[2:3], v1, off
.LBB25_750:
.LBB25_751:
	v_mov_b32_e32 v1, 11
	v_mov_b32_e32 v37, 0
	v_cmp_lt_i16_sdwa s[0:1], s12, v1 src0_sel:BYTE_0 src1_sel:DWORD
	v_lshl_add_u64 v[2:3], s[36:37], 0, v[36:37]
	s_and_b64 vcc, exec, s[0:1]
	s_cbranch_vccnz .LBB25_758
; %bb.752:
	v_mov_b32_e32 v1, 25
	v_cmp_gt_i16_sdwa s[0:1], s12, v1 src0_sel:BYTE_0 src1_sel:DWORD
	s_mov_b64 s[8:9], -1
	s_mov_b64 s[4:5], 0
	s_and_b64 vcc, exec, s[0:1]
	s_mov_b64 s[6:7], 0
	s_mov_b64 s[0:1], 0
	s_cbranch_vccz .LBB25_795
; %bb.753:
	v_mov_b32_e32 v1, 28
	v_cmp_gt_i16_sdwa s[0:1], s12, v1 src0_sel:BYTE_0 src1_sel:DWORD
	s_and_b64 vcc, exec, s[0:1]
	s_cbranch_vccz .LBB25_760
; %bb.754:
	v_mov_b32_e32 v1, 43
	v_cmp_gt_i16_sdwa s[0:1], s12, v1 src0_sel:BYTE_0 src1_sel:DWORD
	s_and_b64 vcc, exec, s[0:1]
	;; [unrolled: 5-line block ×3, first 2 shown]
	s_cbranch_vccz .LBB25_767
; %bb.756:
	v_mov_b32_e32 v1, 46
	v_cmp_eq_u16_sdwa s[6:7], s12, v1 src0_sel:BYTE_0 src1_sel:DWORD
	s_mov_b64 s[0:1], -1
	s_mov_b64 s[8:9], 0
	s_and_b64 vcc, exec, s[6:7]
	s_mov_b64 s[6:7], 0
	s_cbranch_vccz .LBB25_768
; %bb.757:
	v_bfe_u32 v1, v24, 16, 1
	s_movk_i32 s0, 0x7fff
	v_add3_u32 v1, v24, v1, s0
	v_lshrrev_b32_e32 v1, 16, v1
	v_mov_b32_e32 v4, 0x7fc0
	v_cmp_o_f32_e32 vcc, v24, v24
	s_mov_b64 s[0:1], 0
	s_mov_b64 s[6:7], -1
	v_cndmask_b32_e32 v1, v4, v1, vcc
	global_store_dword v[2:3], v1, off
	s_branch .LBB25_768
.LBB25_758:
	s_mov_b64 s[6:7], 0
	s_cbranch_execnz .LBB25_839
.LBB25_759:
	s_andn2_b64 vcc, exec, s[6:7]
	s_cbranch_vccz .LBB25_877
	s_branch .LBB25_1080
.LBB25_760:
	s_mov_b64 s[0:1], 0
	s_branch .LBB25_778
.LBB25_761:
	s_or_saveexec_b64 s[8:9], s[8:9]
                                        ; implicit-def: $sgpr10
	s_xor_b64 exec, exec, s[8:9]
	s_cbranch_execz .LBB25_663
.LBB25_762:
	s_mov_b32 s10, 0x46000000
	v_add_f32_e64 v1, |v26|, s10
	v_and_b32_e32 v1, 0xff, v1
	v_cmp_ne_u32_e32 vcc, 0, v1
	s_andn2_b64 s[6:7], s[6:7], exec
	s_and_b64 s[14:15], vcc, exec
	s_mov_b32 s10, 0
	s_or_b64 s[6:7], s[6:7], s[14:15]
	s_or_b64 exec, exec, s[8:9]
	v_mov_b32_e32 v4, s10
	s_and_saveexec_b64 s[8:9], s[6:7]
	s_cbranch_execnz .LBB25_664
	s_branch .LBB25_665
.LBB25_763:
	s_mov_b64 s[0:1], 0
	s_branch .LBB25_774
.LBB25_764:
	s_or_b64 s[2:3], s[40:41], exec
	s_trap 2
	s_cbranch_execz .LBB25_711
	s_branch .LBB25_712
.LBB25_765:
	s_or_saveexec_b64 s[6:7], s[6:7]
                                        ; implicit-def: $sgpr8
	s_xor_b64 exec, exec, s[6:7]
	s_cbranch_execz .LBB25_676
.LBB25_766:
	s_mov_b32 s8, 0x42800000
	v_add_f32_e64 v1, |v26|, s8
	v_and_b32_e32 v1, 0xff, v1
	v_cmp_ne_u32_e32 vcc, 0, v1
	s_andn2_b64 s[4:5], s[4:5], exec
	s_and_b64 s[10:11], vcc, exec
	s_mov_b32 s8, 0
	s_or_b64 s[4:5], s[4:5], s[10:11]
	s_or_b64 exec, exec, s[6:7]
	v_mov_b32_e32 v4, s8
	s_and_saveexec_b64 s[6:7], s[4:5]
	s_cbranch_execnz .LBB25_677
	s_branch .LBB25_678
.LBB25_767:
	s_mov_b64 s[0:1], 0
.LBB25_768:
	s_and_b64 vcc, exec, s[8:9]
	s_cbranch_vccz .LBB25_773
; %bb.769:
	v_mov_b32_e32 v1, 44
	v_cmp_eq_u16_sdwa s[8:9], s12, v1 src0_sel:BYTE_0 src1_sel:DWORD
	s_mov_b64 s[0:1], -1
	s_and_b64 vcc, exec, s[8:9]
	s_cbranch_vccz .LBB25_773
; %bb.770:
	v_bfe_u32 v1, v24, 23, 8
	s_movk_i32 s0, 0xff
	v_cmp_ne_u32_e32 vcc, s0, v1
	v_mov_b32_e32 v4, 0xff
	s_and_saveexec_b64 s[6:7], vcc
; %bb.771:
	s_mov_b32 s0, 0x3fffff
	v_and_b32_e32 v5, 0x400000, v24
	v_and_or_b32 v1, v24, s0, v1
	v_cmp_ne_u32_e32 vcc, 0, v5
	v_cmp_ne_u32_e64 s[0:1], 0, v1
	s_and_b64 s[0:1], vcc, s[0:1]
	v_lshrrev_b32_e32 v4, 23, v24
	v_cndmask_b32_e64 v1, 0, 1, s[0:1]
	v_add_u32_e32 v4, v4, v1
; %bb.772:
	s_or_b64 exec, exec, s[6:7]
	s_mov_b64 s[0:1], 0
	s_mov_b64 s[6:7], -1
	global_store_byte v[2:3], v4, off
.LBB25_773:
	s_mov_b64 s[8:9], 0
.LBB25_774:
	s_and_b64 vcc, exec, s[8:9]
	s_cbranch_vccz .LBB25_777
; %bb.775:
	v_mov_b32_e32 v1, 29
	v_cmp_eq_u16_sdwa s[8:9], s12, v1 src0_sel:BYTE_0 src1_sel:DWORD
	s_mov_b64 s[0:1], -1
	s_and_b64 vcc, exec, s[8:9]
	s_cbranch_vccz .LBB25_777
; %bb.776:
	v_trunc_f32_e32 v1, v24
	v_mul_f32_e32 v4, 0x2f800000, v1
	v_floor_f32_e32 v4, v4
	v_fmamk_f32 v1, v4, 0xcf800000, v1
	v_cvt_u32_f32_e32 v5, v4
	v_cvt_u32_f32_e32 v4, v1
	s_mov_b64 s[0:1], 0
	s_mov_b64 s[6:7], -1
	s_mov_b64 s[8:9], 0
	global_store_dwordx2 v[2:3], v[4:5], off
	s_branch .LBB25_778
.LBB25_777:
	s_mov_b64 s[8:9], 0
.LBB25_778:
	s_and_b64 vcc, exec, s[8:9]
	s_cbranch_vccz .LBB25_794
; %bb.779:
	v_mov_b32_e32 v1, 27
	v_cmp_lt_i16_sdwa s[8:9], s12, v1 src0_sel:BYTE_0 src1_sel:DWORD
	s_mov_b64 s[6:7], -1
	s_and_b64 vcc, exec, s[8:9]
	s_cbranch_vccnz .LBB25_785
; %bb.780:
	v_cmp_gt_i16_sdwa s[8:9], s12, v1 src0_sel:BYTE_0 src1_sel:DWORD
	s_and_b64 vcc, exec, s[8:9]
	s_cbranch_vccz .LBB25_782
; %bb.781:
	v_cvt_u32_f32_e32 v1, v24
	s_mov_b64 s[6:7], 0
	global_store_dword v[2:3], v1, off
.LBB25_782:
	s_andn2_b64 vcc, exec, s[6:7]
	s_cbranch_vccnz .LBB25_784
; %bb.783:
	v_cvt_u32_f32_e32 v1, v24
	global_store_short v[2:3], v1, off
.LBB25_784:
	s_mov_b64 s[6:7], 0
.LBB25_785:
	s_andn2_b64 vcc, exec, s[6:7]
	s_cbranch_vccnz .LBB25_793
; %bb.786:
	v_and_b32_e32 v1, 0x7fffffff, v24
	s_mov_b32 s6, 0x43800000
	v_cmp_gt_u32_e32 vcc, s6, v1
	v_mov_b32_e32 v4, 0x80
	s_and_saveexec_b64 s[6:7], vcc
	s_cbranch_execz .LBB25_792
; %bb.787:
	s_mov_b32 s8, 0x3bffffff
	v_cmp_lt_u32_e32 vcc, s8, v1
	s_mov_b64 s[8:9], 0
                                        ; implicit-def: $vgpr1
	s_and_saveexec_b64 s[10:11], vcc
	s_xor_b64 s[10:11], exec, s[10:11]
	s_cbranch_execz .LBB25_964
; %bb.788:
	v_bfe_u32 v1, v24, 20, 1
	s_mov_b32 s13, 0x487ffff
	v_add3_u32 v1, v24, v1, s13
	s_mov_b64 s[8:9], exec
	v_lshrrev_b32_e32 v1, 20, v1
	s_or_saveexec_b64 s[10:11], s[10:11]
                                        ; implicit-def: $sgpr13
	s_xor_b64 exec, exec, s[10:11]
	s_cbranch_execnz .LBB25_965
.LBB25_789:
	s_or_b64 exec, exec, s[10:11]
	v_mov_b32_e32 v4, s13
	s_and_saveexec_b64 s[10:11], s[8:9]
.LBB25_790:
	v_lshrrev_b32_e32 v4, 24, v24
	s_movk_i32 s8, 0x80
	v_and_or_b32 v4, v4, s8, v1
.LBB25_791:
	s_or_b64 exec, exec, s[10:11]
.LBB25_792:
	s_or_b64 exec, exec, s[6:7]
	global_store_byte v[2:3], v4, off
.LBB25_793:
	s_mov_b64 s[6:7], -1
.LBB25_794:
	s_mov_b64 s[8:9], 0
.LBB25_795:
	s_and_b64 vcc, exec, s[8:9]
	s_cbranch_vccz .LBB25_835
; %bb.796:
	v_mov_b32_e32 v1, 22
	v_cmp_gt_i16_sdwa s[8:9], s12, v1 src0_sel:BYTE_0 src1_sel:DWORD
	s_mov_b64 s[4:5], -1
	s_and_b64 vcc, exec, s[8:9]
	s_cbranch_vccz .LBB25_828
; %bb.797:
	v_mov_b32_e32 v1, 24
	v_cmp_lt_i16_sdwa s[6:7], s12, v1 src0_sel:BYTE_0 src1_sel:DWORD
	s_and_b64 vcc, exec, s[6:7]
	s_cbranch_vccnz .LBB25_817
; %bb.798:
	v_cmp_gt_i16_sdwa s[6:7], s12, v1 src0_sel:BYTE_0 src1_sel:DWORD
	s_and_b64 vcc, exec, s[6:7]
	s_cbranch_vccz .LBB25_806
; %bb.799:
	v_and_b32_e32 v1, 0x7fffffff, v24
	s_mov_b32 s4, 0x47800000
	v_cmp_gt_u32_e32 vcc, s4, v1
	v_mov_b32_e32 v4, 0x80
	s_and_saveexec_b64 s[4:5], vcc
	s_cbranch_execz .LBB25_805
; %bb.800:
	s_mov_b32 s6, 0x37ffffff
	v_cmp_lt_u32_e32 vcc, s6, v1
	s_mov_b64 s[6:7], 0
                                        ; implicit-def: $vgpr1
	s_and_saveexec_b64 s[8:9], vcc
	s_xor_b64 s[8:9], exec, s[8:9]
	s_cbranch_execz .LBB25_968
; %bb.801:
	v_bfe_u32 v1, v24, 21, 1
	s_mov_b32 s10, 0x88fffff
	v_add3_u32 v1, v24, v1, s10
	s_mov_b64 s[6:7], exec
	v_lshrrev_b32_e32 v1, 21, v1
	s_or_saveexec_b64 s[8:9], s[8:9]
                                        ; implicit-def: $sgpr10
	s_xor_b64 exec, exec, s[8:9]
	s_cbranch_execnz .LBB25_969
.LBB25_802:
	s_or_b64 exec, exec, s[8:9]
	v_mov_b32_e32 v4, s10
	s_and_saveexec_b64 s[8:9], s[6:7]
.LBB25_803:
	v_lshrrev_b32_e32 v4, 24, v24
	s_movk_i32 s6, 0x80
	v_and_or_b32 v4, v4, s6, v1
.LBB25_804:
	s_or_b64 exec, exec, s[8:9]
.LBB25_805:
	s_or_b64 exec, exec, s[4:5]
	s_mov_b64 s[4:5], 0
	global_store_byte v[2:3], v4, off
.LBB25_806:
	s_and_b64 vcc, exec, s[4:5]
	s_cbranch_vccz .LBB25_816
; %bb.807:
	v_and_b32_e32 v4, 0x7fffffff, v24
	s_mov_b32 s4, 0x43f00000
	v_cmp_gt_u32_e32 vcc, s4, v4
                                        ; implicit-def: $vgpr1
	s_and_saveexec_b64 s[4:5], vcc
	s_xor_b64 s[4:5], exec, s[4:5]
	s_cbranch_execz .LBB25_813
; %bb.808:
	s_mov_b32 s6, 0x3c7fffff
	v_cmp_lt_u32_e32 vcc, s6, v4
                                        ; implicit-def: $vgpr1
	s_and_saveexec_b64 s[6:7], vcc
	s_xor_b64 s[6:7], exec, s[6:7]
; %bb.809:
	v_bfe_u32 v1, v24, 20, 1
	s_mov_b32 s8, 0x407ffff
	v_add3_u32 v1, v24, v1, s8
	v_lshrrev_b32_e32 v4, 20, v1
	v_and_b32_e32 v1, 0xff00000, v1
	s_mov_b32 s8, 0x7f00000
	v_mov_b32_e32 v5, 0x7e
	v_cmp_ne_u32_e32 vcc, s8, v1
	s_nop 1
	v_cndmask_b32_e32 v1, v5, v4, vcc
; %bb.810:
	s_andn2_saveexec_b64 s[6:7], s[6:7]
; %bb.811:
	s_mov_b32 s8, 0x46800000
	v_add_f32_e64 v1, |v24|, s8
; %bb.812:
	s_or_b64 exec, exec, s[6:7]
                                        ; implicit-def: $vgpr4
.LBB25_813:
	s_andn2_saveexec_b64 s[4:5], s[4:5]
; %bb.814:
	s_mov_b32 s6, 0x7f800000
	v_mov_b32_e32 v1, 0x7e
	v_mov_b32_e32 v5, 0x7f
	v_cmp_lt_u32_e32 vcc, s6, v4
	s_nop 1
	v_cndmask_b32_e32 v1, v1, v5, vcc
; %bb.815:
	s_or_b64 exec, exec, s[4:5]
	v_lshrrev_b32_e32 v4, 24, v24
	s_movk_i32 s4, 0x80
	v_and_or_b32 v1, v4, s4, v1
	global_store_byte v[2:3], v1, off
.LBB25_816:
	s_mov_b64 s[4:5], 0
.LBB25_817:
	s_andn2_b64 vcc, exec, s[4:5]
	s_cbranch_vccnz .LBB25_827
; %bb.818:
	v_and_b32_e32 v4, 0x7fffffff, v24
	s_mov_b32 s4, 0x47800000
	v_cmp_gt_u32_e32 vcc, s4, v4
                                        ; implicit-def: $vgpr1
	s_and_saveexec_b64 s[4:5], vcc
	s_xor_b64 s[4:5], exec, s[4:5]
	s_cbranch_execz .LBB25_824
; %bb.819:
	s_mov_b32 s6, 0x387fffff
	v_cmp_lt_u32_e32 vcc, s6, v4
                                        ; implicit-def: $vgpr1
	s_and_saveexec_b64 s[6:7], vcc
	s_xor_b64 s[6:7], exec, s[6:7]
; %bb.820:
	v_bfe_u32 v1, v24, 21, 1
	s_mov_b32 s8, 0x80fffff
	v_add3_u32 v1, v24, v1, s8
	v_lshrrev_b32_e32 v1, 21, v1
; %bb.821:
	s_andn2_saveexec_b64 s[6:7], s[6:7]
; %bb.822:
	s_mov_b32 s8, 0x43000000
	v_add_f32_e64 v1, |v24|, s8
; %bb.823:
	s_or_b64 exec, exec, s[6:7]
                                        ; implicit-def: $vgpr4
.LBB25_824:
	s_andn2_saveexec_b64 s[4:5], s[4:5]
; %bb.825:
	s_mov_b32 s6, 0x7f800000
	v_mov_b32_e32 v1, 0x7c
	v_mov_b32_e32 v5, 0x7f
	v_cmp_lt_u32_e32 vcc, s6, v4
	s_nop 1
	v_cndmask_b32_e32 v1, v1, v5, vcc
; %bb.826:
	s_or_b64 exec, exec, s[4:5]
	v_lshrrev_b32_e32 v4, 24, v24
	s_movk_i32 s4, 0x80
	v_and_or_b32 v1, v4, s4, v1
	global_store_byte v[2:3], v1, off
.LBB25_827:
	s_mov_b64 s[4:5], 0
	s_mov_b64 s[6:7], -1
.LBB25_828:
	s_andn2_b64 vcc, exec, s[4:5]
	s_mov_b64 s[4:5], 0
	s_cbranch_vccnz .LBB25_835
; %bb.829:
	v_mov_b32_e32 v1, 14
	v_cmp_gt_i16_sdwa s[4:5], s12, v1 src0_sel:BYTE_0 src1_sel:DWORD
	s_mov_b64 s[8:9], -1
	s_and_b64 vcc, exec, s[4:5]
	s_cbranch_vccz .LBB25_833
; %bb.830:
	v_mov_b32_e32 v1, 15
	v_cmp_eq_u16_sdwa s[4:5], s12, v1 src0_sel:BYTE_0 src1_sel:DWORD
	s_mov_b64 s[0:1], -1
	s_and_b64 vcc, exec, s[4:5]
	s_cbranch_vccz .LBB25_832
; %bb.831:
	v_bfe_u32 v1, v24, 16, 1
	s_movk_i32 s0, 0x7fff
	v_add3_u32 v1, v24, v1, s0
	v_lshrrev_b32_e32 v1, 16, v1
	v_mov_b32_e32 v4, 0x7fc0
	v_cmp_o_f32_e32 vcc, v24, v24
	s_mov_b64 s[0:1], 0
	s_mov_b64 s[6:7], -1
	v_cndmask_b32_e32 v1, v4, v1, vcc
	global_store_short v[2:3], v1, off
.LBB25_832:
	s_mov_b64 s[8:9], 0
.LBB25_833:
	s_mov_b64 s[4:5], 0
	s_and_b64 vcc, exec, s[8:9]
	s_cbranch_vccz .LBB25_835
; %bb.834:
	v_mov_b32_e32 v1, 11
	v_cmp_ne_u16_sdwa s[0:1], s12, v1 src0_sel:BYTE_0 src1_sel:DWORD
	s_mov_b64 s[4:5], -1
.LBB25_835:
	s_and_b64 vcc, exec, s[0:1]
	s_cbranch_vccnz .LBB25_967
; %bb.836:
	s_andn2_b64 vcc, exec, s[4:5]
	s_cbranch_vccnz .LBB25_838
.LBB25_837:
	v_cmp_neq_f32_e32 vcc, 0, v24
	s_mov_b64 s[6:7], -1
	s_nop 0
	v_cndmask_b32_e64 v1, 0, 1, vcc
	global_store_byte v[2:3], v1, off
.LBB25_838:
	s_branch .LBB25_759
.LBB25_839:
	v_mov_b32_e32 v1, 5
	v_cmp_lt_i16_sdwa s[4:5], s12, v1 src0_sel:BYTE_0 src1_sel:DWORD
	s_mov_b64 s[0:1], -1
	s_and_b64 vcc, exec, s[4:5]
	s_cbranch_vccnz .LBB25_860
; %bb.840:
	v_mov_b32_e32 v1, 8
	v_cmp_lt_i16_sdwa s[4:5], s12, v1 src0_sel:BYTE_0 src1_sel:DWORD
	s_and_b64 vcc, exec, s[4:5]
	s_cbranch_vccnz .LBB25_850
; %bb.841:
	v_mov_b32_e32 v1, 9
	v_cmp_lt_i16_sdwa s[4:5], s12, v1 src0_sel:BYTE_0 src1_sel:DWORD
	s_and_b64 vcc, exec, s[4:5]
	s_cbranch_vccnz .LBB25_847
; %bb.842:
	v_cmp_gt_i16_sdwa s[4:5], s12, v1 src0_sel:BYTE_0 src1_sel:DWORD
	s_and_b64 vcc, exec, s[4:5]
	s_cbranch_vccz .LBB25_844
; %bb.843:
	v_mov_b32_e32 v6, 0
	v_cvt_f64_f32_e32 v[4:5], v24
	v_mov_b32_e32 v7, v6
	global_store_dwordx4 v[2:3], v[4:7], off
	s_mov_b64 s[0:1], 0
.LBB25_844:
	s_andn2_b64 vcc, exec, s[0:1]
	s_cbranch_vccnz .LBB25_846
; %bb.845:
	v_mov_b32_e32 v25, 0
	global_store_dwordx2 v[2:3], v[24:25], off
.LBB25_846:
	s_mov_b64 s[0:1], 0
.LBB25_847:
	s_andn2_b64 vcc, exec, s[0:1]
	s_cbranch_vccnz .LBB25_849
; %bb.848:
	v_cvt_f16_f32_e32 v1, v24
	global_store_dword v[2:3], v1, off
.LBB25_849:
	s_mov_b64 s[0:1], 0
.LBB25_850:
	s_andn2_b64 vcc, exec, s[0:1]
	s_cbranch_vccnz .LBB25_859
; %bb.851:
	v_mov_b32_e32 v1, 6
	v_cmp_lt_i16_sdwa s[4:5], s12, v1 src0_sel:BYTE_0 src1_sel:DWORD
	s_mov_b64 s[0:1], -1
	s_and_b64 vcc, exec, s[4:5]
	s_cbranch_vccnz .LBB25_857
; %bb.852:
	v_cmp_gt_i16_sdwa s[4:5], s12, v1 src0_sel:BYTE_0 src1_sel:DWORD
	s_and_b64 vcc, exec, s[4:5]
	s_cbranch_vccz .LBB25_854
; %bb.853:
	v_cvt_f64_f32_e32 v[4:5], v24
	global_store_dwordx2 v[2:3], v[4:5], off
	s_mov_b64 s[0:1], 0
.LBB25_854:
	s_andn2_b64 vcc, exec, s[0:1]
	s_cbranch_vccnz .LBB25_856
; %bb.855:
	global_store_dword v[2:3], v24, off
.LBB25_856:
	s_mov_b64 s[0:1], 0
.LBB25_857:
	s_andn2_b64 vcc, exec, s[0:1]
	s_cbranch_vccnz .LBB25_859
; %bb.858:
	v_cvt_f16_f32_e32 v1, v24
	global_store_short v[2:3], v1, off
.LBB25_859:
	s_mov_b64 s[0:1], 0
.LBB25_860:
	s_andn2_b64 vcc, exec, s[0:1]
	s_cbranch_vccnz .LBB25_876
; %bb.861:
	v_mov_b32_e32 v1, 2
	v_cmp_lt_i16_sdwa s[4:5], s12, v1 src0_sel:BYTE_0 src1_sel:DWORD
	s_mov_b64 s[0:1], -1
	s_and_b64 vcc, exec, s[4:5]
	s_cbranch_vccnz .LBB25_871
; %bb.862:
	v_mov_b32_e32 v1, 3
	v_cmp_lt_i16_sdwa s[4:5], s12, v1 src0_sel:BYTE_0 src1_sel:DWORD
	s_and_b64 vcc, exec, s[4:5]
	s_cbranch_vccnz .LBB25_868
; %bb.863:
	v_cmp_gt_i16_sdwa s[4:5], s12, v1 src0_sel:BYTE_0 src1_sel:DWORD
	s_and_b64 vcc, exec, s[4:5]
	s_cbranch_vccz .LBB25_865
; %bb.864:
	v_trunc_f32_e32 v1, v24
	s_mov_b32 s0, 0x2f800000
	v_mul_f32_e64 v4, |v1|, s0
	v_floor_f32_e32 v4, v4
	s_mov_b32 s0, 0xcf800000
	v_cvt_u32_f32_e32 v5, v4
	v_fma_f32 v4, v4, s0, |v1|
	v_cvt_u32_f32_e32 v4, v4
	v_ashrrev_i32_e32 v1, 31, v1
	v_xor_b32_e32 v5, v5, v1
	s_mov_b64 s[0:1], 0
	v_xor_b32_e32 v4, v4, v1
	v_sub_co_u32_e32 v4, vcc, v4, v1
	s_nop 1
	v_subb_co_u32_e32 v5, vcc, v5, v1, vcc
	global_store_dwordx2 v[2:3], v[4:5], off
.LBB25_865:
	s_andn2_b64 vcc, exec, s[0:1]
	s_cbranch_vccnz .LBB25_867
; %bb.866:
	v_cvt_i32_f32_e32 v1, v24
	global_store_dword v[2:3], v1, off
.LBB25_867:
	s_mov_b64 s[0:1], 0
.LBB25_868:
	s_andn2_b64 vcc, exec, s[0:1]
	s_cbranch_vccnz .LBB25_870
; %bb.869:
	v_cvt_i32_f32_e32 v1, v24
	global_store_short v[2:3], v1, off
.LBB25_870:
	s_mov_b64 s[0:1], 0
.LBB25_871:
	s_andn2_b64 vcc, exec, s[0:1]
	s_cbranch_vccnz .LBB25_876
; %bb.872:
	v_mov_b32_e32 v1, 0
	v_cmp_gt_i16_sdwa s[4:5], s12, v1 src0_sel:BYTE_0 src1_sel:DWORD
	s_mov_b64 s[0:1], -1
	s_and_b64 vcc, exec, s[4:5]
	s_cbranch_vccz .LBB25_874
; %bb.873:
	v_cvt_i32_f32_e32 v1, v24
	s_mov_b64 s[0:1], 0
	global_store_byte v[2:3], v1, off
.LBB25_874:
	s_andn2_b64 vcc, exec, s[0:1]
	s_cbranch_vccnz .LBB25_876
; %bb.875:
	v_trunc_f32_e32 v1, v24
	s_mov_b32 s0, 0x2f800000
	v_mul_f32_e64 v4, |v1|, s0
	v_floor_f32_e32 v4, v4
	s_mov_b32 s0, 0xcf800000
	v_fma_f32 v4, v4, s0, |v1|
	v_cvt_u32_f32_e32 v4, v4
	v_ashrrev_i32_e32 v1, 31, v1
	v_xor_b32_e32 v4, v4, v1
	v_sub_u32_e32 v1, v4, v1
	global_store_byte v[2:3], v1, off
.LBB25_876:
.LBB25_877:
	v_mov_b32_e32 v1, 11
	v_mov_b32_e32 v35, 0
	v_cmp_lt_i16_sdwa s[0:1], s12, v1 src0_sel:BYTE_0 src1_sel:DWORD
	v_lshl_add_u64 v[2:3], s[36:37], 0, v[34:35]
	s_and_b64 vcc, exec, s[0:1]
	s_cbranch_vccnz .LBB25_884
; %bb.878:
	v_mov_b32_e32 v1, 25
	v_cmp_gt_i16_sdwa s[0:1], s12, v1 src0_sel:BYTE_0 src1_sel:DWORD
	s_mov_b64 s[8:9], -1
	s_mov_b64 s[4:5], 0
	s_and_b64 vcc, exec, s[0:1]
	s_mov_b64 s[6:7], 0
	s_mov_b64 s[0:1], 0
	s_cbranch_vccz .LBB25_998
; %bb.879:
	v_mov_b32_e32 v1, 28
	v_cmp_gt_i16_sdwa s[0:1], s12, v1 src0_sel:BYTE_0 src1_sel:DWORD
	s_and_b64 vcc, exec, s[0:1]
	s_cbranch_vccz .LBB25_963
; %bb.880:
	v_mov_b32_e32 v1, 43
	v_cmp_gt_i16_sdwa s[0:1], s12, v1 src0_sel:BYTE_0 src1_sel:DWORD
	s_and_b64 vcc, exec, s[0:1]
	;; [unrolled: 5-line block ×3, first 2 shown]
	s_cbranch_vccz .LBB25_970
; %bb.882:
	v_mov_b32_e32 v1, 46
	v_cmp_eq_u16_sdwa s[6:7], s12, v1 src0_sel:BYTE_0 src1_sel:DWORD
	s_mov_b64 s[0:1], -1
	s_mov_b64 s[8:9], 0
	s_and_b64 vcc, exec, s[6:7]
	s_mov_b64 s[6:7], 0
	s_cbranch_vccz .LBB25_971
; %bb.883:
	v_bfe_u32 v1, v22, 16, 1
	s_movk_i32 s0, 0x7fff
	v_add3_u32 v1, v22, v1, s0
	v_lshrrev_b32_e32 v1, 16, v1
	v_mov_b32_e32 v4, 0x7fc0
	v_cmp_o_f32_e32 vcc, v22, v22
	s_mov_b64 s[0:1], 0
	s_mov_b64 s[6:7], -1
	v_cndmask_b32_e32 v1, v4, v1, vcc
	global_store_dword v[2:3], v1, off
	s_branch .LBB25_971
.LBB25_884:
	s_mov_b64 s[6:7], 0
	s_cbranch_execnz .LBB25_1042
.LBB25_885:
	s_andn2_b64 vcc, exec, s[6:7]
	s_cbranch_vccnz .LBB25_1080
.LBB25_886:
	v_mov_b32_e32 v1, 0xff
	v_and_b32_e32 v4, s12, v1
	v_mov_b32_e32 v33, 0
	v_cmp_gt_i16_e32 vcc, 11, v4
	v_lshl_add_u64 v[2:3], s[36:37], 0, v[32:33]
	s_cbranch_vccnz .LBB25_962
; %bb.887:
	v_cmp_lt_i16_e32 vcc, 25, v4
	s_mov_b64 s[6:7], -1
	s_mov_b64 s[4:5], 0
	s_mov_b64 s[0:1], 0
	s_cbranch_vccz .LBB25_920
; %bb.888:
	v_cmp_lt_i16_e32 vcc, 28, v4
	s_cbranch_vccz .LBB25_904
; %bb.889:
	v_cmp_lt_i16_e32 vcc, 43, v4
	;; [unrolled: 3-line block ×3, first 2 shown]
	s_cbranch_vccz .LBB25_894
; %bb.891:
	v_cmp_eq_u16_e32 vcc, 46, v4
	s_mov_b64 s[0:1], -1
	s_cbranch_vccz .LBB25_893
; %bb.892:
	v_bfe_u32 v1, v0, 16, 1
	s_movk_i32 s0, 0x7fff
	v_add3_u32 v1, v0, v1, s0
	v_lshrrev_b32_e32 v1, 16, v1
	v_mov_b32_e32 v5, 0x7fc0
	v_cmp_o_f32_e32 vcc, v0, v0
	s_mov_b64 s[0:1], 0
	s_nop 0
	v_cndmask_b32_e32 v1, v5, v1, vcc
	global_store_dword v[2:3], v1, off
.LBB25_893:
	s_mov_b64 s[6:7], 0
.LBB25_894:
	s_and_b64 vcc, exec, s[6:7]
	s_cbranch_vccz .LBB25_899
; %bb.895:
	v_cmp_eq_u16_e32 vcc, 44, v4
	s_mov_b64 s[0:1], -1
	s_cbranch_vccz .LBB25_899
; %bb.896:
	v_bfe_u32 v1, v0, 23, 8
	s_movk_i32 s0, 0xff
	v_cmp_ne_u32_e32 vcc, s0, v1
	v_mov_b32_e32 v5, 0xff
	s_and_saveexec_b64 s[6:7], vcc
; %bb.897:
	s_mov_b32 s0, 0x3fffff
	v_and_b32_e32 v6, 0x400000, v0
	v_and_or_b32 v1, v0, s0, v1
	v_cmp_ne_u32_e32 vcc, 0, v6
	v_cmp_ne_u32_e64 s[0:1], 0, v1
	s_and_b64 s[0:1], vcc, s[0:1]
	v_lshrrev_b32_e32 v5, 23, v0
	v_cndmask_b32_e64 v1, 0, 1, s[0:1]
	v_add_u32_e32 v5, v5, v1
; %bb.898:
	s_or_b64 exec, exec, s[6:7]
	s_mov_b64 s[0:1], 0
	global_store_byte v[2:3], v5, off
.LBB25_899:
	s_mov_b64 s[6:7], 0
.LBB25_900:
	s_and_b64 vcc, exec, s[6:7]
	s_cbranch_vccz .LBB25_903
; %bb.901:
	v_cmp_eq_u16_e32 vcc, 29, v4
	s_mov_b64 s[0:1], -1
	s_cbranch_vccz .LBB25_903
; %bb.902:
	v_trunc_f32_e32 v1, v0
	v_mul_f32_e32 v5, 0x2f800000, v1
	v_floor_f32_e32 v5, v5
	v_fmamk_f32 v1, v5, 0xcf800000, v1
	v_cvt_u32_f32_e32 v7, v5
	v_cvt_u32_f32_e32 v6, v1
	s_mov_b64 s[0:1], 0
	global_store_dwordx2 v[2:3], v[6:7], off
.LBB25_903:
	s_mov_b64 s[6:7], 0
.LBB25_904:
	s_and_b64 vcc, exec, s[6:7]
	s_cbranch_vccz .LBB25_919
; %bb.905:
	v_cmp_gt_i16_e32 vcc, 27, v4
	s_mov_b64 s[6:7], -1
	s_cbranch_vccnz .LBB25_911
; %bb.906:
	v_cvt_u32_f32_e32 v1, v0
	v_cmp_lt_i16_e32 vcc, 27, v4
	s_cbranch_vccz .LBB25_908
; %bb.907:
	global_store_dword v[2:3], v1, off
	s_mov_b64 s[6:7], 0
.LBB25_908:
	s_andn2_b64 vcc, exec, s[6:7]
	s_cbranch_vccnz .LBB25_910
; %bb.909:
	global_store_short v[2:3], v1, off
.LBB25_910:
	s_mov_b64 s[6:7], 0
.LBB25_911:
	s_andn2_b64 vcc, exec, s[6:7]
	s_cbranch_vccnz .LBB25_919
; %bb.912:
	v_and_b32_e32 v1, 0x7fffffff, v0
	s_mov_b32 s6, 0x43800000
	v_cmp_gt_u32_e32 vcc, s6, v1
	v_mov_b32_e32 v5, 0x80
	s_and_saveexec_b64 s[6:7], vcc
	s_cbranch_execz .LBB25_918
; %bb.913:
	s_mov_b32 s8, 0x3bffffff
	v_cmp_lt_u32_e32 vcc, s8, v1
	s_mov_b64 s[8:9], 0
                                        ; implicit-def: $vgpr1
	s_and_saveexec_b64 s[10:11], vcc
	s_xor_b64 s[10:11], exec, s[10:11]
	s_cbranch_execz .LBB25_1128
; %bb.914:
	v_bfe_u32 v1, v0, 20, 1
	s_mov_b32 s12, 0x487ffff
	v_add3_u32 v1, v0, v1, s12
	s_mov_b64 s[8:9], exec
	v_lshrrev_b32_e32 v1, 20, v1
	s_or_saveexec_b64 s[10:11], s[10:11]
                                        ; implicit-def: $sgpr12
	s_xor_b64 exec, exec, s[10:11]
	s_cbranch_execnz .LBB25_1129
.LBB25_915:
	s_or_b64 exec, exec, s[10:11]
	v_mov_b32_e32 v5, s12
	s_and_saveexec_b64 s[10:11], s[8:9]
.LBB25_916:
	v_lshrrev_b32_e32 v5, 24, v0
	s_movk_i32 s8, 0x80
	v_and_or_b32 v5, v5, s8, v1
.LBB25_917:
	s_or_b64 exec, exec, s[10:11]
.LBB25_918:
	s_or_b64 exec, exec, s[6:7]
	global_store_byte v[2:3], v5, off
.LBB25_919:
	s_mov_b64 s[6:7], 0
.LBB25_920:
	s_and_b64 vcc, exec, s[6:7]
	s_cbranch_vccz .LBB25_960
; %bb.921:
	v_cmp_lt_i16_e32 vcc, 22, v4
	s_mov_b64 s[4:5], -1
	s_cbranch_vccz .LBB25_953
; %bb.922:
	v_cmp_gt_i16_e32 vcc, 24, v4
	s_cbranch_vccnz .LBB25_942
; %bb.923:
	v_cmp_lt_i16_e32 vcc, 24, v4
	s_cbranch_vccz .LBB25_931
; %bb.924:
	v_and_b32_e32 v1, 0x7fffffff, v0
	s_mov_b32 s4, 0x47800000
	v_cmp_gt_u32_e32 vcc, s4, v1
	v_mov_b32_e32 v5, 0x80
	s_and_saveexec_b64 s[4:5], vcc
	s_cbranch_execz .LBB25_930
; %bb.925:
	s_mov_b32 s6, 0x37ffffff
	v_cmp_lt_u32_e32 vcc, s6, v1
	s_mov_b64 s[6:7], 0
                                        ; implicit-def: $vgpr1
	s_and_saveexec_b64 s[8:9], vcc
	s_xor_b64 s[8:9], exec, s[8:9]
	s_cbranch_execz .LBB25_1135
; %bb.926:
	v_bfe_u32 v1, v0, 21, 1
	s_mov_b32 s10, 0x88fffff
	v_add3_u32 v1, v0, v1, s10
	s_mov_b64 s[6:7], exec
	v_lshrrev_b32_e32 v1, 21, v1
	s_or_saveexec_b64 s[8:9], s[8:9]
                                        ; implicit-def: $sgpr10
	s_xor_b64 exec, exec, s[8:9]
	s_cbranch_execnz .LBB25_1136
.LBB25_927:
	s_or_b64 exec, exec, s[8:9]
	v_mov_b32_e32 v5, s10
	s_and_saveexec_b64 s[8:9], s[6:7]
.LBB25_928:
	v_lshrrev_b32_e32 v5, 24, v0
	s_movk_i32 s6, 0x80
	v_and_or_b32 v5, v5, s6, v1
.LBB25_929:
	s_or_b64 exec, exec, s[8:9]
.LBB25_930:
	s_or_b64 exec, exec, s[4:5]
	s_mov_b64 s[4:5], 0
	global_store_byte v[2:3], v5, off
.LBB25_931:
	s_and_b64 vcc, exec, s[4:5]
	s_cbranch_vccz .LBB25_941
; %bb.932:
	v_and_b32_e32 v5, 0x7fffffff, v0
	s_mov_b32 s4, 0x43f00000
	v_cmp_gt_u32_e32 vcc, s4, v5
                                        ; implicit-def: $vgpr1
	s_and_saveexec_b64 s[4:5], vcc
	s_xor_b64 s[4:5], exec, s[4:5]
	s_cbranch_execz .LBB25_938
; %bb.933:
	s_mov_b32 s6, 0x3c7fffff
	v_cmp_lt_u32_e32 vcc, s6, v5
                                        ; implicit-def: $vgpr1
	s_and_saveexec_b64 s[6:7], vcc
	s_xor_b64 s[6:7], exec, s[6:7]
; %bb.934:
	v_bfe_u32 v1, v0, 20, 1
	s_mov_b32 s8, 0x407ffff
	v_add3_u32 v1, v0, v1, s8
	v_lshrrev_b32_e32 v5, 20, v1
	v_and_b32_e32 v1, 0xff00000, v1
	s_mov_b32 s8, 0x7f00000
	v_mov_b32_e32 v6, 0x7e
	v_cmp_ne_u32_e32 vcc, s8, v1
	s_nop 1
	v_cndmask_b32_e32 v1, v6, v5, vcc
; %bb.935:
	s_andn2_saveexec_b64 s[6:7], s[6:7]
; %bb.936:
	s_mov_b32 s8, 0x46800000
	v_add_f32_e64 v1, |v0|, s8
; %bb.937:
	s_or_b64 exec, exec, s[6:7]
                                        ; implicit-def: $vgpr5
.LBB25_938:
	s_andn2_saveexec_b64 s[4:5], s[4:5]
; %bb.939:
	s_mov_b32 s6, 0x7f800000
	v_mov_b32_e32 v1, 0x7e
	v_mov_b32_e32 v6, 0x7f
	v_cmp_lt_u32_e32 vcc, s6, v5
	s_nop 1
	v_cndmask_b32_e32 v1, v1, v6, vcc
; %bb.940:
	s_or_b64 exec, exec, s[4:5]
	v_lshrrev_b32_e32 v5, 24, v0
	s_movk_i32 s4, 0x80
	v_and_or_b32 v1, v5, s4, v1
	global_store_byte v[2:3], v1, off
.LBB25_941:
	s_mov_b64 s[4:5], 0
.LBB25_942:
	s_andn2_b64 vcc, exec, s[4:5]
	s_cbranch_vccnz .LBB25_952
; %bb.943:
	v_and_b32_e32 v5, 0x7fffffff, v0
	s_mov_b32 s4, 0x47800000
	v_cmp_gt_u32_e32 vcc, s4, v5
                                        ; implicit-def: $vgpr1
	s_and_saveexec_b64 s[4:5], vcc
	s_xor_b64 s[4:5], exec, s[4:5]
	s_cbranch_execz .LBB25_949
; %bb.944:
	s_mov_b32 s6, 0x387fffff
	v_cmp_lt_u32_e32 vcc, s6, v5
                                        ; implicit-def: $vgpr1
	s_and_saveexec_b64 s[6:7], vcc
	s_xor_b64 s[6:7], exec, s[6:7]
; %bb.945:
	v_bfe_u32 v1, v0, 21, 1
	s_mov_b32 s8, 0x80fffff
	v_add3_u32 v1, v0, v1, s8
	v_lshrrev_b32_e32 v1, 21, v1
; %bb.946:
	s_andn2_saveexec_b64 s[6:7], s[6:7]
; %bb.947:
	s_mov_b32 s8, 0x43000000
	v_add_f32_e64 v1, |v0|, s8
; %bb.948:
	s_or_b64 exec, exec, s[6:7]
                                        ; implicit-def: $vgpr5
.LBB25_949:
	s_andn2_saveexec_b64 s[4:5], s[4:5]
; %bb.950:
	s_mov_b32 s6, 0x7f800000
	v_mov_b32_e32 v1, 0x7c
	v_mov_b32_e32 v6, 0x7f
	v_cmp_lt_u32_e32 vcc, s6, v5
	s_nop 1
	v_cndmask_b32_e32 v1, v1, v6, vcc
; %bb.951:
	s_or_b64 exec, exec, s[4:5]
	v_lshrrev_b32_e32 v5, 24, v0
	s_movk_i32 s4, 0x80
	v_and_or_b32 v1, v5, s4, v1
	global_store_byte v[2:3], v1, off
.LBB25_952:
	s_mov_b64 s[4:5], 0
.LBB25_953:
	s_andn2_b64 vcc, exec, s[4:5]
	s_mov_b64 s[4:5], 0
	s_cbranch_vccnz .LBB25_960
; %bb.954:
	v_cmp_lt_i16_e32 vcc, 14, v4
	s_mov_b64 s[6:7], -1
	s_cbranch_vccz .LBB25_958
; %bb.955:
	v_cmp_eq_u16_e32 vcc, 15, v4
	s_mov_b64 s[0:1], -1
	s_cbranch_vccz .LBB25_957
; %bb.956:
	v_bfe_u32 v1, v0, 16, 1
	s_movk_i32 s0, 0x7fff
	v_add3_u32 v1, v0, v1, s0
	v_lshrrev_b32_e32 v1, 16, v1
	v_mov_b32_e32 v5, 0x7fc0
	v_cmp_o_f32_e32 vcc, v0, v0
	s_mov_b64 s[0:1], 0
	s_nop 0
	v_cndmask_b32_e32 v1, v5, v1, vcc
	global_store_short v[2:3], v1, off
.LBB25_957:
	s_mov_b64 s[6:7], 0
.LBB25_958:
	s_and_b64 vcc, exec, s[6:7]
	s_cbranch_vccz .LBB25_960
; %bb.959:
	v_cmp_ne_u16_e64 s[0:1], 11, v4
	s_mov_b64 s[4:5], -1
.LBB25_960:
	s_and_b64 vcc, exec, s[0:1]
	s_cbranch_vccnz .LBB25_1132
.LBB25_961:
	s_mov_b64 s[0:1], 0
	s_branch .LBB25_1081
.LBB25_962:
	s_mov_b64 s[4:5], 0
	s_mov_b64 s[0:1], -1
	s_branch .LBB25_1081
.LBB25_963:
	s_mov_b64 s[0:1], 0
	s_branch .LBB25_981
.LBB25_964:
	s_or_saveexec_b64 s[10:11], s[10:11]
                                        ; implicit-def: $sgpr13
	s_xor_b64 exec, exec, s[10:11]
	s_cbranch_execz .LBB25_789
.LBB25_965:
	s_mov_b32 s13, 0x46000000
	v_add_f32_e64 v1, |v24|, s13
	v_and_b32_e32 v1, 0xff, v1
	v_cmp_ne_u32_e32 vcc, 0, v1
	s_andn2_b64 s[8:9], s[8:9], exec
	s_and_b64 s[14:15], vcc, exec
	s_mov_b32 s13, 0
	s_or_b64 s[8:9], s[8:9], s[14:15]
	s_or_b64 exec, exec, s[10:11]
	v_mov_b32_e32 v4, s13
	s_and_saveexec_b64 s[10:11], s[8:9]
	s_cbranch_execnz .LBB25_790
	s_branch .LBB25_791
.LBB25_966:
	s_mov_b64 s[0:1], 0
	s_branch .LBB25_977
.LBB25_967:
	s_trap 2
	s_or_b64 s[2:3], s[2:3], exec
	s_cbranch_execz .LBB25_837
	s_branch .LBB25_838
.LBB25_968:
	s_or_saveexec_b64 s[8:9], s[8:9]
                                        ; implicit-def: $sgpr10
	s_xor_b64 exec, exec, s[8:9]
	s_cbranch_execz .LBB25_802
.LBB25_969:
	s_mov_b32 s10, 0x42800000
	v_add_f32_e64 v1, |v24|, s10
	v_and_b32_e32 v1, 0xff, v1
	v_cmp_ne_u32_e32 vcc, 0, v1
	s_andn2_b64 s[6:7], s[6:7], exec
	s_and_b64 s[14:15], vcc, exec
	s_mov_b32 s10, 0
	s_or_b64 s[6:7], s[6:7], s[14:15]
	s_or_b64 exec, exec, s[8:9]
	v_mov_b32_e32 v4, s10
	s_and_saveexec_b64 s[8:9], s[6:7]
	s_cbranch_execnz .LBB25_803
	s_branch .LBB25_804
.LBB25_970:
	s_mov_b64 s[0:1], 0
.LBB25_971:
	s_and_b64 vcc, exec, s[8:9]
	s_cbranch_vccz .LBB25_976
; %bb.972:
	v_mov_b32_e32 v1, 44
	v_cmp_eq_u16_sdwa s[8:9], s12, v1 src0_sel:BYTE_0 src1_sel:DWORD
	s_mov_b64 s[0:1], -1
	s_and_b64 vcc, exec, s[8:9]
	s_cbranch_vccz .LBB25_976
; %bb.973:
	v_bfe_u32 v1, v22, 23, 8
	s_movk_i32 s0, 0xff
	v_cmp_ne_u32_e32 vcc, s0, v1
	v_mov_b32_e32 v4, 0xff
	s_and_saveexec_b64 s[6:7], vcc
; %bb.974:
	s_mov_b32 s0, 0x3fffff
	v_and_b32_e32 v5, 0x400000, v22
	v_and_or_b32 v1, v22, s0, v1
	v_cmp_ne_u32_e32 vcc, 0, v5
	v_cmp_ne_u32_e64 s[0:1], 0, v1
	s_and_b64 s[0:1], vcc, s[0:1]
	v_lshrrev_b32_e32 v4, 23, v22
	v_cndmask_b32_e64 v1, 0, 1, s[0:1]
	v_add_u32_e32 v4, v4, v1
; %bb.975:
	s_or_b64 exec, exec, s[6:7]
	s_mov_b64 s[0:1], 0
	s_mov_b64 s[6:7], -1
	global_store_byte v[2:3], v4, off
.LBB25_976:
	s_mov_b64 s[8:9], 0
.LBB25_977:
	s_and_b64 vcc, exec, s[8:9]
	s_cbranch_vccz .LBB25_980
; %bb.978:
	v_mov_b32_e32 v1, 29
	v_cmp_eq_u16_sdwa s[8:9], s12, v1 src0_sel:BYTE_0 src1_sel:DWORD
	s_mov_b64 s[0:1], -1
	s_and_b64 vcc, exec, s[8:9]
	s_cbranch_vccz .LBB25_980
; %bb.979:
	v_trunc_f32_e32 v1, v22
	v_mul_f32_e32 v4, 0x2f800000, v1
	v_floor_f32_e32 v4, v4
	v_fmamk_f32 v1, v4, 0xcf800000, v1
	v_cvt_u32_f32_e32 v5, v4
	v_cvt_u32_f32_e32 v4, v1
	s_mov_b64 s[0:1], 0
	s_mov_b64 s[6:7], -1
	s_mov_b64 s[8:9], 0
	global_store_dwordx2 v[2:3], v[4:5], off
	s_branch .LBB25_981
.LBB25_980:
	s_mov_b64 s[8:9], 0
.LBB25_981:
	s_and_b64 vcc, exec, s[8:9]
	s_cbranch_vccz .LBB25_997
; %bb.982:
	v_mov_b32_e32 v1, 27
	v_cmp_lt_i16_sdwa s[8:9], s12, v1 src0_sel:BYTE_0 src1_sel:DWORD
	s_mov_b64 s[6:7], -1
	s_and_b64 vcc, exec, s[8:9]
	s_cbranch_vccnz .LBB25_988
; %bb.983:
	v_cmp_gt_i16_sdwa s[8:9], s12, v1 src0_sel:BYTE_0 src1_sel:DWORD
	v_cvt_u32_f32_e32 v1, v22
	s_and_b64 vcc, exec, s[8:9]
	s_cbranch_vccz .LBB25_985
; %bb.984:
	s_mov_b64 s[6:7], 0
	global_store_dword v[2:3], v1, off
.LBB25_985:
	s_andn2_b64 vcc, exec, s[6:7]
	s_cbranch_vccnz .LBB25_987
; %bb.986:
	global_store_short v[2:3], v1, off
.LBB25_987:
	s_mov_b64 s[6:7], 0
.LBB25_988:
	s_andn2_b64 vcc, exec, s[6:7]
	s_cbranch_vccnz .LBB25_996
; %bb.989:
	v_and_b32_e32 v1, 0x7fffffff, v22
	s_mov_b32 s6, 0x43800000
	v_cmp_gt_u32_e32 vcc, s6, v1
	v_mov_b32_e32 v4, 0x80
	s_and_saveexec_b64 s[6:7], vcc
	s_cbranch_execz .LBB25_995
; %bb.990:
	s_mov_b32 s8, 0x3bffffff
	v_cmp_lt_u32_e32 vcc, s8, v1
	s_mov_b64 s[8:9], 0
                                        ; implicit-def: $vgpr1
	s_and_saveexec_b64 s[10:11], vcc
	s_xor_b64 s[10:11], exec, s[10:11]
	s_cbranch_execz .LBB25_1125
; %bb.991:
	v_bfe_u32 v1, v22, 20, 1
	s_mov_b32 s13, 0x487ffff
	v_add3_u32 v1, v22, v1, s13
	s_mov_b64 s[8:9], exec
	v_lshrrev_b32_e32 v1, 20, v1
	s_or_saveexec_b64 s[10:11], s[10:11]
                                        ; implicit-def: $sgpr13
	s_xor_b64 exec, exec, s[10:11]
	s_cbranch_execnz .LBB25_1126
.LBB25_992:
	s_or_b64 exec, exec, s[10:11]
	v_mov_b32_e32 v4, s13
	s_and_saveexec_b64 s[10:11], s[8:9]
.LBB25_993:
	v_lshrrev_b32_e32 v4, 24, v22
	s_movk_i32 s8, 0x80
	v_and_or_b32 v4, v4, s8, v1
.LBB25_994:
	s_or_b64 exec, exec, s[10:11]
.LBB25_995:
	s_or_b64 exec, exec, s[6:7]
	global_store_byte v[2:3], v4, off
.LBB25_996:
	s_mov_b64 s[6:7], -1
.LBB25_997:
	s_mov_b64 s[8:9], 0
.LBB25_998:
	s_and_b64 vcc, exec, s[8:9]
	s_cbranch_vccz .LBB25_1038
; %bb.999:
	v_mov_b32_e32 v1, 22
	v_cmp_gt_i16_sdwa s[8:9], s12, v1 src0_sel:BYTE_0 src1_sel:DWORD
	s_mov_b64 s[4:5], -1
	s_and_b64 vcc, exec, s[8:9]
	s_cbranch_vccz .LBB25_1031
; %bb.1000:
	v_mov_b32_e32 v1, 24
	v_cmp_lt_i16_sdwa s[6:7], s12, v1 src0_sel:BYTE_0 src1_sel:DWORD
	s_and_b64 vcc, exec, s[6:7]
	s_cbranch_vccnz .LBB25_1020
; %bb.1001:
	v_cmp_gt_i16_sdwa s[6:7], s12, v1 src0_sel:BYTE_0 src1_sel:DWORD
	s_and_b64 vcc, exec, s[6:7]
	s_cbranch_vccz .LBB25_1009
; %bb.1002:
	v_and_b32_e32 v1, 0x7fffffff, v22
	s_mov_b32 s4, 0x47800000
	v_cmp_gt_u32_e32 vcc, s4, v1
	v_mov_b32_e32 v4, 0x80
	s_and_saveexec_b64 s[4:5], vcc
	s_cbranch_execz .LBB25_1008
; %bb.1003:
	s_mov_b32 s6, 0x37ffffff
	v_cmp_lt_u32_e32 vcc, s6, v1
	s_mov_b64 s[6:7], 0
                                        ; implicit-def: $vgpr1
	s_and_saveexec_b64 s[8:9], vcc
	s_xor_b64 s[8:9], exec, s[8:9]
	s_cbranch_execz .LBB25_1130
; %bb.1004:
	v_bfe_u32 v1, v22, 21, 1
	s_mov_b32 s10, 0x88fffff
	v_add3_u32 v1, v22, v1, s10
	s_mov_b64 s[6:7], exec
	v_lshrrev_b32_e32 v1, 21, v1
	s_or_saveexec_b64 s[8:9], s[8:9]
                                        ; implicit-def: $sgpr10
	s_xor_b64 exec, exec, s[8:9]
	s_cbranch_execnz .LBB25_1131
.LBB25_1005:
	s_or_b64 exec, exec, s[8:9]
	v_mov_b32_e32 v4, s10
	s_and_saveexec_b64 s[8:9], s[6:7]
.LBB25_1006:
	v_lshrrev_b32_e32 v4, 24, v22
	s_movk_i32 s6, 0x80
	v_and_or_b32 v4, v4, s6, v1
.LBB25_1007:
	s_or_b64 exec, exec, s[8:9]
.LBB25_1008:
	s_or_b64 exec, exec, s[4:5]
	s_mov_b64 s[4:5], 0
	global_store_byte v[2:3], v4, off
.LBB25_1009:
	s_and_b64 vcc, exec, s[4:5]
	s_cbranch_vccz .LBB25_1019
; %bb.1010:
	v_and_b32_e32 v4, 0x7fffffff, v22
	s_mov_b32 s4, 0x43f00000
	v_cmp_gt_u32_e32 vcc, s4, v4
                                        ; implicit-def: $vgpr1
	s_and_saveexec_b64 s[4:5], vcc
	s_xor_b64 s[4:5], exec, s[4:5]
	s_cbranch_execz .LBB25_1016
; %bb.1011:
	s_mov_b32 s6, 0x3c7fffff
	v_cmp_lt_u32_e32 vcc, s6, v4
                                        ; implicit-def: $vgpr1
	s_and_saveexec_b64 s[6:7], vcc
	s_xor_b64 s[6:7], exec, s[6:7]
; %bb.1012:
	v_bfe_u32 v1, v22, 20, 1
	s_mov_b32 s8, 0x407ffff
	v_add3_u32 v1, v22, v1, s8
	v_lshrrev_b32_e32 v4, 20, v1
	v_and_b32_e32 v1, 0xff00000, v1
	s_mov_b32 s8, 0x7f00000
	v_mov_b32_e32 v5, 0x7e
	v_cmp_ne_u32_e32 vcc, s8, v1
	s_nop 1
	v_cndmask_b32_e32 v1, v5, v4, vcc
; %bb.1013:
	s_andn2_saveexec_b64 s[6:7], s[6:7]
; %bb.1014:
	s_mov_b32 s8, 0x46800000
	v_add_f32_e64 v1, |v22|, s8
; %bb.1015:
	s_or_b64 exec, exec, s[6:7]
                                        ; implicit-def: $vgpr4
.LBB25_1016:
	s_andn2_saveexec_b64 s[4:5], s[4:5]
; %bb.1017:
	s_mov_b32 s6, 0x7f800000
	v_mov_b32_e32 v1, 0x7e
	v_mov_b32_e32 v5, 0x7f
	v_cmp_lt_u32_e32 vcc, s6, v4
	s_nop 1
	v_cndmask_b32_e32 v1, v1, v5, vcc
; %bb.1018:
	s_or_b64 exec, exec, s[4:5]
	v_lshrrev_b32_e32 v4, 24, v22
	s_movk_i32 s4, 0x80
	v_and_or_b32 v1, v4, s4, v1
	global_store_byte v[2:3], v1, off
.LBB25_1019:
	s_mov_b64 s[4:5], 0
.LBB25_1020:
	s_andn2_b64 vcc, exec, s[4:5]
	s_cbranch_vccnz .LBB25_1030
; %bb.1021:
	v_and_b32_e32 v4, 0x7fffffff, v22
	s_mov_b32 s4, 0x47800000
	v_cmp_gt_u32_e32 vcc, s4, v4
                                        ; implicit-def: $vgpr1
	s_and_saveexec_b64 s[4:5], vcc
	s_xor_b64 s[4:5], exec, s[4:5]
	s_cbranch_execz .LBB25_1027
; %bb.1022:
	s_mov_b32 s6, 0x387fffff
	v_cmp_lt_u32_e32 vcc, s6, v4
                                        ; implicit-def: $vgpr1
	s_and_saveexec_b64 s[6:7], vcc
	s_xor_b64 s[6:7], exec, s[6:7]
; %bb.1023:
	v_bfe_u32 v1, v22, 21, 1
	s_mov_b32 s8, 0x80fffff
	v_add3_u32 v1, v22, v1, s8
	v_lshrrev_b32_e32 v1, 21, v1
; %bb.1024:
	s_andn2_saveexec_b64 s[6:7], s[6:7]
; %bb.1025:
	s_mov_b32 s8, 0x43000000
	v_add_f32_e64 v1, |v22|, s8
; %bb.1026:
	s_or_b64 exec, exec, s[6:7]
                                        ; implicit-def: $vgpr4
.LBB25_1027:
	s_andn2_saveexec_b64 s[4:5], s[4:5]
; %bb.1028:
	s_mov_b32 s6, 0x7f800000
	v_mov_b32_e32 v1, 0x7c
	v_mov_b32_e32 v5, 0x7f
	v_cmp_lt_u32_e32 vcc, s6, v4
	s_nop 1
	v_cndmask_b32_e32 v1, v1, v5, vcc
; %bb.1029:
	s_or_b64 exec, exec, s[4:5]
	v_lshrrev_b32_e32 v4, 24, v22
	s_movk_i32 s4, 0x80
	v_and_or_b32 v1, v4, s4, v1
	global_store_byte v[2:3], v1, off
.LBB25_1030:
	s_mov_b64 s[4:5], 0
	s_mov_b64 s[6:7], -1
.LBB25_1031:
	s_andn2_b64 vcc, exec, s[4:5]
	s_mov_b64 s[4:5], 0
	s_cbranch_vccnz .LBB25_1038
; %bb.1032:
	v_mov_b32_e32 v1, 14
	v_cmp_gt_i16_sdwa s[4:5], s12, v1 src0_sel:BYTE_0 src1_sel:DWORD
	s_mov_b64 s[8:9], -1
	s_and_b64 vcc, exec, s[4:5]
	s_cbranch_vccz .LBB25_1036
; %bb.1033:
	v_mov_b32_e32 v1, 15
	v_cmp_eq_u16_sdwa s[4:5], s12, v1 src0_sel:BYTE_0 src1_sel:DWORD
	s_mov_b64 s[0:1], -1
	s_and_b64 vcc, exec, s[4:5]
	s_cbranch_vccz .LBB25_1035
; %bb.1034:
	v_bfe_u32 v1, v22, 16, 1
	s_movk_i32 s0, 0x7fff
	v_add3_u32 v1, v22, v1, s0
	v_lshrrev_b32_e32 v1, 16, v1
	v_mov_b32_e32 v4, 0x7fc0
	v_cmp_o_f32_e32 vcc, v22, v22
	s_mov_b64 s[0:1], 0
	s_mov_b64 s[6:7], -1
	v_cndmask_b32_e32 v1, v4, v1, vcc
	global_store_short v[2:3], v1, off
.LBB25_1035:
	s_mov_b64 s[8:9], 0
.LBB25_1036:
	s_mov_b64 s[4:5], 0
	s_and_b64 vcc, exec, s[8:9]
	s_cbranch_vccz .LBB25_1038
; %bb.1037:
	v_mov_b32_e32 v1, 11
	v_cmp_ne_u16_sdwa s[0:1], s12, v1 src0_sel:BYTE_0 src1_sel:DWORD
	s_mov_b64 s[4:5], -1
.LBB25_1038:
	s_and_b64 vcc, exec, s[0:1]
	s_cbranch_vccnz .LBB25_1127
; %bb.1039:
	s_andn2_b64 vcc, exec, s[4:5]
	s_cbranch_vccnz .LBB25_1041
.LBB25_1040:
	v_cmp_neq_f32_e32 vcc, 0, v22
	s_mov_b64 s[6:7], -1
	s_nop 0
	v_cndmask_b32_e64 v1, 0, 1, vcc
	global_store_byte v[2:3], v1, off
.LBB25_1041:
	s_branch .LBB25_885
.LBB25_1042:
	v_mov_b32_e32 v1, 5
	v_cmp_lt_i16_sdwa s[4:5], s12, v1 src0_sel:BYTE_0 src1_sel:DWORD
	s_mov_b64 s[0:1], -1
	s_and_b64 vcc, exec, s[4:5]
	s_cbranch_vccnz .LBB25_1063
; %bb.1043:
	v_mov_b32_e32 v1, 8
	v_cmp_lt_i16_sdwa s[4:5], s12, v1 src0_sel:BYTE_0 src1_sel:DWORD
	s_and_b64 vcc, exec, s[4:5]
	s_cbranch_vccnz .LBB25_1053
; %bb.1044:
	v_mov_b32_e32 v1, 9
	v_cmp_lt_i16_sdwa s[4:5], s12, v1 src0_sel:BYTE_0 src1_sel:DWORD
	s_and_b64 vcc, exec, s[4:5]
	s_cbranch_vccnz .LBB25_1050
; %bb.1045:
	v_cmp_gt_i16_sdwa s[4:5], s12, v1 src0_sel:BYTE_0 src1_sel:DWORD
	s_and_b64 vcc, exec, s[4:5]
	s_cbranch_vccz .LBB25_1047
; %bb.1046:
	v_mov_b32_e32 v6, 0
	v_cvt_f64_f32_e32 v[4:5], v22
	v_mov_b32_e32 v7, v6
	global_store_dwordx4 v[2:3], v[4:7], off
	s_mov_b64 s[0:1], 0
.LBB25_1047:
	s_andn2_b64 vcc, exec, s[0:1]
	s_cbranch_vccnz .LBB25_1049
; %bb.1048:
	v_mov_b32_e32 v23, 0
	global_store_dwordx2 v[2:3], v[22:23], off
.LBB25_1049:
	s_mov_b64 s[0:1], 0
.LBB25_1050:
	s_andn2_b64 vcc, exec, s[0:1]
	s_cbranch_vccnz .LBB25_1052
; %bb.1051:
	v_cvt_f16_f32_e32 v1, v22
	global_store_dword v[2:3], v1, off
.LBB25_1052:
	s_mov_b64 s[0:1], 0
.LBB25_1053:
	s_andn2_b64 vcc, exec, s[0:1]
	s_cbranch_vccnz .LBB25_1062
; %bb.1054:
	v_mov_b32_e32 v1, 6
	v_cmp_lt_i16_sdwa s[4:5], s12, v1 src0_sel:BYTE_0 src1_sel:DWORD
	s_mov_b64 s[0:1], -1
	s_and_b64 vcc, exec, s[4:5]
	s_cbranch_vccnz .LBB25_1060
; %bb.1055:
	v_cmp_gt_i16_sdwa s[4:5], s12, v1 src0_sel:BYTE_0 src1_sel:DWORD
	s_and_b64 vcc, exec, s[4:5]
	s_cbranch_vccz .LBB25_1057
; %bb.1056:
	v_cvt_f64_f32_e32 v[4:5], v22
	global_store_dwordx2 v[2:3], v[4:5], off
	s_mov_b64 s[0:1], 0
.LBB25_1057:
	s_andn2_b64 vcc, exec, s[0:1]
	s_cbranch_vccnz .LBB25_1059
; %bb.1058:
	global_store_dword v[2:3], v22, off
.LBB25_1059:
	s_mov_b64 s[0:1], 0
.LBB25_1060:
	s_andn2_b64 vcc, exec, s[0:1]
	s_cbranch_vccnz .LBB25_1062
; %bb.1061:
	v_cvt_f16_f32_e32 v1, v22
	global_store_short v[2:3], v1, off
.LBB25_1062:
	s_mov_b64 s[0:1], 0
.LBB25_1063:
	s_andn2_b64 vcc, exec, s[0:1]
	s_cbranch_vccnz .LBB25_1079
; %bb.1064:
	v_mov_b32_e32 v1, 2
	v_cmp_lt_i16_sdwa s[4:5], s12, v1 src0_sel:BYTE_0 src1_sel:DWORD
	s_mov_b64 s[0:1], -1
	s_and_b64 vcc, exec, s[4:5]
	s_cbranch_vccnz .LBB25_1074
; %bb.1065:
	v_mov_b32_e32 v1, 3
	v_cmp_lt_i16_sdwa s[4:5], s12, v1 src0_sel:BYTE_0 src1_sel:DWORD
	s_and_b64 vcc, exec, s[4:5]
	s_cbranch_vccnz .LBB25_1071
; %bb.1066:
	v_cmp_gt_i16_sdwa s[4:5], s12, v1 src0_sel:BYTE_0 src1_sel:DWORD
	s_and_b64 vcc, exec, s[4:5]
	s_cbranch_vccz .LBB25_1068
; %bb.1067:
	v_trunc_f32_e32 v1, v22
	s_mov_b32 s0, 0x2f800000
	v_mul_f32_e64 v4, |v1|, s0
	v_floor_f32_e32 v4, v4
	s_mov_b32 s0, 0xcf800000
	v_cvt_u32_f32_e32 v5, v4
	v_fma_f32 v4, v4, s0, |v1|
	v_cvt_u32_f32_e32 v4, v4
	v_ashrrev_i32_e32 v1, 31, v1
	v_xor_b32_e32 v5, v5, v1
	s_mov_b64 s[0:1], 0
	v_xor_b32_e32 v4, v4, v1
	v_sub_co_u32_e32 v4, vcc, v4, v1
	s_nop 1
	v_subb_co_u32_e32 v5, vcc, v5, v1, vcc
	global_store_dwordx2 v[2:3], v[4:5], off
.LBB25_1068:
	s_andn2_b64 vcc, exec, s[0:1]
	s_cbranch_vccnz .LBB25_1070
; %bb.1069:
	v_cvt_i32_f32_e32 v1, v22
	global_store_dword v[2:3], v1, off
.LBB25_1070:
	s_mov_b64 s[0:1], 0
.LBB25_1071:
	s_andn2_b64 vcc, exec, s[0:1]
	s_cbranch_vccnz .LBB25_1073
; %bb.1072:
	v_cvt_i32_f32_e32 v1, v22
	global_store_short v[2:3], v1, off
.LBB25_1073:
	s_mov_b64 s[0:1], 0
.LBB25_1074:
	s_andn2_b64 vcc, exec, s[0:1]
	s_cbranch_vccnz .LBB25_1079
; %bb.1075:
	v_mov_b32_e32 v1, 0
	v_cmp_gt_i16_sdwa s[4:5], s12, v1 src0_sel:BYTE_0 src1_sel:DWORD
	s_mov_b64 s[0:1], -1
	s_and_b64 vcc, exec, s[4:5]
	s_cbranch_vccz .LBB25_1077
; %bb.1076:
	v_cvt_i32_f32_e32 v1, v22
	s_mov_b64 s[0:1], 0
	global_store_byte v[2:3], v1, off
.LBB25_1077:
	s_andn2_b64 vcc, exec, s[0:1]
	s_cbranch_vccnz .LBB25_1079
; %bb.1078:
	v_trunc_f32_e32 v1, v22
	s_mov_b32 s0, 0x2f800000
	v_mul_f32_e64 v4, |v1|, s0
	v_floor_f32_e32 v4, v4
	s_mov_b32 s0, 0xcf800000
	v_fma_f32 v4, v4, s0, |v1|
	v_cvt_u32_f32_e32 v4, v4
	v_ashrrev_i32_e32 v1, 31, v1
	v_xor_b32_e32 v4, v4, v1
	v_sub_u32_e32 v1, v4, v1
	global_store_byte v[2:3], v1, off
.LBB25_1079:
	s_branch .LBB25_886
.LBB25_1080:
	s_mov_b64 s[0:1], 0
	s_mov_b64 s[4:5], 0
                                        ; implicit-def: $vgpr4
                                        ; implicit-def: $vgpr2_vgpr3
.LBB25_1081:
	s_and_b64 s[28:29], s[4:5], exec
	s_andn2_b64 s[4:5], s[40:41], exec
	s_and_b64 s[2:3], s[2:3], exec
	s_and_b64 s[0:1], s[0:1], exec
	s_or_b64 s[40:41], s[4:5], s[2:3]
.LBB25_1082:
	s_or_b64 exec, exec, s[42:43]
	s_and_saveexec_b64 s[2:3], s[40:41]
	s_cbranch_execz .LBB25_1085
; %bb.1083:
	; divergent unreachable
	s_or_b64 exec, exec, s[2:3]
	s_and_saveexec_b64 s[2:3], s[28:29]
	s_xor_b64 s[2:3], exec, s[2:3]
	s_cbranch_execnz .LBB25_1086
.LBB25_1084:
	s_or_b64 exec, exec, s[2:3]
	s_and_saveexec_b64 s[2:3], s[0:1]
	s_cbranch_execnz .LBB25_1087
	s_branch .LBB25_1124
.LBB25_1085:
	s_or_b64 exec, exec, s[2:3]
	s_and_saveexec_b64 s[2:3], s[28:29]
	s_xor_b64 s[2:3], exec, s[2:3]
	s_cbranch_execz .LBB25_1084
.LBB25_1086:
	v_cmp_neq_f32_e32 vcc, 0, v0
	s_nop 1
	v_cndmask_b32_e64 v1, 0, 1, vcc
	global_store_byte v[2:3], v1, off
	s_or_b64 exec, exec, s[2:3]
	s_and_saveexec_b64 s[2:3], s[0:1]
	s_cbranch_execz .LBB25_1124
.LBB25_1087:
	v_cmp_gt_i16_e32 vcc, 5, v4
	s_mov_b64 s[0:1], -1
	s_cbranch_vccnz .LBB25_1108
; %bb.1088:
	v_cmp_gt_i16_e32 vcc, 8, v4
	s_cbranch_vccnz .LBB25_1098
; %bb.1089:
	v_cmp_gt_i16_e32 vcc, 9, v4
	s_cbranch_vccnz .LBB25_1095
; %bb.1090:
	v_cmp_lt_i16_e32 vcc, 9, v4
	s_cbranch_vccz .LBB25_1092
; %bb.1091:
	v_mov_b32_e32 v8, 0
	v_cvt_f64_f32_e32 v[6:7], v0
	v_mov_b32_e32 v9, v8
	global_store_dwordx4 v[2:3], v[6:9], off
	s_mov_b64 s[0:1], 0
.LBB25_1092:
	s_andn2_b64 vcc, exec, s[0:1]
	s_cbranch_vccnz .LBB25_1094
; %bb.1093:
	v_mov_b32_e32 v1, 0
	global_store_dwordx2 v[2:3], v[0:1], off
.LBB25_1094:
	s_mov_b64 s[0:1], 0
.LBB25_1095:
	s_andn2_b64 vcc, exec, s[0:1]
	s_cbranch_vccnz .LBB25_1097
; %bb.1096:
	v_cvt_f16_f32_e32 v1, v0
	global_store_dword v[2:3], v1, off
.LBB25_1097:
	s_mov_b64 s[0:1], 0
.LBB25_1098:
	s_andn2_b64 vcc, exec, s[0:1]
	s_cbranch_vccnz .LBB25_1107
; %bb.1099:
	v_cmp_gt_i16_e32 vcc, 6, v4
	s_mov_b64 s[0:1], -1
	s_cbranch_vccnz .LBB25_1105
; %bb.1100:
	v_cmp_lt_i16_e32 vcc, 6, v4
	s_cbranch_vccz .LBB25_1102
; %bb.1101:
	v_cvt_f64_f32_e32 v[6:7], v0
	global_store_dwordx2 v[2:3], v[6:7], off
	s_mov_b64 s[0:1], 0
.LBB25_1102:
	s_andn2_b64 vcc, exec, s[0:1]
	s_cbranch_vccnz .LBB25_1104
; %bb.1103:
	global_store_dword v[2:3], v0, off
.LBB25_1104:
	s_mov_b64 s[0:1], 0
.LBB25_1105:
	s_andn2_b64 vcc, exec, s[0:1]
	s_cbranch_vccnz .LBB25_1107
; %bb.1106:
	v_cvt_f16_f32_e32 v1, v0
	global_store_short v[2:3], v1, off
.LBB25_1107:
	s_mov_b64 s[0:1], 0
.LBB25_1108:
	s_andn2_b64 vcc, exec, s[0:1]
	s_cbranch_vccnz .LBB25_1124
; %bb.1109:
	v_cmp_gt_i16_e32 vcc, 2, v4
	s_mov_b64 s[0:1], -1
	s_cbranch_vccnz .LBB25_1119
; %bb.1110:
	v_cmp_gt_i16_e32 vcc, 3, v4
	s_cbranch_vccnz .LBB25_1116
; %bb.1111:
	v_cmp_lt_i16_e32 vcc, 3, v4
	s_cbranch_vccz .LBB25_1113
; %bb.1112:
	v_trunc_f32_e32 v1, v0
	s_mov_b32 s0, 0x2f800000
	v_mul_f32_e64 v5, |v1|, s0
	v_floor_f32_e32 v5, v5
	s_mov_b32 s0, 0xcf800000
	v_cvt_u32_f32_e32 v6, v5
	v_fma_f32 v5, v5, s0, |v1|
	v_cvt_u32_f32_e32 v5, v5
	v_ashrrev_i32_e32 v1, 31, v1
	v_xor_b32_e32 v7, v6, v1
	s_mov_b64 s[0:1], 0
	v_xor_b32_e32 v5, v5, v1
	v_sub_co_u32_e32 v6, vcc, v5, v1
	s_nop 1
	v_subb_co_u32_e32 v7, vcc, v7, v1, vcc
	global_store_dwordx2 v[2:3], v[6:7], off
.LBB25_1113:
	s_andn2_b64 vcc, exec, s[0:1]
	s_cbranch_vccnz .LBB25_1115
; %bb.1114:
	v_cvt_i32_f32_e32 v1, v0
	global_store_dword v[2:3], v1, off
.LBB25_1115:
	s_mov_b64 s[0:1], 0
.LBB25_1116:
	s_andn2_b64 vcc, exec, s[0:1]
	s_cbranch_vccnz .LBB25_1118
; %bb.1117:
	v_cvt_i32_f32_e32 v1, v0
	global_store_short v[2:3], v1, off
.LBB25_1118:
	s_mov_b64 s[0:1], 0
.LBB25_1119:
	s_andn2_b64 vcc, exec, s[0:1]
	s_cbranch_vccnz .LBB25_1124
; %bb.1120:
	v_cmp_lt_i16_e32 vcc, 0, v4
	s_mov_b64 s[0:1], -1
	s_cbranch_vccz .LBB25_1122
; %bb.1121:
	v_cvt_i32_f32_e32 v1, v0
	s_mov_b64 s[0:1], 0
	global_store_byte v[2:3], v1, off
.LBB25_1122:
	s_andn2_b64 vcc, exec, s[0:1]
	s_cbranch_vccnz .LBB25_1124
; %bb.1123:
	v_trunc_f32_e32 v0, v0
	s_mov_b32 s0, 0x2f800000
	v_mul_f32_e64 v1, |v0|, s0
	v_floor_f32_e32 v1, v1
	s_mov_b32 s0, 0xcf800000
	v_fma_f32 v1, v1, s0, |v0|
	v_cvt_u32_f32_e32 v1, v1
	v_ashrrev_i32_e32 v0, 31, v0
	v_xor_b32_e32 v1, v1, v0
	v_sub_u32_e32 v0, v1, v0
	global_store_byte v[2:3], v0, off
	s_endpgm
.LBB25_1124:
	s_endpgm
.LBB25_1125:
	s_or_saveexec_b64 s[10:11], s[10:11]
                                        ; implicit-def: $sgpr13
	s_xor_b64 exec, exec, s[10:11]
	s_cbranch_execz .LBB25_992
.LBB25_1126:
	s_mov_b32 s13, 0x46000000
	v_add_f32_e64 v1, |v22|, s13
	v_and_b32_e32 v1, 0xff, v1
	v_cmp_ne_u32_e32 vcc, 0, v1
	s_andn2_b64 s[8:9], s[8:9], exec
	s_and_b64 s[14:15], vcc, exec
	s_mov_b32 s13, 0
	s_or_b64 s[8:9], s[8:9], s[14:15]
	s_or_b64 exec, exec, s[10:11]
	v_mov_b32_e32 v4, s13
	s_and_saveexec_b64 s[10:11], s[8:9]
	s_cbranch_execnz .LBB25_993
	s_branch .LBB25_994
.LBB25_1127:
	s_trap 2
	s_or_b64 s[2:3], s[2:3], exec
	s_cbranch_execz .LBB25_1040
	s_branch .LBB25_1041
.LBB25_1128:
	s_or_saveexec_b64 s[10:11], s[10:11]
                                        ; implicit-def: $sgpr12
	s_xor_b64 exec, exec, s[10:11]
	s_cbranch_execz .LBB25_915
.LBB25_1129:
	s_mov_b32 s12, 0x46000000
	v_add_f32_e64 v1, |v0|, s12
	v_and_b32_e32 v1, 0xff, v1
	v_cmp_ne_u32_e32 vcc, 0, v1
	s_andn2_b64 s[8:9], s[8:9], exec
	s_and_b64 s[14:15], vcc, exec
	s_mov_b32 s12, 0
	s_or_b64 s[8:9], s[8:9], s[14:15]
	s_or_b64 exec, exec, s[10:11]
	v_mov_b32_e32 v5, s12
	s_and_saveexec_b64 s[10:11], s[8:9]
	s_cbranch_execnz .LBB25_916
	s_branch .LBB25_917
.LBB25_1130:
	s_or_saveexec_b64 s[8:9], s[8:9]
                                        ; implicit-def: $sgpr10
	s_xor_b64 exec, exec, s[8:9]
	s_cbranch_execz .LBB25_1005
.LBB25_1131:
	s_mov_b32 s10, 0x42800000
	v_add_f32_e64 v1, |v22|, s10
	v_and_b32_e32 v1, 0xff, v1
	v_cmp_ne_u32_e32 vcc, 0, v1
	s_andn2_b64 s[6:7], s[6:7], exec
	s_and_b64 s[14:15], vcc, exec
	s_mov_b32 s10, 0
	s_or_b64 s[6:7], s[6:7], s[14:15]
	s_or_b64 exec, exec, s[8:9]
	v_mov_b32_e32 v4, s10
	s_and_saveexec_b64 s[8:9], s[6:7]
	s_cbranch_execnz .LBB25_1006
	s_branch .LBB25_1007
.LBB25_1132:
	s_mov_b64 s[4:5], 0
	s_or_b64 s[2:3], s[2:3], exec
	s_trap 2
	s_branch .LBB25_961
.LBB25_1133:
	s_or_saveexec_b64 s[6:7], s[6:7]
                                        ; implicit-def: $sgpr8
	s_xor_b64 exec, exec, s[6:7]
	s_cbranch_execz .LBB25_484
.LBB25_1134:
	s_mov_b32 s8, 0x46000000
	v_add_f32_e64 v1, |v0|, s8
	v_and_b32_e32 v1, 0xff, v1
	v_cmp_ne_u32_e32 vcc, 0, v1
	s_andn2_b64 s[4:5], s[4:5], exec
	s_and_b64 s[10:11], vcc, exec
	s_mov_b32 s8, 0
	s_or_b64 s[4:5], s[4:5], s[10:11]
	s_or_b64 exec, exec, s[6:7]
	v_mov_b32_e32 v5, s8
	s_and_saveexec_b64 s[6:7], s[4:5]
	s_cbranch_execnz .LBB25_485
	s_branch .LBB25_486
.LBB25_1135:
	s_or_saveexec_b64 s[8:9], s[8:9]
                                        ; implicit-def: $sgpr10
	s_xor_b64 exec, exec, s[8:9]
	s_cbranch_execz .LBB25_927
.LBB25_1136:
	s_mov_b32 s10, 0x42800000
	v_add_f32_e64 v1, |v0|, s10
	v_and_b32_e32 v1, 0xff, v1
	v_cmp_ne_u32_e32 vcc, 0, v1
	s_andn2_b64 s[6:7], s[6:7], exec
	s_and_b64 s[12:13], vcc, exec
	s_mov_b32 s10, 0
	s_or_b64 s[6:7], s[6:7], s[12:13]
	s_or_b64 exec, exec, s[8:9]
	v_mov_b32_e32 v5, s10
	s_and_saveexec_b64 s[8:9], s[6:7]
	s_cbranch_execnz .LBB25_928
	s_branch .LBB25_929
.LBB25_1137:
	s_or_saveexec_b64 s[8:9], s[8:9]
                                        ; implicit-def: $sgpr10
	s_xor_b64 exec, exec, s[8:9]
	s_cbranch_execz .LBB25_496
.LBB25_1138:
	s_mov_b32 s10, 0x42800000
	v_add_f32_e64 v1, |v0|, s10
	v_and_b32_e32 v1, 0xff, v1
	v_cmp_ne_u32_e32 vcc, 0, v1
	s_andn2_b64 s[6:7], s[6:7], exec
	s_and_b64 s[12:13], vcc, exec
	s_mov_b32 s10, 0
	s_or_b64 s[6:7], s[6:7], s[12:13]
	s_or_b64 exec, exec, s[8:9]
	v_mov_b32_e32 v5, s10
	s_and_saveexec_b64 s[8:9], s[6:7]
	s_cbranch_execnz .LBB25_497
	s_branch .LBB25_498
	.section	.rodata,"a",@progbits
	.p2align	6, 0x0
	.amdhsa_kernel _ZN2at6native32elementwise_kernel_manual_unrollILi128ELi4EZNS0_15gpu_kernel_implIZZZNS0_12_GLOBAL__N_121bessel_y0_kernel_cudaERNS_18TensorIteratorBaseEENKUlvE_clEvENKUlvE0_clEvEUlfE_EEvS5_RKT_EUlibE0_EEviT1_
		.amdhsa_group_segment_fixed_size 0
		.amdhsa_private_segment_fixed_size 0
		.amdhsa_kernarg_size 360
		.amdhsa_user_sgpr_count 2
		.amdhsa_user_sgpr_dispatch_ptr 0
		.amdhsa_user_sgpr_queue_ptr 0
		.amdhsa_user_sgpr_kernarg_segment_ptr 1
		.amdhsa_user_sgpr_dispatch_id 0
		.amdhsa_user_sgpr_kernarg_preload_length 0
		.amdhsa_user_sgpr_kernarg_preload_offset 0
		.amdhsa_user_sgpr_private_segment_size 0
		.amdhsa_uses_dynamic_stack 0
		.amdhsa_enable_private_segment 0
		.amdhsa_system_sgpr_workgroup_id_x 1
		.amdhsa_system_sgpr_workgroup_id_y 0
		.amdhsa_system_sgpr_workgroup_id_z 0
		.amdhsa_system_sgpr_workgroup_info 0
		.amdhsa_system_vgpr_workitem_id 0
		.amdhsa_next_free_vgpr 40
		.amdhsa_next_free_sgpr 74
		.amdhsa_accum_offset 40
		.amdhsa_reserve_vcc 1
		.amdhsa_float_round_mode_32 0
		.amdhsa_float_round_mode_16_64 0
		.amdhsa_float_denorm_mode_32 3
		.amdhsa_float_denorm_mode_16_64 3
		.amdhsa_dx10_clamp 1
		.amdhsa_ieee_mode 1
		.amdhsa_fp16_overflow 0
		.amdhsa_tg_split 0
		.amdhsa_exception_fp_ieee_invalid_op 0
		.amdhsa_exception_fp_denorm_src 0
		.amdhsa_exception_fp_ieee_div_zero 0
		.amdhsa_exception_fp_ieee_overflow 0
		.amdhsa_exception_fp_ieee_underflow 0
		.amdhsa_exception_fp_ieee_inexact 0
		.amdhsa_exception_int_div_zero 0
	.end_amdhsa_kernel
	.section	.text._ZN2at6native32elementwise_kernel_manual_unrollILi128ELi4EZNS0_15gpu_kernel_implIZZZNS0_12_GLOBAL__N_121bessel_y0_kernel_cudaERNS_18TensorIteratorBaseEENKUlvE_clEvENKUlvE0_clEvEUlfE_EEvS5_RKT_EUlibE0_EEviT1_,"axG",@progbits,_ZN2at6native32elementwise_kernel_manual_unrollILi128ELi4EZNS0_15gpu_kernel_implIZZZNS0_12_GLOBAL__N_121bessel_y0_kernel_cudaERNS_18TensorIteratorBaseEENKUlvE_clEvENKUlvE0_clEvEUlfE_EEvS5_RKT_EUlibE0_EEviT1_,comdat
.Lfunc_end25:
	.size	_ZN2at6native32elementwise_kernel_manual_unrollILi128ELi4EZNS0_15gpu_kernel_implIZZZNS0_12_GLOBAL__N_121bessel_y0_kernel_cudaERNS_18TensorIteratorBaseEENKUlvE_clEvENKUlvE0_clEvEUlfE_EEvS5_RKT_EUlibE0_EEviT1_, .Lfunc_end25-_ZN2at6native32elementwise_kernel_manual_unrollILi128ELi4EZNS0_15gpu_kernel_implIZZZNS0_12_GLOBAL__N_121bessel_y0_kernel_cudaERNS_18TensorIteratorBaseEENKUlvE_clEvENKUlvE0_clEvEUlfE_EEvS5_RKT_EUlibE0_EEviT1_
                                        ; -- End function
	.section	.AMDGPU.csdata,"",@progbits
; Kernel info:
; codeLenInByte = 24256
; NumSgprs: 80
; NumVgprs: 40
; NumAgprs: 0
; TotalNumVgprs: 40
; ScratchSize: 0
; MemoryBound: 0
; FloatMode: 240
; IeeeMode: 1
; LDSByteSize: 0 bytes/workgroup (compile time only)
; SGPRBlocks: 9
; VGPRBlocks: 4
; NumSGPRsForWavesPerEU: 80
; NumVGPRsForWavesPerEU: 40
; AccumOffset: 40
; Occupancy: 8
; WaveLimiterHint : 1
; COMPUTE_PGM_RSRC2:SCRATCH_EN: 0
; COMPUTE_PGM_RSRC2:USER_SGPR: 2
; COMPUTE_PGM_RSRC2:TRAP_HANDLER: 0
; COMPUTE_PGM_RSRC2:TGID_X_EN: 1
; COMPUTE_PGM_RSRC2:TGID_Y_EN: 0
; COMPUTE_PGM_RSRC2:TGID_Z_EN: 0
; COMPUTE_PGM_RSRC2:TIDIG_COMP_CNT: 0
; COMPUTE_PGM_RSRC3_GFX90A:ACCUM_OFFSET: 9
; COMPUTE_PGM_RSRC3_GFX90A:TG_SPLIT: 0
	.text
	.p2alignl 6, 3212836864
	.fill 256, 4, 3212836864
	.type	__hip_cuid_ad99f8b2d2be78bf,@object ; @__hip_cuid_ad99f8b2d2be78bf
	.section	.bss,"aw",@nobits
	.globl	__hip_cuid_ad99f8b2d2be78bf
__hip_cuid_ad99f8b2d2be78bf:
	.byte	0                               ; 0x0
	.size	__hip_cuid_ad99f8b2d2be78bf, 1

	.ident	"AMD clang version 19.0.0git (https://github.com/RadeonOpenCompute/llvm-project roc-6.4.0 25133 c7fe45cf4b819c5991fe208aaa96edf142730f1d)"
	.section	".note.GNU-stack","",@progbits
	.addrsig
	.addrsig_sym __hip_cuid_ad99f8b2d2be78bf
	.amdgpu_metadata
---
amdhsa.kernels:
  - .agpr_count:     0
    .args:
      - .offset:         0
        .size:           4
        .value_kind:     by_value
      - .offset:         4
        .size:           1
        .value_kind:     by_value
      - .offset:         8
        .size:           16
        .value_kind:     by_value
    .group_segment_fixed_size: 0
    .kernarg_segment_align: 8
    .kernarg_segment_size: 24
    .language:       OpenCL C
    .language_version:
      - 2
      - 0
    .max_flat_workgroup_size: 256
    .name:           _ZN2at6native29vectorized_elementwise_kernelILi16EZZZNS0_12_GLOBAL__N_121bessel_y0_kernel_cudaERNS_18TensorIteratorBaseEENKUlvE_clEvENKUlvE_clEvEUldE_St5arrayIPcLm2EEEEviT0_T1_
    .private_segment_fixed_size: 8
    .sgpr_count:     46
    .sgpr_spill_count: 0
    .symbol:         _ZN2at6native29vectorized_elementwise_kernelILi16EZZZNS0_12_GLOBAL__N_121bessel_y0_kernel_cudaERNS_18TensorIteratorBaseEENKUlvE_clEvENKUlvE_clEvEUldE_St5arrayIPcLm2EEEEviT0_T1_.kd
    .uniform_work_group_size: 1
    .uses_dynamic_stack: false
    .vgpr_count:     102
    .vgpr_spill_count: 0
    .wavefront_size: 64
  - .agpr_count:     0
    .args:
      - .offset:         0
        .size:           4
        .value_kind:     by_value
      - .offset:         4
        .size:           1
        .value_kind:     by_value
      - .offset:         8
        .size:           16
        .value_kind:     by_value
    .group_segment_fixed_size: 0
    .kernarg_segment_align: 8
    .kernarg_segment_size: 24
    .language:       OpenCL C
    .language_version:
      - 2
      - 0
    .max_flat_workgroup_size: 256
    .name:           _ZN2at6native29vectorized_elementwise_kernelILi8EZZZNS0_12_GLOBAL__N_121bessel_y0_kernel_cudaERNS_18TensorIteratorBaseEENKUlvE_clEvENKUlvE_clEvEUldE_St5arrayIPcLm2EEEEviT0_T1_
    .private_segment_fixed_size: 8
    .sgpr_count:     46
    .sgpr_spill_count: 0
    .symbol:         _ZN2at6native29vectorized_elementwise_kernelILi8EZZZNS0_12_GLOBAL__N_121bessel_y0_kernel_cudaERNS_18TensorIteratorBaseEENKUlvE_clEvENKUlvE_clEvEUldE_St5arrayIPcLm2EEEEviT0_T1_.kd
    .uniform_work_group_size: 1
    .uses_dynamic_stack: false
    .vgpr_count:     102
    .vgpr_spill_count: 0
    .wavefront_size: 64
  - .agpr_count:     0
    .args:
      - .offset:         0
        .size:           4
        .value_kind:     by_value
      - .offset:         4
        .size:           1
        .value_kind:     by_value
      - .offset:         8
        .size:           16
        .value_kind:     by_value
    .group_segment_fixed_size: 0
    .kernarg_segment_align: 8
    .kernarg_segment_size: 24
    .language:       OpenCL C
    .language_version:
      - 2
      - 0
    .max_flat_workgroup_size: 256
    .name:           _ZN2at6native29vectorized_elementwise_kernelILi4EZZZNS0_12_GLOBAL__N_121bessel_y0_kernel_cudaERNS_18TensorIteratorBaseEENKUlvE_clEvENKUlvE_clEvEUldE_St5arrayIPcLm2EEEEviT0_T1_
    .private_segment_fixed_size: 8
    .sgpr_count:     46
    .sgpr_spill_count: 0
    .symbol:         _ZN2at6native29vectorized_elementwise_kernelILi4EZZZNS0_12_GLOBAL__N_121bessel_y0_kernel_cudaERNS_18TensorIteratorBaseEENKUlvE_clEvENKUlvE_clEvEUldE_St5arrayIPcLm2EEEEviT0_T1_.kd
    .uniform_work_group_size: 1
    .uses_dynamic_stack: false
    .vgpr_count:     102
    .vgpr_spill_count: 0
    .wavefront_size: 64
  - .agpr_count:     0
    .args:
      - .offset:         0
        .size:           4
        .value_kind:     by_value
      - .offset:         4
        .size:           1
        .value_kind:     by_value
      - .offset:         8
        .size:           16
        .value_kind:     by_value
    .group_segment_fixed_size: 0
    .kernarg_segment_align: 8
    .kernarg_segment_size: 24
    .language:       OpenCL C
    .language_version:
      - 2
      - 0
    .max_flat_workgroup_size: 256
    .name:           _ZN2at6native29vectorized_elementwise_kernelILi2EZZZNS0_12_GLOBAL__N_121bessel_y0_kernel_cudaERNS_18TensorIteratorBaseEENKUlvE_clEvENKUlvE_clEvEUldE_St5arrayIPcLm2EEEEviT0_T1_
    .private_segment_fixed_size: 8
    .sgpr_count:     46
    .sgpr_spill_count: 0
    .symbol:         _ZN2at6native29vectorized_elementwise_kernelILi2EZZZNS0_12_GLOBAL__N_121bessel_y0_kernel_cudaERNS_18TensorIteratorBaseEENKUlvE_clEvENKUlvE_clEvEUldE_St5arrayIPcLm2EEEEviT0_T1_.kd
    .uniform_work_group_size: 1
    .uses_dynamic_stack: false
    .vgpr_count:     102
    .vgpr_spill_count: 0
    .wavefront_size: 64
  - .agpr_count:     0
    .args:
      - .offset:         0
        .size:           4
        .value_kind:     by_value
      - .offset:         4
        .size:           1
        .value_kind:     by_value
      - .offset:         8
        .size:           16
        .value_kind:     by_value
      - .offset:         24
        .size:           1
        .value_kind:     by_value
      - .offset:         25
        .size:           1
        .value_kind:     by_value
      - .offset:         26
        .size:           1
        .value_kind:     by_value
      - .offset:         27
        .size:           1
        .value_kind:     by_value
    .group_segment_fixed_size: 0
    .kernarg_segment_align: 8
    .kernarg_segment_size: 28
    .language:       OpenCL C
    .language_version:
      - 2
      - 0
    .max_flat_workgroup_size: 256
    .name:           _ZN2at6native27unrolled_elementwise_kernelIZZZNS0_12_GLOBAL__N_121bessel_y0_kernel_cudaERNS_18TensorIteratorBaseEENKUlvE_clEvENKUlvE_clEvEUldE_St5arrayIPcLm2EELi4E23TrivialOffsetCalculatorILi1EjESC_NS0_6memory15LoadWithoutCastENSD_16StoreWithoutCastEEEviT_T0_T2_T3_T4_T5_
    .private_segment_fixed_size: 0
    .sgpr_count:     44
    .sgpr_spill_count: 0
    .symbol:         _ZN2at6native27unrolled_elementwise_kernelIZZZNS0_12_GLOBAL__N_121bessel_y0_kernel_cudaERNS_18TensorIteratorBaseEENKUlvE_clEvENKUlvE_clEvEUldE_St5arrayIPcLm2EELi4E23TrivialOffsetCalculatorILi1EjESC_NS0_6memory15LoadWithoutCastENSD_16StoreWithoutCastEEEviT_T0_T2_T3_T4_T5_.kd
    .uniform_work_group_size: 1
    .uses_dynamic_stack: false
    .vgpr_count:     48
    .vgpr_spill_count: 0
    .wavefront_size: 64
  - .agpr_count:     0
    .args:
      - .offset:         0
        .size:           4
        .value_kind:     by_value
      - .offset:         8
        .size:           352
        .value_kind:     by_value
    .group_segment_fixed_size: 0
    .kernarg_segment_align: 8
    .kernarg_segment_size: 360
    .language:       OpenCL C
    .language_version:
      - 2
      - 0
    .max_flat_workgroup_size: 128
    .name:           _ZN2at6native32elementwise_kernel_manual_unrollILi128ELi4EZNS0_22gpu_kernel_impl_nocastIZZZNS0_12_GLOBAL__N_121bessel_y0_kernel_cudaERNS_18TensorIteratorBaseEENKUlvE_clEvENKUlvE_clEvEUldE_EEvS5_RKT_EUlibE_EEviT1_
    .private_segment_fixed_size: 0
    .sgpr_count:     68
    .sgpr_spill_count: 0
    .symbol:         _ZN2at6native32elementwise_kernel_manual_unrollILi128ELi4EZNS0_22gpu_kernel_impl_nocastIZZZNS0_12_GLOBAL__N_121bessel_y0_kernel_cudaERNS_18TensorIteratorBaseEENKUlvE_clEvENKUlvE_clEvEUldE_EEvS5_RKT_EUlibE_EEviT1_.kd
    .uniform_work_group_size: 1
    .uses_dynamic_stack: false
    .vgpr_count:     46
    .vgpr_spill_count: 0
    .wavefront_size: 64
  - .agpr_count:     0
    .args:
      - .offset:         0
        .size:           4
        .value_kind:     by_value
      - .offset:         8
        .size:           32
        .value_kind:     by_value
    .group_segment_fixed_size: 0
    .kernarg_segment_align: 8
    .kernarg_segment_size: 40
    .language:       OpenCL C
    .language_version:
      - 2
      - 0
    .max_flat_workgroup_size: 128
    .name:           _ZN2at6native32elementwise_kernel_manual_unrollILi128ELi4EZNS0_15gpu_kernel_implIZZZNS0_12_GLOBAL__N_121bessel_y0_kernel_cudaERNS_18TensorIteratorBaseEENKUlvE_clEvENKUlvE_clEvEUldE_EEvS5_RKT_EUlibE_EEviT1_
    .private_segment_fixed_size: 0
    .sgpr_count:     64
    .sgpr_spill_count: 0
    .symbol:         _ZN2at6native32elementwise_kernel_manual_unrollILi128ELi4EZNS0_15gpu_kernel_implIZZZNS0_12_GLOBAL__N_121bessel_y0_kernel_cudaERNS_18TensorIteratorBaseEENKUlvE_clEvENKUlvE_clEvEUldE_EEvS5_RKT_EUlibE_EEviT1_.kd
    .uniform_work_group_size: 1
    .uses_dynamic_stack: false
    .vgpr_count:     44
    .vgpr_spill_count: 0
    .wavefront_size: 64
  - .agpr_count:     0
    .args:
      - .offset:         0
        .size:           4
        .value_kind:     by_value
      - .offset:         8
        .size:           352
        .value_kind:     by_value
    .group_segment_fixed_size: 0
    .kernarg_segment_align: 8
    .kernarg_segment_size: 360
    .language:       OpenCL C
    .language_version:
      - 2
      - 0
    .max_flat_workgroup_size: 128
    .name:           _ZN2at6native32elementwise_kernel_manual_unrollILi128ELi4EZNS0_15gpu_kernel_implIZZZNS0_12_GLOBAL__N_121bessel_y0_kernel_cudaERNS_18TensorIteratorBaseEENKUlvE_clEvENKUlvE_clEvEUldE_EEvS5_RKT_EUlibE0_EEviT1_
    .private_segment_fixed_size: 0
    .sgpr_count:     86
    .sgpr_spill_count: 0
    .symbol:         _ZN2at6native32elementwise_kernel_manual_unrollILi128ELi4EZNS0_15gpu_kernel_implIZZZNS0_12_GLOBAL__N_121bessel_y0_kernel_cudaERNS_18TensorIteratorBaseEENKUlvE_clEvENKUlvE_clEvEUldE_EEvS5_RKT_EUlibE0_EEviT1_.kd
    .uniform_work_group_size: 1
    .uses_dynamic_stack: false
    .vgpr_count:     52
    .vgpr_spill_count: 0
    .wavefront_size: 64
  - .agpr_count:     0
    .args:
      - .offset:         0
        .size:           4
        .value_kind:     by_value
      - .offset:         4
        .size:           1
        .value_kind:     by_value
      - .offset:         8
        .size:           16
        .value_kind:     by_value
    .group_segment_fixed_size: 0
    .kernarg_segment_align: 8
    .kernarg_segment_size: 24
    .language:       OpenCL C
    .language_version:
      - 2
      - 0
    .max_flat_workgroup_size: 256
    .name:           _ZN2at6native29vectorized_elementwise_kernelILi16EZZZNS0_12_GLOBAL__N_121bessel_y0_kernel_cudaERNS_18TensorIteratorBaseEENKUlvE_clEvENKUlvE0_clEvEUlfE_St5arrayIPcLm2EEEEviT0_T1_
    .private_segment_fixed_size: 0
    .sgpr_count:     39
    .sgpr_spill_count: 0
    .symbol:         _ZN2at6native29vectorized_elementwise_kernelILi16EZZZNS0_12_GLOBAL__N_121bessel_y0_kernel_cudaERNS_18TensorIteratorBaseEENKUlvE_clEvENKUlvE0_clEvEUlfE_St5arrayIPcLm2EEEEviT0_T1_.kd
    .uniform_work_group_size: 1
    .uses_dynamic_stack: false
    .vgpr_count:     50
    .vgpr_spill_count: 0
    .wavefront_size: 64
  - .agpr_count:     0
    .args:
      - .offset:         0
        .size:           4
        .value_kind:     by_value
      - .offset:         4
        .size:           1
        .value_kind:     by_value
      - .offset:         8
        .size:           16
        .value_kind:     by_value
    .group_segment_fixed_size: 0
    .kernarg_segment_align: 8
    .kernarg_segment_size: 24
    .language:       OpenCL C
    .language_version:
      - 2
      - 0
    .max_flat_workgroup_size: 256
    .name:           _ZN2at6native29vectorized_elementwise_kernelILi8EZZZNS0_12_GLOBAL__N_121bessel_y0_kernel_cudaERNS_18TensorIteratorBaseEENKUlvE_clEvENKUlvE0_clEvEUlfE_St5arrayIPcLm2EEEEviT0_T1_
    .private_segment_fixed_size: 0
    .sgpr_count:     39
    .sgpr_spill_count: 0
    .symbol:         _ZN2at6native29vectorized_elementwise_kernelILi8EZZZNS0_12_GLOBAL__N_121bessel_y0_kernel_cudaERNS_18TensorIteratorBaseEENKUlvE_clEvENKUlvE0_clEvEUlfE_St5arrayIPcLm2EEEEviT0_T1_.kd
    .uniform_work_group_size: 1
    .uses_dynamic_stack: false
    .vgpr_count:     50
    .vgpr_spill_count: 0
    .wavefront_size: 64
  - .agpr_count:     0
    .args:
      - .offset:         0
        .size:           4
        .value_kind:     by_value
      - .offset:         4
        .size:           1
        .value_kind:     by_value
      - .offset:         8
        .size:           16
        .value_kind:     by_value
    .group_segment_fixed_size: 0
    .kernarg_segment_align: 8
    .kernarg_segment_size: 24
    .language:       OpenCL C
    .language_version:
      - 2
      - 0
    .max_flat_workgroup_size: 256
    .name:           _ZN2at6native29vectorized_elementwise_kernelILi4EZZZNS0_12_GLOBAL__N_121bessel_y0_kernel_cudaERNS_18TensorIteratorBaseEENKUlvE_clEvENKUlvE0_clEvEUlfE_St5arrayIPcLm2EEEEviT0_T1_
    .private_segment_fixed_size: 0
    .sgpr_count:     39
    .sgpr_spill_count: 0
    .symbol:         _ZN2at6native29vectorized_elementwise_kernelILi4EZZZNS0_12_GLOBAL__N_121bessel_y0_kernel_cudaERNS_18TensorIteratorBaseEENKUlvE_clEvENKUlvE0_clEvEUlfE_St5arrayIPcLm2EEEEviT0_T1_.kd
    .uniform_work_group_size: 1
    .uses_dynamic_stack: false
    .vgpr_count:     50
    .vgpr_spill_count: 0
    .wavefront_size: 64
  - .agpr_count:     0
    .args:
      - .offset:         0
        .size:           4
        .value_kind:     by_value
      - .offset:         4
        .size:           1
        .value_kind:     by_value
      - .offset:         8
        .size:           16
        .value_kind:     by_value
    .group_segment_fixed_size: 0
    .kernarg_segment_align: 8
    .kernarg_segment_size: 24
    .language:       OpenCL C
    .language_version:
      - 2
      - 0
    .max_flat_workgroup_size: 256
    .name:           _ZN2at6native29vectorized_elementwise_kernelILi2EZZZNS0_12_GLOBAL__N_121bessel_y0_kernel_cudaERNS_18TensorIteratorBaseEENKUlvE_clEvENKUlvE0_clEvEUlfE_St5arrayIPcLm2EEEEviT0_T1_
    .private_segment_fixed_size: 0
    .sgpr_count:     39
    .sgpr_spill_count: 0
    .symbol:         _ZN2at6native29vectorized_elementwise_kernelILi2EZZZNS0_12_GLOBAL__N_121bessel_y0_kernel_cudaERNS_18TensorIteratorBaseEENKUlvE_clEvENKUlvE0_clEvEUlfE_St5arrayIPcLm2EEEEviT0_T1_.kd
    .uniform_work_group_size: 1
    .uses_dynamic_stack: false
    .vgpr_count:     50
    .vgpr_spill_count: 0
    .wavefront_size: 64
  - .agpr_count:     0
    .args:
      - .offset:         0
        .size:           4
        .value_kind:     by_value
      - .offset:         4
        .size:           1
        .value_kind:     by_value
      - .offset:         8
        .size:           16
        .value_kind:     by_value
      - .offset:         24
        .size:           1
        .value_kind:     by_value
      - .offset:         25
        .size:           1
        .value_kind:     by_value
      - .offset:         26
        .size:           1
        .value_kind:     by_value
      - .offset:         27
        .size:           1
        .value_kind:     by_value
    .group_segment_fixed_size: 0
    .kernarg_segment_align: 8
    .kernarg_segment_size: 28
    .language:       OpenCL C
    .language_version:
      - 2
      - 0
    .max_flat_workgroup_size: 256
    .name:           _ZN2at6native27unrolled_elementwise_kernelIZZZNS0_12_GLOBAL__N_121bessel_y0_kernel_cudaERNS_18TensorIteratorBaseEENKUlvE_clEvENKUlvE0_clEvEUlfE_St5arrayIPcLm2EELi4E23TrivialOffsetCalculatorILi1EjESC_NS0_6memory15LoadWithoutCastENSD_16StoreWithoutCastEEEviT_T0_T2_T3_T4_T5_
    .private_segment_fixed_size: 0
    .sgpr_count:     26
    .sgpr_spill_count: 0
    .symbol:         _ZN2at6native27unrolled_elementwise_kernelIZZZNS0_12_GLOBAL__N_121bessel_y0_kernel_cudaERNS_18TensorIteratorBaseEENKUlvE_clEvENKUlvE0_clEvEUlfE_St5arrayIPcLm2EELi4E23TrivialOffsetCalculatorILi1EjESC_NS0_6memory15LoadWithoutCastENSD_16StoreWithoutCastEEEviT_T0_T2_T3_T4_T5_.kd
    .uniform_work_group_size: 1
    .uses_dynamic_stack: false
    .vgpr_count:     29
    .vgpr_spill_count: 0
    .wavefront_size: 64
  - .agpr_count:     0
    .args:
      - .offset:         0
        .size:           4
        .value_kind:     by_value
      - .offset:         8
        .size:           352
        .value_kind:     by_value
    .group_segment_fixed_size: 0
    .kernarg_segment_align: 8
    .kernarg_segment_size: 360
    .language:       OpenCL C
    .language_version:
      - 2
      - 0
    .max_flat_workgroup_size: 128
    .name:           _ZN2at6native32elementwise_kernel_manual_unrollILi128ELi4EZNS0_22gpu_kernel_impl_nocastIZZZNS0_12_GLOBAL__N_121bessel_y0_kernel_cudaERNS_18TensorIteratorBaseEENKUlvE_clEvENKUlvE0_clEvEUlfE_EEvS5_RKT_EUlibE_EEviT1_
    .private_segment_fixed_size: 0
    .sgpr_count:     66
    .sgpr_spill_count: 0
    .symbol:         _ZN2at6native32elementwise_kernel_manual_unrollILi128ELi4EZNS0_22gpu_kernel_impl_nocastIZZZNS0_12_GLOBAL__N_121bessel_y0_kernel_cudaERNS_18TensorIteratorBaseEENKUlvE_clEvENKUlvE0_clEvEUlfE_EEvS5_RKT_EUlibE_EEviT1_.kd
    .uniform_work_group_size: 1
    .uses_dynamic_stack: false
    .vgpr_count:     30
    .vgpr_spill_count: 0
    .wavefront_size: 64
  - .agpr_count:     0
    .args:
      - .offset:         0
        .size:           4
        .value_kind:     by_value
      - .offset:         8
        .size:           32
        .value_kind:     by_value
    .group_segment_fixed_size: 0
    .kernarg_segment_align: 8
    .kernarg_segment_size: 40
    .language:       OpenCL C
    .language_version:
      - 2
      - 0
    .max_flat_workgroup_size: 128
    .name:           _ZN2at6native32elementwise_kernel_manual_unrollILi128ELi4EZNS0_15gpu_kernel_implIZZZNS0_12_GLOBAL__N_121bessel_y0_kernel_cudaERNS_18TensorIteratorBaseEENKUlvE_clEvENKUlvE0_clEvEUlfE_EEvS5_RKT_EUlibE_EEviT1_
    .private_segment_fixed_size: 0
    .sgpr_count:     58
    .sgpr_spill_count: 0
    .symbol:         _ZN2at6native32elementwise_kernel_manual_unrollILi128ELi4EZNS0_15gpu_kernel_implIZZZNS0_12_GLOBAL__N_121bessel_y0_kernel_cudaERNS_18TensorIteratorBaseEENKUlvE_clEvENKUlvE0_clEvEUlfE_EEvS5_RKT_EUlibE_EEviT1_.kd
    .uniform_work_group_size: 1
    .uses_dynamic_stack: false
    .vgpr_count:     29
    .vgpr_spill_count: 0
    .wavefront_size: 64
  - .agpr_count:     0
    .args:
      - .offset:         0
        .size:           4
        .value_kind:     by_value
      - .offset:         8
        .size:           352
        .value_kind:     by_value
    .group_segment_fixed_size: 0
    .kernarg_segment_align: 8
    .kernarg_segment_size: 360
    .language:       OpenCL C
    .language_version:
      - 2
      - 0
    .max_flat_workgroup_size: 128
    .name:           _ZN2at6native32elementwise_kernel_manual_unrollILi128ELi4EZNS0_15gpu_kernel_implIZZZNS0_12_GLOBAL__N_121bessel_y0_kernel_cudaERNS_18TensorIteratorBaseEENKUlvE_clEvENKUlvE0_clEvEUlfE_EEvS5_RKT_EUlibE0_EEviT1_
    .private_segment_fixed_size: 0
    .sgpr_count:     80
    .sgpr_spill_count: 0
    .symbol:         _ZN2at6native32elementwise_kernel_manual_unrollILi128ELi4EZNS0_15gpu_kernel_implIZZZNS0_12_GLOBAL__N_121bessel_y0_kernel_cudaERNS_18TensorIteratorBaseEENKUlvE_clEvENKUlvE0_clEvEUlfE_EEvS5_RKT_EUlibE0_EEviT1_.kd
    .uniform_work_group_size: 1
    .uses_dynamic_stack: false
    .vgpr_count:     40
    .vgpr_spill_count: 0
    .wavefront_size: 64
amdhsa.target:   amdgcn-amd-amdhsa--gfx942
amdhsa.version:
  - 1
  - 2
...

	.end_amdgpu_metadata
